;; amdgpu-corpus repo=ROCm/rocSPARSE kind=compiled arch=gfx1250 opt=O3
	.amdgcn_target "amdgcn-amd-amdhsa--gfx1250"
	.amdhsa_code_object_version 6
	.section	.text._ZN9rocsparseL35bsr2csr_block_dim_equals_one_kernelILj1024EiiiEEvT2_S1_21rocsparse_index_base_PKT0_PKT1_PKS1_S2_PS3_PS6_PS1_,"axG",@progbits,_ZN9rocsparseL35bsr2csr_block_dim_equals_one_kernelILj1024EiiiEEvT2_S1_21rocsparse_index_base_PKT0_PKT1_PKS1_S2_PS3_PS6_PS1_,comdat
	.globl	_ZN9rocsparseL35bsr2csr_block_dim_equals_one_kernelILj1024EiiiEEvT2_S1_21rocsparse_index_base_PKT0_PKT1_PKS1_S2_PS3_PS6_PS1_ ; -- Begin function _ZN9rocsparseL35bsr2csr_block_dim_equals_one_kernelILj1024EiiiEEvT2_S1_21rocsparse_index_base_PKT0_PKT1_PKS1_S2_PS3_PS6_PS1_
	.p2align	8
	.type	_ZN9rocsparseL35bsr2csr_block_dim_equals_one_kernelILj1024EiiiEEvT2_S1_21rocsparse_index_base_PKT0_PKT1_PKS1_S2_PS3_PS6_PS1_,@function
_ZN9rocsparseL35bsr2csr_block_dim_equals_one_kernelILj1024EiiiEEvT2_S1_21rocsparse_index_base_PKT0_PKT1_PKS1_S2_PS3_PS6_PS1_: ; @_ZN9rocsparseL35bsr2csr_block_dim_equals_one_kernelILj1024EiiiEEvT2_S1_21rocsparse_index_base_PKT0_PKT1_PKS1_S2_PS3_PS6_PS1_
; %bb.0:
	s_clause 0x5
	s_load_b64 s[2:3], s[0:1], 0x40
	s_load_b32 s14, s[0:1], 0x0
	s_load_b32 s11, s[0:1], 0x8
	s_load_b128 s[4:7], s[0:1], 0x10
	s_load_b96 s[8:10], s[0:1], 0x20
	s_load_b64 s[12:13], s[0:1], 0x30
	s_bfe_u32 s15, ttmp6, 0x4000c
	s_and_b32 s16, ttmp6, 15
	s_add_co_i32 s15, s15, 1
	s_getreg_b32 s17, hwreg(HW_REG_IB_STS2, 6, 4)
	s_mul_i32 s15, ttmp9, s15
	s_delay_alu instid0(SALU_CYCLE_1) | instskip(SKIP_2) | instid1(SALU_CYCLE_1)
	s_add_co_i32 s16, s16, s15
	s_cmp_eq_u32 s17, 0
	s_cselect_b32 s15, ttmp9, s16
	v_lshl_or_b32 v0, s15, 10, v0
	s_mov_b32 s15, exec_lo
	s_wait_kmcnt 0x0
	s_delay_alu instid0(VALU_DEP_1)
	v_cmpx_gt_i32_e64 s14, v0
	s_cbranch_execz .LBB0_6
; %bb.1:
	s_load_b64 s[16:17], s[0:1], 0x38
	s_mov_b32 s18, exec_lo
                                        ; implicit-def: $sgpr19
	v_cmpx_ne_u32_e32 0, v0
	s_xor_b32 s18, exec_lo, s18
; %bb.2:
	s_sub_co_i32 s19, s10, s11
; %bb.3:
	s_or_saveexec_b32 s18, s18
	v_mov_b32_e32 v1, s19
	s_xor_b32 exec_lo, exec_lo, s18
	s_cbranch_execz .LBB0_5
; %bb.4:
	s_load_b32 s19, s[6:7], 0x0
	s_sub_co_i32 s20, s10, s11
	s_delay_alu instid0(SALU_CYCLE_1) | instskip(SKIP_2) | instid1(SALU_CYCLE_1)
	v_mov_b32_e32 v1, s20
	s_wait_kmcnt 0x0
	s_add_co_i32 s19, s20, s19
	v_dual_mov_b32 v2, 0 :: v_dual_mov_b32 v3, s19
	global_store_b32 v2, v3, s[16:17]
.LBB0_5:
	s_wait_xcnt 0x0
	s_or_b32 exec_lo, exec_lo, s18
	global_load_b32 v2, v0, s[6:7] offset:4 scale_offset
	s_wait_loadcnt 0x0
	v_add_nc_u32_e32 v1, v1, v2
	s_wait_kmcnt 0x0
	global_store_b32 v0, v1, s[16:17] offset:4 scale_offset
.LBB0_6:
	s_wait_xcnt 0x0
	s_or_b32 exec_lo, exec_lo, s15
	s_ashr_i32 s15, s14, 31
	s_delay_alu instid0(SALU_CYCLE_1) | instskip(NEXT) | instid1(SALU_CYCLE_1)
	s_lshl_b64 s[14:15], s[14:15], 2
	s_add_nc_u64 s[14:15], s[6:7], s[14:15]
	s_clause 0x1
	s_load_b32 s16, s[14:15], 0x0
	s_load_b32 s17, s[6:7], 0x0
	s_wait_xcnt 0x0
	s_mov_b32 s7, exec_lo
	s_wait_kmcnt 0x0
	s_sub_co_i32 s6, s16, s17
	s_delay_alu instid0(SALU_CYCLE_1)
	v_cmpx_gt_i32_e64 s6, v0
	s_cbranch_execz .LBB0_9
; %bb.7:
	s_load_b32 s1, s[0:1], 0x48
	s_wait_xcnt 0x0
	s_sub_co_i32 s0, s10, s11
	s_mov_b32 s7, 0
	s_wait_kmcnt 0x0
	s_lshl_b32 s1, s1, 10
.LBB0_8:                                ; =>This Inner Loop Header: Depth=1
	s_clause 0x1
	global_load_b32 v1, v0, s[8:9] scale_offset
	global_load_b32 v2, v0, s[4:5] scale_offset
	s_wait_loadcnt 0x1
	v_add_nc_u32_e32 v1, s0, v1
	global_store_b32 v0, v1, s[2:3] scale_offset
	s_wait_loadcnt 0x0
	global_store_b32 v0, v2, s[12:13] scale_offset
	s_wait_xcnt 0x0
	v_add_nc_u32_e32 v0, s1, v0
	s_delay_alu instid0(VALU_DEP_1) | instskip(SKIP_1) | instid1(SALU_CYCLE_1)
	v_cmp_le_i32_e32 vcc_lo, s6, v0
	s_or_b32 s7, vcc_lo, s7
	s_and_not1_b32 exec_lo, exec_lo, s7
	s_cbranch_execnz .LBB0_8
.LBB0_9:
	s_endpgm
	.section	.rodata,"a",@progbits
	.p2align	6, 0x0
	.amdhsa_kernel _ZN9rocsparseL35bsr2csr_block_dim_equals_one_kernelILj1024EiiiEEvT2_S1_21rocsparse_index_base_PKT0_PKT1_PKS1_S2_PS3_PS6_PS1_
		.amdhsa_group_segment_fixed_size 0
		.amdhsa_private_segment_fixed_size 0
		.amdhsa_kernarg_size 328
		.amdhsa_user_sgpr_count 2
		.amdhsa_user_sgpr_dispatch_ptr 0
		.amdhsa_user_sgpr_queue_ptr 0
		.amdhsa_user_sgpr_kernarg_segment_ptr 1
		.amdhsa_user_sgpr_dispatch_id 0
		.amdhsa_user_sgpr_kernarg_preload_length 0
		.amdhsa_user_sgpr_kernarg_preload_offset 0
		.amdhsa_user_sgpr_private_segment_size 0
		.amdhsa_wavefront_size32 1
		.amdhsa_uses_dynamic_stack 0
		.amdhsa_enable_private_segment 0
		.amdhsa_system_sgpr_workgroup_id_x 1
		.amdhsa_system_sgpr_workgroup_id_y 0
		.amdhsa_system_sgpr_workgroup_id_z 0
		.amdhsa_system_sgpr_workgroup_info 0
		.amdhsa_system_vgpr_workitem_id 0
		.amdhsa_next_free_vgpr 4
		.amdhsa_next_free_sgpr 21
		.amdhsa_named_barrier_count 0
		.amdhsa_reserve_vcc 1
		.amdhsa_float_round_mode_32 0
		.amdhsa_float_round_mode_16_64 0
		.amdhsa_float_denorm_mode_32 3
		.amdhsa_float_denorm_mode_16_64 3
		.amdhsa_fp16_overflow 0
		.amdhsa_memory_ordered 1
		.amdhsa_forward_progress 1
		.amdhsa_inst_pref_size 4
		.amdhsa_round_robin_scheduling 0
		.amdhsa_exception_fp_ieee_invalid_op 0
		.amdhsa_exception_fp_denorm_src 0
		.amdhsa_exception_fp_ieee_div_zero 0
		.amdhsa_exception_fp_ieee_overflow 0
		.amdhsa_exception_fp_ieee_underflow 0
		.amdhsa_exception_fp_ieee_inexact 0
		.amdhsa_exception_int_div_zero 0
	.end_amdhsa_kernel
	.section	.text._ZN9rocsparseL35bsr2csr_block_dim_equals_one_kernelILj1024EiiiEEvT2_S1_21rocsparse_index_base_PKT0_PKT1_PKS1_S2_PS3_PS6_PS1_,"axG",@progbits,_ZN9rocsparseL35bsr2csr_block_dim_equals_one_kernelILj1024EiiiEEvT2_S1_21rocsparse_index_base_PKT0_PKT1_PKS1_S2_PS3_PS6_PS1_,comdat
.Lfunc_end0:
	.size	_ZN9rocsparseL35bsr2csr_block_dim_equals_one_kernelILj1024EiiiEEvT2_S1_21rocsparse_index_base_PKT0_PKT1_PKS1_S2_PS3_PS6_PS1_, .Lfunc_end0-_ZN9rocsparseL35bsr2csr_block_dim_equals_one_kernelILj1024EiiiEEvT2_S1_21rocsparse_index_base_PKT0_PKT1_PKS1_S2_PS3_PS6_PS1_
                                        ; -- End function
	.set _ZN9rocsparseL35bsr2csr_block_dim_equals_one_kernelILj1024EiiiEEvT2_S1_21rocsparse_index_base_PKT0_PKT1_PKS1_S2_PS3_PS6_PS1_.num_vgpr, 4
	.set _ZN9rocsparseL35bsr2csr_block_dim_equals_one_kernelILj1024EiiiEEvT2_S1_21rocsparse_index_base_PKT0_PKT1_PKS1_S2_PS3_PS6_PS1_.num_agpr, 0
	.set _ZN9rocsparseL35bsr2csr_block_dim_equals_one_kernelILj1024EiiiEEvT2_S1_21rocsparse_index_base_PKT0_PKT1_PKS1_S2_PS3_PS6_PS1_.numbered_sgpr, 21
	.set _ZN9rocsparseL35bsr2csr_block_dim_equals_one_kernelILj1024EiiiEEvT2_S1_21rocsparse_index_base_PKT0_PKT1_PKS1_S2_PS3_PS6_PS1_.num_named_barrier, 0
	.set _ZN9rocsparseL35bsr2csr_block_dim_equals_one_kernelILj1024EiiiEEvT2_S1_21rocsparse_index_base_PKT0_PKT1_PKS1_S2_PS3_PS6_PS1_.private_seg_size, 0
	.set _ZN9rocsparseL35bsr2csr_block_dim_equals_one_kernelILj1024EiiiEEvT2_S1_21rocsparse_index_base_PKT0_PKT1_PKS1_S2_PS3_PS6_PS1_.uses_vcc, 1
	.set _ZN9rocsparseL35bsr2csr_block_dim_equals_one_kernelILj1024EiiiEEvT2_S1_21rocsparse_index_base_PKT0_PKT1_PKS1_S2_PS3_PS6_PS1_.uses_flat_scratch, 0
	.set _ZN9rocsparseL35bsr2csr_block_dim_equals_one_kernelILj1024EiiiEEvT2_S1_21rocsparse_index_base_PKT0_PKT1_PKS1_S2_PS3_PS6_PS1_.has_dyn_sized_stack, 0
	.set _ZN9rocsparseL35bsr2csr_block_dim_equals_one_kernelILj1024EiiiEEvT2_S1_21rocsparse_index_base_PKT0_PKT1_PKS1_S2_PS3_PS6_PS1_.has_recursion, 0
	.set _ZN9rocsparseL35bsr2csr_block_dim_equals_one_kernelILj1024EiiiEEvT2_S1_21rocsparse_index_base_PKT0_PKT1_PKS1_S2_PS3_PS6_PS1_.has_indirect_call, 0
	.section	.AMDGPU.csdata,"",@progbits
; Kernel info:
; codeLenInByte = 456
; TotalNumSgprs: 23
; NumVgprs: 4
; ScratchSize: 0
; MemoryBound: 0
; FloatMode: 240
; IeeeMode: 1
; LDSByteSize: 0 bytes/workgroup (compile time only)
; SGPRBlocks: 0
; VGPRBlocks: 0
; NumSGPRsForWavesPerEU: 23
; NumVGPRsForWavesPerEU: 4
; NamedBarCnt: 0
; Occupancy: 16
; WaveLimiterHint : 0
; COMPUTE_PGM_RSRC2:SCRATCH_EN: 0
; COMPUTE_PGM_RSRC2:USER_SGPR: 2
; COMPUTE_PGM_RSRC2:TRAP_HANDLER: 0
; COMPUTE_PGM_RSRC2:TGID_X_EN: 1
; COMPUTE_PGM_RSRC2:TGID_Y_EN: 0
; COMPUTE_PGM_RSRC2:TGID_Z_EN: 0
; COMPUTE_PGM_RSRC2:TIDIG_COMP_CNT: 0
	.section	.text._ZN9rocsparseL32bsr2csr_block_per_row_2_7_kernelILj256ELj2EiiiEEv20rocsparse_direction_T3_S2_21rocsparse_index_base_PKT1_PKT2_PKS2_S2_S3_PS4_PS7_PS2_,"axG",@progbits,_ZN9rocsparseL32bsr2csr_block_per_row_2_7_kernelILj256ELj2EiiiEEv20rocsparse_direction_T3_S2_21rocsparse_index_base_PKT1_PKT2_PKS2_S2_S3_PS4_PS7_PS2_,comdat
	.globl	_ZN9rocsparseL32bsr2csr_block_per_row_2_7_kernelILj256ELj2EiiiEEv20rocsparse_direction_T3_S2_21rocsparse_index_base_PKT1_PKT2_PKS2_S2_S3_PS4_PS7_PS2_ ; -- Begin function _ZN9rocsparseL32bsr2csr_block_per_row_2_7_kernelILj256ELj2EiiiEEv20rocsparse_direction_T3_S2_21rocsparse_index_base_PKT1_PKT2_PKS2_S2_S3_PS4_PS7_PS2_
	.p2align	8
	.type	_ZN9rocsparseL32bsr2csr_block_per_row_2_7_kernelILj256ELj2EiiiEEv20rocsparse_direction_T3_S2_21rocsparse_index_base_PKT1_PKT2_PKS2_S2_S3_PS4_PS7_PS2_,@function
_ZN9rocsparseL32bsr2csr_block_per_row_2_7_kernelILj256ELj2EiiiEEv20rocsparse_direction_T3_S2_21rocsparse_index_base_PKT1_PKT2_PKS2_S2_S3_PS4_PS7_PS2_: ; @_ZN9rocsparseL32bsr2csr_block_per_row_2_7_kernelILj256ELj2EiiiEEv20rocsparse_direction_T3_S2_21rocsparse_index_base_PKT1_PKT2_PKS2_S2_S3_PS4_PS7_PS2_
; %bb.0:
	s_load_b64 s[6:7], s[0:1], 0x18
	s_bfe_u32 s2, ttmp6, 0x4000c
	s_and_b32 s3, ttmp6, 15
	s_add_co_i32 s2, s2, 1
	s_getreg_b32 s4, hwreg(HW_REG_IB_STS2, 6, 4)
	s_mul_i32 s2, ttmp9, s2
	s_delay_alu instid0(SALU_CYCLE_1)
	s_add_co_i32 s3, s3, s2
	s_cmp_eq_u32 s4, 0
	s_cselect_b32 s4, ttmp9, s3
	s_clause 0x1
	s_load_b32 s14, s[0:1], 0x2c
	s_load_b64 s[2:3], s[0:1], 0x38
	s_ashr_i32 s5, s4, 31
	v_or_b32_e32 v1, s4, v0
	s_lshl_b64 s[8:9], s[4:5], 2
	s_mov_b32 s5, exec_lo
	s_wait_kmcnt 0x0
	s_add_nc_u64 s[6:7], s[6:7], s[8:9]
	s_load_b64 s[12:13], s[6:7], 0x0
	v_cmpx_eq_u32_e32 0, v1
	s_cbranch_execz .LBB1_2
; %bb.1:
	v_dual_mov_b32 v1, 0 :: v_dual_mov_b32 v2, s14
	global_store_b32 v1, v2, s[2:3]
.LBB1_2:
	s_wait_xcnt 0x0
	s_or_b32 exec_lo, exec_lo, s5
	s_load_b32 s15, s[0:1], 0xc
	v_dual_lshrrev_b32 v1, 1, v0 :: v_dual_bitop2_b32 v4, 1, v0 bitop3:0x40
	s_delay_alu instid0(VALU_DEP_1) | instskip(NEXT) | instid1(VALU_DEP_1)
	v_lshl_or_b32 v3, s4, 1, v4
	v_add_nc_u32_e32 v3, 1, v3
	s_wait_kmcnt 0x0
	s_sub_co_i32 s16, s12, s15
	s_sub_co_i32 s13, s13, s15
	v_add_nc_u32_e32 v2, s16, v1
	s_sub_co_i32 s5, s13, s16
	s_delay_alu instid0(SALU_CYCLE_1) | instskip(NEXT) | instid1(SALU_CYCLE_1)
	s_lshl_b32 s5, s5, 1
	v_mul_lo_u32 v16, s5, v4
	s_delay_alu instid0(VALU_DEP_1) | instskip(NEXT) | instid1(VALU_DEP_1)
	v_lshl_add_u32 v8, s16, 2, v16
	v_add3_u32 v5, s5, s14, v8
	global_store_b32 v3, v5, s[2:3] scale_offset
	s_wait_xcnt 0x0
	s_mov_b32 s2, exec_lo
	v_cmpx_gt_i32_e64 s13, v2
	s_cbranch_execz .LBB1_12
; %bb.3:
	s_clause 0x2
	s_load_b64 s[4:5], s[0:1], 0x20
	s_load_b64 s[6:7], s[0:1], 0x30
	s_load_b32 s2, s[0:1], 0x0
	v_dual_add_nc_u32 v3, s12, v1 :: v_dual_lshlrev_b32 v6, 1, v4
	s_clause 0x1
	s_load_b64 s[8:9], s[0:1], 0x10
	s_load_b64 s[10:11], s[0:1], 0x40
	s_mov_b32 s18, exec_lo
	v_subrev_nc_u32_e32 v3, s15, v3
	s_delay_alu instid0(VALU_DEP_1) | instskip(SKIP_4) | instid1(SALU_CYCLE_1)
	v_add_max_i32_e64 v3, 0x80, v3, s13
	s_wait_kmcnt 0x0
	s_cmp_eq_u32 s2, 0
	s_cselect_b32 vcc_lo, -1, 0
	s_not_b32 s0, s12
	v_add3_u32 v3, s0, s15, v3
	s_delay_alu instid0(VALU_DEP_1) | instskip(NEXT) | instid1(VALU_DEP_1)
	v_sub_nc_u32_e32 v1, v3, v1
	v_cmp_gt_u32_e64 s17, 0xe80, v1
	v_cmpx_lt_u32_e32 0xe7f, v1
	s_cbranch_execz .LBB1_9
; %bb.4:
	v_and_b32_e32 v0, 0xfe, v0
	s_lshl_b32 s0, s12, 2
	v_and_b32_e32 v10, 0xffffff80, v1
	v_cmp_lt_i32_e64 s2, -1, v1
	s_delay_alu instid0(VALU_DEP_3) | instskip(SKIP_2) | instid1(VALU_DEP_2)
	v_add3_u32 v3, v16, s0, v0
	v_lshrrev_b32_e32 v0, 7, v1
	s_lshl_b32 s0, s15, 2
	v_or_b32_e32 v5, 1, v3
	v_subrev_nc_u32_e32 v3, s0, v3
	s_delay_alu instid0(VALU_DEP_3) | instskip(NEXT) | instid1(VALU_DEP_3)
	v_lshlrev_b32_e32 v7, 8, v0
	v_subrev_nc_u32_e32 v5, s0, v5
	s_delay_alu instid0(VALU_DEP_2) | instskip(NEXT) | instid1(VALU_DEP_1)
	v_add_nc_u32_e32 v9, v3, v7
	v_cmp_ge_i32_e64 s0, v9, v3
	s_delay_alu instid0(VALU_DEP_3) | instskip(NEXT) | instid1(VALU_DEP_1)
	v_dual_add_nc_u32 v3, v2, v10 :: v_dual_add_nc_u32 v7, v5, v7
	v_cmp_ge_i32_e64 s3, v3, v2
	s_delay_alu instid0(VALU_DEP_2) | instskip(SKIP_1) | instid1(SALU_CYCLE_1)
	v_cmp_ge_i32_e64 s1, v7, v5
	s_and_b32 s0, s1, s0
	s_and_b32 s1, s0, s2
	s_mov_b32 s0, -1
	s_and_b32 s2, s1, s3
	s_delay_alu instid0(SALU_CYCLE_1)
	s_and_saveexec_b32 s1, s2
	s_cbranch_execz .LBB1_8
; %bb.5:
	v_dual_add_nc_u32 v17, 1, v0 :: v_dual_mov_b32 v1, v6
	v_add_nc_u32_e32 v3, 0x80, v2
	v_dual_mov_b32 v5, v8 :: v_dual_bitop2_b32 v0, 1, v6 bitop3:0x54
	v_dual_mov_b32 v7, v4 :: v_dual_bitop2_b32 v10, 2, v4 bitop3:0x54
	s_delay_alu instid0(VALU_DEP_4) | instskip(NEXT) | instid1(VALU_DEP_4)
	v_and_b32_e32 v18, 0x3fffffe, v17
	v_mov_b64_e32 v[14:15], v[2:3]
	s_delay_alu instid0(VALU_DEP_3) | instskip(NEXT) | instid1(VALU_DEP_3)
	v_dual_mov_b32 v9, v0 :: v_dual_mov_b32 v11, v10
	v_dual_mov_b32 v13, 0 :: v_dual_mov_b32 v19, v18
	s_mov_b32 s2, s15
	s_mov_b32 s3, s16
	s_mov_b32 s20, s14
	s_mov_b32 s19, 0
.LBB1_6:                                ; =>This Inner Loop Header: Depth=1
	v_dual_lshlrev_b32 v3, 2, v15 :: v_dual_lshlrev_b32 v12, 2, v14
	s_clause 0x1
	global_load_b32 v28, v14, s[4:5] scale_offset
	global_load_b32 v29, v15, s[4:5] scale_offset
	v_dual_mov_b32 v21, v13 :: v_dual_mov_b32 v23, v13
	v_dual_add_nc_u32 v19, -2, v19 :: v_dual_bitop2_b32 v25, v12, v6 bitop3:0x54
	v_or_b32_e32 v27, v12, v0
	v_or_b32_e32 v30, v12, v10
	;; [unrolled: 1-line block ×4, first 2 shown]
	v_cmp_eq_u32_e64 s0, 0, v19
	s_delay_alu instid0(VALU_DEP_3) | instskip(SKIP_4) | instid1(VALU_DEP_1)
	v_cndmask_b32_e32 v12, v22, v25, vcc_lo
	v_or_b32_e32 v26, v3, v9
	v_or_b32_e32 v24, v3, v1
	;; [unrolled: 1-line block ×3, first 2 shown]
	s_or_b32 s19, s0, s19
	v_dual_cndmask_b32 v22, v3, v26, vcc_lo :: v_dual_cndmask_b32 v20, v20, v24, vcc_lo
	v_lshl_add_u64 v[24:25], v[12:13], 2, s[8:9]
	v_cndmask_b32_e32 v12, v30, v27, vcc_lo
	s_delay_alu instid0(VALU_DEP_3) | instskip(NEXT) | instid1(VALU_DEP_4)
	v_lshl_add_u64 v[22:23], v[22:23], 2, s[8:9]
	v_lshl_add_u64 v[20:21], v[20:21], 2, s[8:9]
	s_delay_alu instid0(VALU_DEP_3)
	v_lshl_add_u64 v[26:27], v[12:13], 2, s[8:9]
	s_clause 0x3
	global_load_b32 v3, v[24:25], off
	global_load_b32 v12, v[20:21], off
	;; [unrolled: 1-line block ×4, first 2 shown]
	s_wait_xcnt 0x2
	v_subrev_nc_u32_e32 v21, s16, v14
	v_subrev_nc_u32_e32 v20, s3, v15
	v_add_nc_u32_e32 v15, 0x100, v15
	v_add_nc_u32_e32 v14, 0x100, v14
	s_delay_alu instid0(VALU_DEP_4) | instskip(NEXT) | instid1(VALU_DEP_4)
	v_lshl_add_u32 v21, v21, 1, v8
	v_lshl_add_u32 v20, v20, 1, v5
	s_wait_xcnt 0x0
	s_delay_alu instid0(VALU_DEP_2) | instskip(NEXT) | instid1(VALU_DEP_2)
	v_or_b32_e32 v23, 1, v21
	v_or_b32_e32 v22, 1, v20
	s_wait_loadcnt 0x5
	v_subrev_nc_u32_e32 v25, s15, v28
	s_wait_loadcnt 0x4
	v_subrev_nc_u32_e32 v24, s2, v29
	s_delay_alu instid0(VALU_DEP_2) | instskip(NEXT) | instid1(VALU_DEP_2)
	v_lshl_add_u32 v25, v25, 1, s14
	v_lshl_add_u32 v24, v24, 1, s20
	s_delay_alu instid0(VALU_DEP_1)
	v_dual_add_nc_u32 v27, 1, v25 :: v_dual_add_nc_u32 v26, 1, v24
	global_store_b32 v21, v25, s[10:11] scale_offset
	s_wait_loadcnt 0x3
	global_store_b32 v21, v3, s[6:7] scale_offset
	global_store_b32 v20, v24, s[10:11] scale_offset
	s_wait_loadcnt 0x2
	global_store_b32 v20, v12, s[6:7] scale_offset
	;; [unrolled: 3-line block ×4, first 2 shown]
	s_wait_xcnt 0x0
	s_and_not1_b32 exec_lo, exec_lo, s19
	s_cbranch_execnz .LBB1_6
; %bb.7:
	s_or_b32 exec_lo, exec_lo, s19
	v_cmp_ne_u32_e64 s0, v17, v18
	v_lshl_add_u32 v2, v18, 7, v2
	s_or_not1_b32 s0, s0, exec_lo
.LBB1_8:
	s_or_b32 exec_lo, exec_lo, s1
	s_delay_alu instid0(SALU_CYCLE_1) | instskip(SKIP_1) | instid1(SALU_CYCLE_1)
	s_and_not1_b32 s1, s17, exec_lo
	s_and_b32 s0, s0, exec_lo
	s_or_b32 s17, s1, s0
.LBB1_9:
	s_or_b32 exec_lo, exec_lo, s18
	s_delay_alu instid0(SALU_CYCLE_1)
	s_and_b32 exec_lo, exec_lo, s17
	s_cbranch_execz .LBB1_12
; %bb.10:
	v_dual_add_nc_u32 v0, s12, v2 :: v_dual_lshlrev_b32 v1, 2, v2
	s_lshl_b32 s0, s15, 1
	s_mov_b32 s1, 0
	s_delay_alu instid0(VALU_DEP_1) | instskip(NEXT) | instid1(VALU_DEP_2)
	v_lshl_add_u32 v0, v0, 1, v16
	v_or_b32_e32 v3, v1, v6
	v_or_b32_e32 v4, v1, v4
	s_delay_alu instid0(VALU_DEP_3)
	v_subrev_nc_u32_e32 v0, s0, v0
.LBB1_11:                               ; =>This Inner Loop Header: Depth=1
	global_load_b32 v5, v2, s[4:5] scale_offset
	v_dual_add_nc_u32 v1, 1, v3 :: v_dual_add_nc_u32 v6, 2, v4
	v_cndmask_b32_e32 v8, v4, v3, vcc_lo
	s_wait_xcnt 0x0
	v_add_nc_u32_e32 v2, 0x80, v2
	v_add_nc_u32_e32 v3, 0x200, v3
	v_dual_cndmask_b32 v1, v6, v1 :: v_dual_add_nc_u32 v4, 0x200, v4
	s_clause 0x1
	global_load_b32 v6, v8, s[8:9] scale_offset
	global_load_b32 v7, v1, s[8:9] scale_offset
	s_wait_xcnt 0x0
	v_ashrrev_i32_e32 v1, 31, v0
	v_cmp_le_i32_e64 s0, s13, v2
	s_delay_alu instid0(VALU_DEP_2) | instskip(SKIP_2) | instid1(VALU_DEP_2)
	v_lshlrev_b64_e32 v[8:9], 2, v[0:1]
	v_add_nc_u32_e32 v0, 0x100, v0
	s_or_b32 s1, s0, s1
	v_add_nc_u64_e32 v[12:13], s[6:7], v[8:9]
	v_add_nc_u64_e32 v[8:9], s[10:11], v[8:9]
	s_wait_loadcnt 0x2
	v_subrev_nc_u32_e32 v1, s15, v5
	s_delay_alu instid0(VALU_DEP_1) | instskip(NEXT) | instid1(VALU_DEP_1)
	v_lshl_add_u32 v10, v1, 1, s14
	v_add_nc_u32_e32 v11, 1, v10
	s_wait_loadcnt 0x0
	global_store_b64 v[12:13], v[6:7], off
	global_store_b64 v[8:9], v[10:11], off
	s_wait_xcnt 0x0
	s_and_not1_b32 exec_lo, exec_lo, s1
	s_cbranch_execnz .LBB1_11
.LBB1_12:
	s_endpgm
	.section	.rodata,"a",@progbits
	.p2align	6, 0x0
	.amdhsa_kernel _ZN9rocsparseL32bsr2csr_block_per_row_2_7_kernelILj256ELj2EiiiEEv20rocsparse_direction_T3_S2_21rocsparse_index_base_PKT1_PKT2_PKS2_S2_S3_PS4_PS7_PS2_
		.amdhsa_group_segment_fixed_size 0
		.amdhsa_private_segment_fixed_size 0
		.amdhsa_kernarg_size 72
		.amdhsa_user_sgpr_count 2
		.amdhsa_user_sgpr_dispatch_ptr 0
		.amdhsa_user_sgpr_queue_ptr 0
		.amdhsa_user_sgpr_kernarg_segment_ptr 1
		.amdhsa_user_sgpr_dispatch_id 0
		.amdhsa_user_sgpr_kernarg_preload_length 0
		.amdhsa_user_sgpr_kernarg_preload_offset 0
		.amdhsa_user_sgpr_private_segment_size 0
		.amdhsa_wavefront_size32 1
		.amdhsa_uses_dynamic_stack 0
		.amdhsa_enable_private_segment 0
		.amdhsa_system_sgpr_workgroup_id_x 1
		.amdhsa_system_sgpr_workgroup_id_y 0
		.amdhsa_system_sgpr_workgroup_id_z 0
		.amdhsa_system_sgpr_workgroup_info 0
		.amdhsa_system_vgpr_workitem_id 0
		.amdhsa_next_free_vgpr 32
		.amdhsa_next_free_sgpr 21
		.amdhsa_named_barrier_count 0
		.amdhsa_reserve_vcc 1
		.amdhsa_float_round_mode_32 0
		.amdhsa_float_round_mode_16_64 0
		.amdhsa_float_denorm_mode_32 3
		.amdhsa_float_denorm_mode_16_64 3
		.amdhsa_fp16_overflow 0
		.amdhsa_memory_ordered 1
		.amdhsa_forward_progress 1
		.amdhsa_inst_pref_size 12
		.amdhsa_round_robin_scheduling 0
		.amdhsa_exception_fp_ieee_invalid_op 0
		.amdhsa_exception_fp_denorm_src 0
		.amdhsa_exception_fp_ieee_div_zero 0
		.amdhsa_exception_fp_ieee_overflow 0
		.amdhsa_exception_fp_ieee_underflow 0
		.amdhsa_exception_fp_ieee_inexact 0
		.amdhsa_exception_int_div_zero 0
	.end_amdhsa_kernel
	.section	.text._ZN9rocsparseL32bsr2csr_block_per_row_2_7_kernelILj256ELj2EiiiEEv20rocsparse_direction_T3_S2_21rocsparse_index_base_PKT1_PKT2_PKS2_S2_S3_PS4_PS7_PS2_,"axG",@progbits,_ZN9rocsparseL32bsr2csr_block_per_row_2_7_kernelILj256ELj2EiiiEEv20rocsparse_direction_T3_S2_21rocsparse_index_base_PKT1_PKT2_PKS2_S2_S3_PS4_PS7_PS2_,comdat
.Lfunc_end1:
	.size	_ZN9rocsparseL32bsr2csr_block_per_row_2_7_kernelILj256ELj2EiiiEEv20rocsparse_direction_T3_S2_21rocsparse_index_base_PKT1_PKT2_PKS2_S2_S3_PS4_PS7_PS2_, .Lfunc_end1-_ZN9rocsparseL32bsr2csr_block_per_row_2_7_kernelILj256ELj2EiiiEEv20rocsparse_direction_T3_S2_21rocsparse_index_base_PKT1_PKT2_PKS2_S2_S3_PS4_PS7_PS2_
                                        ; -- End function
	.set _ZN9rocsparseL32bsr2csr_block_per_row_2_7_kernelILj256ELj2EiiiEEv20rocsparse_direction_T3_S2_21rocsparse_index_base_PKT1_PKT2_PKS2_S2_S3_PS4_PS7_PS2_.num_vgpr, 32
	.set _ZN9rocsparseL32bsr2csr_block_per_row_2_7_kernelILj256ELj2EiiiEEv20rocsparse_direction_T3_S2_21rocsparse_index_base_PKT1_PKT2_PKS2_S2_S3_PS4_PS7_PS2_.num_agpr, 0
	.set _ZN9rocsparseL32bsr2csr_block_per_row_2_7_kernelILj256ELj2EiiiEEv20rocsparse_direction_T3_S2_21rocsparse_index_base_PKT1_PKT2_PKS2_S2_S3_PS4_PS7_PS2_.numbered_sgpr, 21
	.set _ZN9rocsparseL32bsr2csr_block_per_row_2_7_kernelILj256ELj2EiiiEEv20rocsparse_direction_T3_S2_21rocsparse_index_base_PKT1_PKT2_PKS2_S2_S3_PS4_PS7_PS2_.num_named_barrier, 0
	.set _ZN9rocsparseL32bsr2csr_block_per_row_2_7_kernelILj256ELj2EiiiEEv20rocsparse_direction_T3_S2_21rocsparse_index_base_PKT1_PKT2_PKS2_S2_S3_PS4_PS7_PS2_.private_seg_size, 0
	.set _ZN9rocsparseL32bsr2csr_block_per_row_2_7_kernelILj256ELj2EiiiEEv20rocsparse_direction_T3_S2_21rocsparse_index_base_PKT1_PKT2_PKS2_S2_S3_PS4_PS7_PS2_.uses_vcc, 1
	.set _ZN9rocsparseL32bsr2csr_block_per_row_2_7_kernelILj256ELj2EiiiEEv20rocsparse_direction_T3_S2_21rocsparse_index_base_PKT1_PKT2_PKS2_S2_S3_PS4_PS7_PS2_.uses_flat_scratch, 0
	.set _ZN9rocsparseL32bsr2csr_block_per_row_2_7_kernelILj256ELj2EiiiEEv20rocsparse_direction_T3_S2_21rocsparse_index_base_PKT1_PKT2_PKS2_S2_S3_PS4_PS7_PS2_.has_dyn_sized_stack, 0
	.set _ZN9rocsparseL32bsr2csr_block_per_row_2_7_kernelILj256ELj2EiiiEEv20rocsparse_direction_T3_S2_21rocsparse_index_base_PKT1_PKT2_PKS2_S2_S3_PS4_PS7_PS2_.has_recursion, 0
	.set _ZN9rocsparseL32bsr2csr_block_per_row_2_7_kernelILj256ELj2EiiiEEv20rocsparse_direction_T3_S2_21rocsparse_index_base_PKT1_PKT2_PKS2_S2_S3_PS4_PS7_PS2_.has_indirect_call, 0
	.section	.AMDGPU.csdata,"",@progbits
; Kernel info:
; codeLenInByte = 1420
; TotalNumSgprs: 23
; NumVgprs: 32
; ScratchSize: 0
; MemoryBound: 0
; FloatMode: 240
; IeeeMode: 1
; LDSByteSize: 0 bytes/workgroup (compile time only)
; SGPRBlocks: 0
; VGPRBlocks: 1
; NumSGPRsForWavesPerEU: 23
; NumVGPRsForWavesPerEU: 32
; NamedBarCnt: 0
; Occupancy: 16
; WaveLimiterHint : 0
; COMPUTE_PGM_RSRC2:SCRATCH_EN: 0
; COMPUTE_PGM_RSRC2:USER_SGPR: 2
; COMPUTE_PGM_RSRC2:TRAP_HANDLER: 0
; COMPUTE_PGM_RSRC2:TGID_X_EN: 1
; COMPUTE_PGM_RSRC2:TGID_Y_EN: 0
; COMPUTE_PGM_RSRC2:TGID_Z_EN: 0
; COMPUTE_PGM_RSRC2:TIDIG_COMP_CNT: 0
	.section	.text._ZN9rocsparseL32bsr2csr_block_per_row_2_7_kernelILj256ELj3EiiiEEv20rocsparse_direction_T3_S2_21rocsparse_index_base_PKT1_PKT2_PKS2_S2_S3_PS4_PS7_PS2_,"axG",@progbits,_ZN9rocsparseL32bsr2csr_block_per_row_2_7_kernelILj256ELj3EiiiEEv20rocsparse_direction_T3_S2_21rocsparse_index_base_PKT1_PKT2_PKS2_S2_S3_PS4_PS7_PS2_,comdat
	.globl	_ZN9rocsparseL32bsr2csr_block_per_row_2_7_kernelILj256ELj3EiiiEEv20rocsparse_direction_T3_S2_21rocsparse_index_base_PKT1_PKT2_PKS2_S2_S3_PS4_PS7_PS2_ ; -- Begin function _ZN9rocsparseL32bsr2csr_block_per_row_2_7_kernelILj256ELj3EiiiEEv20rocsparse_direction_T3_S2_21rocsparse_index_base_PKT1_PKT2_PKS2_S2_S3_PS4_PS7_PS2_
	.p2align	8
	.type	_ZN9rocsparseL32bsr2csr_block_per_row_2_7_kernelILj256ELj3EiiiEEv20rocsparse_direction_T3_S2_21rocsparse_index_base_PKT1_PKT2_PKS2_S2_S3_PS4_PS7_PS2_,@function
_ZN9rocsparseL32bsr2csr_block_per_row_2_7_kernelILj256ELj3EiiiEEv20rocsparse_direction_T3_S2_21rocsparse_index_base_PKT1_PKT2_PKS2_S2_S3_PS4_PS7_PS2_: ; @_ZN9rocsparseL32bsr2csr_block_per_row_2_7_kernelILj256ELj3EiiiEEv20rocsparse_direction_T3_S2_21rocsparse_index_base_PKT1_PKT2_PKS2_S2_S3_PS4_PS7_PS2_
; %bb.0:
	s_clause 0x1
	s_load_b32 s12, s[0:1], 0x2c
	s_load_b64 s[2:3], s[0:1], 0x38
	s_bfe_u32 s4, ttmp6, 0x4000c
	s_and_b32 s5, ttmp6, 15
	s_add_co_i32 s4, s4, 1
	s_getreg_b32 s6, hwreg(HW_REG_IB_STS2, 6, 4)
	s_mul_i32 s4, ttmp9, s4
	s_delay_alu instid0(SALU_CYCLE_1) | instskip(SKIP_4) | instid1(VALU_DEP_1)
	s_add_co_i32 s5, s5, s4
	s_cmp_eq_u32 s6, 0
	s_cselect_b32 s4, ttmp9, s5
	s_mov_b32 s5, exec_lo
	v_or_b32_e32 v1, s4, v0
	v_cmpx_eq_u32_e32 0, v1
	s_cbranch_execz .LBB2_2
; %bb.1:
	s_wait_kmcnt 0x0
	v_dual_mov_b32 v1, 0 :: v_dual_mov_b32 v2, s12
	global_store_b32 v1, v2, s[2:3]
.LBB2_2:
	s_wait_xcnt 0x0
	s_or_b32 exec_lo, exec_lo, s5
	v_and_b32_e32 v1, 3, v0
	s_mov_b32 s5, exec_lo
	s_delay_alu instid0(VALU_DEP_1)
	v_cmpx_ne_u32_e32 3, v1
	s_cbranch_execz .LBB2_6
; %bb.3:
	s_clause 0x1
	s_load_b64 s[6:7], s[0:1], 0x18
	s_load_b32 s13, s[0:1], 0xc
	s_ashr_i32 s5, s4, 31
	v_lshrrev_b32_e32 v0, 2, v0
	s_lshl_b64 s[8:9], s[4:5], 2
	s_mul_i32 s4, s4, 3
	s_delay_alu instid0(SALU_CYCLE_1)
	v_add3_u32 v5, v1, s4, 1
	s_wait_kmcnt 0x0
	s_add_nc_u64 s[6:7], s[6:7], s[8:9]
	s_load_b64 s[10:11], s[6:7], 0x0
	s_wait_kmcnt 0x0
	s_sub_co_i32 s5, s10, s13
	s_sub_co_i32 s11, s11, s13
	v_add_nc_u32_e32 v2, s5, v0
	s_sub_co_i32 s6, s11, s5
	s_mul_i32 s7, s5, 9
	s_mul_i32 s6, s6, 3
	s_delay_alu instid0(SALU_CYCLE_1) | instskip(SKIP_2) | instid1(VALU_DEP_2)
	v_mul_lo_u32 v3, s6, v1
	s_add_co_i32 s6, s6, s12
	v_cmp_gt_i32_e32 vcc_lo, s11, v2
	v_add3_u32 v4, s6, s7, v3
	global_store_b32 v5, v4, s[2:3] scale_offset
	s_wait_xcnt 0x0
	s_and_b32 exec_lo, exec_lo, vcc_lo
	s_cbranch_execz .LBB2_6
; %bb.4:
	s_clause 0x2
	s_load_b64 s[2:3], s[0:1], 0x20
	s_load_b64 s[4:5], s[0:1], 0x30
	s_load_b32 s14, s[0:1], 0x0
	v_add_nc_u32_e32 v4, s10, v0
	v_mul_u32_u24_e32 v5, 3, v1
	s_clause 0x1
	s_load_b64 s[6:7], s[0:1], 0x10
	s_load_b64 s[8:9], s[0:1], 0x40
	v_mul_u32_u24_e32 v0, 3, v0
	s_wait_xcnt 0x0
	s_mul_i32 s0, s10, 9
	s_mov_b32 s1, 0
	v_mad_u32 v4, v4, 9, v5
	s_mov_b32 s10, 0
	v_add3_u32 v0, v3, s0, v0
	v_mad_u32 v3, v2, 9, v1
	s_mul_i32 s0, s13, 9
	s_delay_alu instid0(VALU_DEP_2) | instid1(SALU_CYCLE_1)
	v_subrev_nc_u32_e32 v0, s0, v0
	s_delay_alu instid0(VALU_DEP_4)
	v_subrev_nc_u32_e32 v4, s0, v4
	s_wait_kmcnt 0x0
	s_cmp_eq_u32 s14, 0
	s_cselect_b32 vcc_lo, -1, 0
.LBB2_5:                                ; =>This Inner Loop Header: Depth=1
	global_load_b32 v1, v2, s[2:3] scale_offset
	v_dual_add_nc_u32 v5, s10, v4 :: v_dual_add_nc_u32 v6, s10, v3
	s_wait_xcnt 0x0
	v_add_nc_u32_e32 v2, 64, v2
	s_addk_co_i32 s10, 0x240
	s_delay_alu instid0(VALU_DEP_2) | instskip(SKIP_3) | instid1(VALU_DEP_3)
	v_dual_add_nc_u32 v7, 1, v5 :: v_dual_add_nc_u32 v8, 3, v6
	v_dual_add_nc_u32 v9, 2, v5 :: v_dual_add_nc_u32 v10, 6, v6
	v_cndmask_b32_e32 v5, v6, v5, vcc_lo
	v_cmp_le_i32_e64 s0, s11, v2
	v_dual_cndmask_b32 v11, v8, v7, vcc_lo :: v_dual_cndmask_b32 v9, v10, v9, vcc_lo
	s_clause 0x2
	global_load_b32 v6, v5, s[6:7] scale_offset
	global_load_b32 v7, v11, s[6:7] scale_offset
	;; [unrolled: 1-line block ×3, first 2 shown]
	s_or_b32 s1, s0, s1
	s_wait_loadcnt 0x3
	s_wait_xcnt 0x2
	v_subrev_nc_u32_e32 v5, s13, v1
	v_ashrrev_i32_e32 v1, 31, v0
	s_delay_alu instid0(VALU_DEP_2) | instskip(NEXT) | instid1(VALU_DEP_2)
	v_mad_u32 v10, v5, 3, s12
	v_lshlrev_b64_e32 v[12:13], 2, v[0:1]
	v_add_nc_u32_e32 v0, 0xc0, v0
	s_delay_alu instid0(VALU_DEP_2)
	v_add_nc_u64_e32 v[14:15], s[4:5], v[12:13]
	v_add_nc_u64_e32 v[16:17], s[8:9], v[12:13]
	s_wait_xcnt 0x1
	v_dual_add_nc_u32 v11, 1, v10 :: v_dual_add_nc_u32 v12, 2, v10
	s_wait_loadcnt 0x0
	global_store_b96 v[14:15], v[6:8], off
	global_store_b96 v[16:17], v[10:12], off
	s_wait_xcnt 0x0
	s_and_not1_b32 exec_lo, exec_lo, s1
	s_cbranch_execnz .LBB2_5
.LBB2_6:
	s_endpgm
	.section	.rodata,"a",@progbits
	.p2align	6, 0x0
	.amdhsa_kernel _ZN9rocsparseL32bsr2csr_block_per_row_2_7_kernelILj256ELj3EiiiEEv20rocsparse_direction_T3_S2_21rocsparse_index_base_PKT1_PKT2_PKS2_S2_S3_PS4_PS7_PS2_
		.amdhsa_group_segment_fixed_size 0
		.amdhsa_private_segment_fixed_size 0
		.amdhsa_kernarg_size 72
		.amdhsa_user_sgpr_count 2
		.amdhsa_user_sgpr_dispatch_ptr 0
		.amdhsa_user_sgpr_queue_ptr 0
		.amdhsa_user_sgpr_kernarg_segment_ptr 1
		.amdhsa_user_sgpr_dispatch_id 0
		.amdhsa_user_sgpr_kernarg_preload_length 0
		.amdhsa_user_sgpr_kernarg_preload_offset 0
		.amdhsa_user_sgpr_private_segment_size 0
		.amdhsa_wavefront_size32 1
		.amdhsa_uses_dynamic_stack 0
		.amdhsa_enable_private_segment 0
		.amdhsa_system_sgpr_workgroup_id_x 1
		.amdhsa_system_sgpr_workgroup_id_y 0
		.amdhsa_system_sgpr_workgroup_id_z 0
		.amdhsa_system_sgpr_workgroup_info 0
		.amdhsa_system_vgpr_workitem_id 0
		.amdhsa_next_free_vgpr 18
		.amdhsa_next_free_sgpr 15
		.amdhsa_named_barrier_count 0
		.amdhsa_reserve_vcc 1
		.amdhsa_float_round_mode_32 0
		.amdhsa_float_round_mode_16_64 0
		.amdhsa_float_denorm_mode_32 3
		.amdhsa_float_denorm_mode_16_64 3
		.amdhsa_fp16_overflow 0
		.amdhsa_memory_ordered 1
		.amdhsa_forward_progress 1
		.amdhsa_inst_pref_size 6
		.amdhsa_round_robin_scheduling 0
		.amdhsa_exception_fp_ieee_invalid_op 0
		.amdhsa_exception_fp_denorm_src 0
		.amdhsa_exception_fp_ieee_div_zero 0
		.amdhsa_exception_fp_ieee_overflow 0
		.amdhsa_exception_fp_ieee_underflow 0
		.amdhsa_exception_fp_ieee_inexact 0
		.amdhsa_exception_int_div_zero 0
	.end_amdhsa_kernel
	.section	.text._ZN9rocsparseL32bsr2csr_block_per_row_2_7_kernelILj256ELj3EiiiEEv20rocsparse_direction_T3_S2_21rocsparse_index_base_PKT1_PKT2_PKS2_S2_S3_PS4_PS7_PS2_,"axG",@progbits,_ZN9rocsparseL32bsr2csr_block_per_row_2_7_kernelILj256ELj3EiiiEEv20rocsparse_direction_T3_S2_21rocsparse_index_base_PKT1_PKT2_PKS2_S2_S3_PS4_PS7_PS2_,comdat
.Lfunc_end2:
	.size	_ZN9rocsparseL32bsr2csr_block_per_row_2_7_kernelILj256ELj3EiiiEEv20rocsparse_direction_T3_S2_21rocsparse_index_base_PKT1_PKT2_PKS2_S2_S3_PS4_PS7_PS2_, .Lfunc_end2-_ZN9rocsparseL32bsr2csr_block_per_row_2_7_kernelILj256ELj3EiiiEEv20rocsparse_direction_T3_S2_21rocsparse_index_base_PKT1_PKT2_PKS2_S2_S3_PS4_PS7_PS2_
                                        ; -- End function
	.set _ZN9rocsparseL32bsr2csr_block_per_row_2_7_kernelILj256ELj3EiiiEEv20rocsparse_direction_T3_S2_21rocsparse_index_base_PKT1_PKT2_PKS2_S2_S3_PS4_PS7_PS2_.num_vgpr, 18
	.set _ZN9rocsparseL32bsr2csr_block_per_row_2_7_kernelILj256ELj3EiiiEEv20rocsparse_direction_T3_S2_21rocsparse_index_base_PKT1_PKT2_PKS2_S2_S3_PS4_PS7_PS2_.num_agpr, 0
	.set _ZN9rocsparseL32bsr2csr_block_per_row_2_7_kernelILj256ELj3EiiiEEv20rocsparse_direction_T3_S2_21rocsparse_index_base_PKT1_PKT2_PKS2_S2_S3_PS4_PS7_PS2_.numbered_sgpr, 15
	.set _ZN9rocsparseL32bsr2csr_block_per_row_2_7_kernelILj256ELj3EiiiEEv20rocsparse_direction_T3_S2_21rocsparse_index_base_PKT1_PKT2_PKS2_S2_S3_PS4_PS7_PS2_.num_named_barrier, 0
	.set _ZN9rocsparseL32bsr2csr_block_per_row_2_7_kernelILj256ELj3EiiiEEv20rocsparse_direction_T3_S2_21rocsparse_index_base_PKT1_PKT2_PKS2_S2_S3_PS4_PS7_PS2_.private_seg_size, 0
	.set _ZN9rocsparseL32bsr2csr_block_per_row_2_7_kernelILj256ELj3EiiiEEv20rocsparse_direction_T3_S2_21rocsparse_index_base_PKT1_PKT2_PKS2_S2_S3_PS4_PS7_PS2_.uses_vcc, 1
	.set _ZN9rocsparseL32bsr2csr_block_per_row_2_7_kernelILj256ELj3EiiiEEv20rocsparse_direction_T3_S2_21rocsparse_index_base_PKT1_PKT2_PKS2_S2_S3_PS4_PS7_PS2_.uses_flat_scratch, 0
	.set _ZN9rocsparseL32bsr2csr_block_per_row_2_7_kernelILj256ELj3EiiiEEv20rocsparse_direction_T3_S2_21rocsparse_index_base_PKT1_PKT2_PKS2_S2_S3_PS4_PS7_PS2_.has_dyn_sized_stack, 0
	.set _ZN9rocsparseL32bsr2csr_block_per_row_2_7_kernelILj256ELj3EiiiEEv20rocsparse_direction_T3_S2_21rocsparse_index_base_PKT1_PKT2_PKS2_S2_S3_PS4_PS7_PS2_.has_recursion, 0
	.set _ZN9rocsparseL32bsr2csr_block_per_row_2_7_kernelILj256ELj3EiiiEEv20rocsparse_direction_T3_S2_21rocsparse_index_base_PKT1_PKT2_PKS2_S2_S3_PS4_PS7_PS2_.has_indirect_call, 0
	.section	.AMDGPU.csdata,"",@progbits
; Kernel info:
; codeLenInByte = 648
; TotalNumSgprs: 17
; NumVgprs: 18
; ScratchSize: 0
; MemoryBound: 0
; FloatMode: 240
; IeeeMode: 1
; LDSByteSize: 0 bytes/workgroup (compile time only)
; SGPRBlocks: 0
; VGPRBlocks: 1
; NumSGPRsForWavesPerEU: 17
; NumVGPRsForWavesPerEU: 18
; NamedBarCnt: 0
; Occupancy: 16
; WaveLimiterHint : 1
; COMPUTE_PGM_RSRC2:SCRATCH_EN: 0
; COMPUTE_PGM_RSRC2:USER_SGPR: 2
; COMPUTE_PGM_RSRC2:TRAP_HANDLER: 0
; COMPUTE_PGM_RSRC2:TGID_X_EN: 1
; COMPUTE_PGM_RSRC2:TGID_Y_EN: 0
; COMPUTE_PGM_RSRC2:TGID_Z_EN: 0
; COMPUTE_PGM_RSRC2:TIDIG_COMP_CNT: 0
	.section	.text._ZN9rocsparseL32bsr2csr_block_per_row_2_7_kernelILj256ELj4EiiiEEv20rocsparse_direction_T3_S2_21rocsparse_index_base_PKT1_PKT2_PKS2_S2_S3_PS4_PS7_PS2_,"axG",@progbits,_ZN9rocsparseL32bsr2csr_block_per_row_2_7_kernelILj256ELj4EiiiEEv20rocsparse_direction_T3_S2_21rocsparse_index_base_PKT1_PKT2_PKS2_S2_S3_PS4_PS7_PS2_,comdat
	.globl	_ZN9rocsparseL32bsr2csr_block_per_row_2_7_kernelILj256ELj4EiiiEEv20rocsparse_direction_T3_S2_21rocsparse_index_base_PKT1_PKT2_PKS2_S2_S3_PS4_PS7_PS2_ ; -- Begin function _ZN9rocsparseL32bsr2csr_block_per_row_2_7_kernelILj256ELj4EiiiEEv20rocsparse_direction_T3_S2_21rocsparse_index_base_PKT1_PKT2_PKS2_S2_S3_PS4_PS7_PS2_
	.p2align	8
	.type	_ZN9rocsparseL32bsr2csr_block_per_row_2_7_kernelILj256ELj4EiiiEEv20rocsparse_direction_T3_S2_21rocsparse_index_base_PKT1_PKT2_PKS2_S2_S3_PS4_PS7_PS2_,@function
_ZN9rocsparseL32bsr2csr_block_per_row_2_7_kernelILj256ELj4EiiiEEv20rocsparse_direction_T3_S2_21rocsparse_index_base_PKT1_PKT2_PKS2_S2_S3_PS4_PS7_PS2_: ; @_ZN9rocsparseL32bsr2csr_block_per_row_2_7_kernelILj256ELj4EiiiEEv20rocsparse_direction_T3_S2_21rocsparse_index_base_PKT1_PKT2_PKS2_S2_S3_PS4_PS7_PS2_
; %bb.0:
	s_load_b64 s[6:7], s[0:1], 0x18
	s_bfe_u32 s2, ttmp6, 0x4000c
	s_and_b32 s3, ttmp6, 15
	s_add_co_i32 s2, s2, 1
	s_getreg_b32 s4, hwreg(HW_REG_IB_STS2, 6, 4)
	s_mul_i32 s2, ttmp9, s2
	s_delay_alu instid0(SALU_CYCLE_1)
	s_add_co_i32 s3, s3, s2
	s_cmp_eq_u32 s4, 0
	s_cselect_b32 s4, ttmp9, s3
	s_clause 0x1
	s_load_b32 s14, s[0:1], 0x2c
	s_load_b64 s[2:3], s[0:1], 0x38
	s_ashr_i32 s5, s4, 31
	v_or_b32_e32 v1, s4, v0
	s_lshl_b64 s[8:9], s[4:5], 2
	s_mov_b32 s5, exec_lo
	s_wait_kmcnt 0x0
	s_add_nc_u64 s[6:7], s[6:7], s[8:9]
	s_load_b64 s[12:13], s[6:7], 0x0
	v_cmpx_eq_u32_e32 0, v1
	s_cbranch_execz .LBB3_2
; %bb.1:
	v_dual_mov_b32 v1, 0 :: v_dual_mov_b32 v2, s14
	global_store_b32 v1, v2, s[2:3]
.LBB3_2:
	s_wait_xcnt 0x0
	s_or_b32 exec_lo, exec_lo, s5
	s_load_b32 s15, s[0:1], 0xc
	v_dual_lshrrev_b32 v1, 2, v0 :: v_dual_bitop2_b32 v2, 3, v0 bitop3:0x40
	s_delay_alu instid0(VALU_DEP_1) | instskip(NEXT) | instid1(VALU_DEP_1)
	v_lshl_or_b32 v3, s4, 2, v2
	v_add_nc_u32_e32 v3, 1, v3
	s_wait_kmcnt 0x0
	s_sub_co_i32 s16, s12, s15
	s_sub_co_i32 s13, s13, s15
	v_add_nc_u32_e32 v4, s16, v1
	s_sub_co_i32 s5, s13, s16
	s_delay_alu instid0(SALU_CYCLE_1) | instskip(NEXT) | instid1(SALU_CYCLE_1)
	s_lshl_b32 s5, s5, 2
	v_mul_lo_u32 v9, s5, v2
	s_delay_alu instid0(VALU_DEP_1) | instskip(NEXT) | instid1(VALU_DEP_1)
	v_lshl_add_u32 v8, s16, 4, v9
	v_add3_u32 v5, s5, s14, v8
	global_store_b32 v3, v5, s[2:3] scale_offset
	s_wait_xcnt 0x0
	s_mov_b32 s2, exec_lo
	v_cmpx_gt_i32_e64 s13, v4
	s_cbranch_execz .LBB3_12
; %bb.3:
	s_clause 0x2
	s_load_b64 s[4:5], s[0:1], 0x20
	s_load_b64 s[6:7], s[0:1], 0x30
	s_load_b32 s2, s[0:1], 0x0
	v_dual_add_nc_u32 v3, s12, v1 :: v_dual_lshlrev_b32 v6, 2, v2
	s_clause 0x1
	s_load_b64 s[8:9], s[0:1], 0x10
	s_load_b64 s[10:11], s[0:1], 0x40
	s_mov_b32 s18, exec_lo
	v_subrev_nc_u32_e32 v3, s15, v3
	s_delay_alu instid0(VALU_DEP_1) | instskip(SKIP_4) | instid1(SALU_CYCLE_1)
	v_add_max_i32_e64 v3, v3, 64, s13
	s_wait_kmcnt 0x0
	s_cmp_eq_u32 s2, 0
	s_cselect_b32 vcc_lo, -1, 0
	s_not_b32 s0, s12
	v_add3_u32 v3, s0, s15, v3
	s_delay_alu instid0(VALU_DEP_1) | instskip(NEXT) | instid1(VALU_DEP_1)
	v_sub_nc_u32_e32 v1, v3, v1
	v_cmp_gt_u32_e64 s17, 0x840, v1
	v_cmpx_lt_u32_e32 0x83f, v1
	s_cbranch_execz .LBB3_9
; %bb.4:
	v_and_b32_e32 v0, 0xfc, v0
	s_lshl_b32 s0, s12, 4
	v_and_b32_e32 v14, 0xffffffc0, v1
	v_cmp_gt_u32_e64 s2, 2.0, v1
	s_delay_alu instid0(VALU_DEP_3) | instskip(SKIP_2) | instid1(VALU_DEP_2)
	v_add3_u32 v3, v9, s0, v0
	v_lshrrev_b32_e32 v0, 6, v1
	s_lshl_b32 s0, s15, 4
	v_dual_add_nc_u32 v1, v4, v14 :: v_dual_bitop2_b32 v5, 1, v3 bitop3:0x54
	s_delay_alu instid0(VALU_DEP_2) | instskip(SKIP_2) | instid1(VALU_DEP_4)
	v_dual_lshlrev_b32 v7, 8, v0 :: v_dual_bitop2_b32 v11, 2, v3 bitop3:0x54
	v_subrev_nc_u32_e32 v10, s0, v3
	v_or_b32_e32 v3, 3, v3
	v_subrev_nc_u32_e32 v5, s0, v5
	s_delay_alu instid0(VALU_DEP_4) | instskip(NEXT) | instid1(VALU_DEP_4)
	v_subrev_nc_u32_e32 v11, s0, v11
	v_add_nc_u32_e32 v12, v10, v7
	s_delay_alu instid0(VALU_DEP_4) | instskip(NEXT) | instid1(VALU_DEP_4)
	v_subrev_nc_u32_e32 v3, s0, v3
	v_add_nc_u32_e32 v13, v5, v7
	s_delay_alu instid0(VALU_DEP_3) | instskip(SKIP_1) | instid1(VALU_DEP_3)
	v_cmp_ge_i32_e64 s0, v12, v10
	v_add_nc_u32_e32 v10, v11, v7
	v_cmp_ge_i32_e64 s1, v13, v5
	v_add_nc_u32_e32 v5, v3, v7
	s_delay_alu instid0(VALU_DEP_3)
	v_cmp_ge_i32_e64 s3, v10, v11
	s_and_b32 s1, s1, s0
	v_cmp_ge_i32_e64 s0, v5, v3
	s_and_b32 s2, s1, s2
	;; [unrolled: 2-line block ×3, first 2 shown]
	s_delay_alu instid0(SALU_CYCLE_1) | instskip(NEXT) | instid1(SALU_CYCLE_1)
	s_and_b32 s0, s0, s2
	s_and_b32 s2, s0, s1
	s_mov_b32 s0, -1
	s_and_saveexec_b32 s1, s2
	s_cbranch_execz .LBB3_8
; %bb.5:
	v_dual_mov_b32 v1, v6 :: v_dual_add_nc_u32 v0, 1, v0
	v_dual_add_nc_u32 v5, 64, v4 :: v_dual_mov_b32 v3, v8
	v_dual_mov_b32 v7, v2 :: v_dual_mov_b32 v11, 0
	s_delay_alu instid0(VALU_DEP_3) | instskip(NEXT) | instid1(VALU_DEP_3)
	v_and_b32_e32 v14, 0x7fffffe, v0
	v_mov_b64_e32 v[12:13], v[4:5]
	s_mov_b32 s2, s15
	s_mov_b32 s3, s16
	;; [unrolled: 1-line block ×3, first 2 shown]
	v_mov_b32_e32 v15, v14
	s_mov_b32 s19, 0
.LBB3_6:                                ; =>This Inner Loop Header: Depth=1
	s_clause 0x1
	global_load_b32 v5, v12, s[4:5] scale_offset
	global_load_b32 v28, v13, s[4:5] scale_offset
	v_dual_lshlrev_b32 v10, 4, v13 :: v_dual_lshlrev_b32 v16, 4, v12
	v_dual_mov_b32 v17, v11 :: v_dual_mov_b32 v19, v11
	v_dual_mov_b32 v21, v11 :: v_dual_mov_b32 v23, v11
	s_delay_alu instid0(VALU_DEP_3) | instskip(NEXT) | instid1(VALU_DEP_4)
	v_or_b32_e32 v24, v16, v6
	v_dual_add_nc_u32 v15, -2, v15 :: v_dual_bitop2_b32 v22, v10, v1 bitop3:0x54
	s_delay_alu instid0(VALU_DEP_2) | instskip(SKIP_2) | instid1(VALU_DEP_4)
	v_or_b32_e32 v27, 1, v24
	v_or_b32_e32 v20, v16, v2
	;; [unrolled: 1-line block ×4, first 2 shown]
	v_cmp_eq_u32_e64 s0, 0, v15
	s_delay_alu instid0(VALU_DEP_3) | instskip(SKIP_2) | instid1(VALU_DEP_2)
	v_dual_cndmask_b32 v10, v20, v24, vcc_lo :: v_dual_cndmask_b32 v16, v18, v22, vcc_lo
	v_or_b32_e32 v36, 12, v18
	s_or_b32 s19, s0, s19
	v_lshl_add_u64 v[16:17], v[16:17], 2, s[8:9]
	s_wait_loadcnt 0x1
	v_subrev_nc_u32_e32 v5, s15, v5
	s_wait_loadcnt 0x0
	v_subrev_nc_u32_e32 v28, s2, v28
	s_delay_alu instid0(VALU_DEP_2)
	v_lshl_add_u32 v5, v5, 2, s14
	v_or_b32_e32 v32, 2, v24
	v_or_b32_e32 v29, 4, v18
	;; [unrolled: 1-line block ×4, first 2 shown]
	v_lshl_add_u32 v28, v28, 2, s20
	v_or_b32_e32 v33, 8, v18
	v_cndmask_b32_e32 v18, v29, v26, vcc_lo
	v_or_b32_e32 v31, 2, v22
	v_or_b32_e32 v22, 3, v22
	v_lshl_add_u64 v[24:25], v[10:11], 2, s[8:9]
	s_delay_alu instid0(VALU_DEP_2) | instskip(SKIP_3) | instid1(VALU_DEP_4)
	v_dual_cndmask_b32 v22, v36, v22, vcc_lo :: v_dual_cndmask_b32 v10, v30, v27, vcc_lo
	v_or_b32_e32 v34, 8, v20
	v_dual_cndmask_b32 v20, v33, v31, vcc_lo :: v_dual_bitop2_b32 v37, 12, v20 bitop3:0x54
	v_add_nc_u32_e32 v33, 1, v5
	v_lshl_add_u64 v[26:27], v[10:11], 2, s[8:9]
	s_delay_alu instid0(VALU_DEP_4)
	v_cndmask_b32_e32 v10, v34, v32, vcc_lo
	s_clause 0x1
	global_load_b32 v29, v[24:25], off
	global_load_b32 v30, v[16:17], off
	s_wait_xcnt 0x0
	v_lshl_add_u64 v[16:17], v[18:19], 2, s[8:9]
	v_lshl_add_u64 v[18:19], v[20:21], 2, s[8:9]
	;; [unrolled: 1-line block ×4, first 2 shown]
	v_cndmask_b32_e32 v10, v37, v35, vcc_lo
	s_clause 0x1
	global_load_b32 v24, v[26:27], off
	global_load_b32 v25, v[16:17], off
	v_dual_add_nc_u32 v32, 1, v28 :: v_dual_add_nc_u32 v34, 2, v28
	v_add_nc_u32_e32 v35, 2, v5
	s_wait_xcnt 0x0
	v_lshl_add_u64 v[16:17], v[10:11], 2, s[8:9]
	s_clause 0x3
	global_load_b32 v10, v[22:23], off
	global_load_b32 v26, v[18:19], off
	;; [unrolled: 1-line block ×4, first 2 shown]
	s_wait_xcnt 0x1
	v_subrev_nc_u32_e32 v17, s16, v12
	v_subrev_nc_u32_e32 v16, s3, v13
	v_add_nc_u32_e32 v13, 0x80, v13
	v_add_nc_u32_e32 v12, 0x80, v12
	;; [unrolled: 1-line block ×3, first 2 shown]
	v_lshl_add_u32 v17, v17, 2, v8
	v_lshl_add_u32 v16, v16, 2, v3
	v_add_nc_u32_e32 v37, 3, v5
	s_delay_alu instid0(VALU_DEP_3) | instskip(NEXT) | instid1(VALU_DEP_3)
	v_or_b32_e32 v19, 1, v17
	v_or_b32_e32 v18, 1, v16
	s_wait_xcnt 0x0
	v_or_b32_e32 v20, 2, v16
	v_or_b32_e32 v21, 2, v17
	v_or_b32_e32 v22, 3, v16
	v_or_b32_e32 v23, 3, v17
	global_store_b32 v17, v5, s[10:11] scale_offset
	s_wait_loadcnt 0x7
	global_store_b32 v17, v29, s[6:7] scale_offset
	global_store_b32 v16, v28, s[10:11] scale_offset
	s_wait_loadcnt 0x6
	global_store_b32 v16, v30, s[6:7] scale_offset
	;; [unrolled: 3-line block ×8, first 2 shown]
	s_wait_xcnt 0x0
	s_and_not1_b32 exec_lo, exec_lo, s19
	s_cbranch_execnz .LBB3_6
; %bb.7:
	s_or_b32 exec_lo, exec_lo, s19
	v_cmp_ne_u32_e64 s0, v0, v14
	v_lshl_add_u32 v4, v14, 6, v4
	s_or_not1_b32 s0, s0, exec_lo
.LBB3_8:
	s_or_b32 exec_lo, exec_lo, s1
	s_delay_alu instid0(SALU_CYCLE_1) | instskip(SKIP_1) | instid1(SALU_CYCLE_1)
	s_and_not1_b32 s1, s17, exec_lo
	s_and_b32 s0, s0, exec_lo
	s_or_b32 s17, s1, s0
.LBB3_9:
	s_or_b32 exec_lo, exec_lo, s18
	s_delay_alu instid0(SALU_CYCLE_1)
	s_and_b32 exec_lo, exec_lo, s17
	s_cbranch_execz .LBB3_12
; %bb.10:
	v_dual_lshlrev_b32 v0, 2, v4 :: v_dual_lshlrev_b32 v3, 4, v4
	s_mul_i32 s0, s12, 12
	s_mov_b32 s1, 0
	s_delay_alu instid0(VALU_DEP_1)
	v_add3_u32 v0, v9, s0, v0
	s_mul_i32 s0, s15, 12
	s_delay_alu instid0(VALU_DEP_1) | instid1(SALU_CYCLE_1)
	v_subrev_nc_u32_e32 v0, s0, v0
.LBB3_11:                               ; =>This Inner Loop Header: Depth=1
	global_load_b32 v7, v4, s[4:5] scale_offset
	v_add_nc_u32_e32 v5, v2, v3
	s_wait_xcnt 0x0
	v_dual_add_nc_u32 v1, v6, v3 :: v_dual_add_nc_u32 v4, 64, v4
	v_add_nc_u32_e32 v3, 0x400, v3
	s_delay_alu instid0(VALU_DEP_3) | instskip(NEXT) | instid1(VALU_DEP_3)
	v_add_nc_u32_e32 v9, 4, v5
	v_dual_add_nc_u32 v8, 1, v1 :: v_dual_add_nc_u32 v10, 2, v1
	v_add_nc_u32_e32 v12, 3, v1
	v_dual_add_nc_u32 v11, 8, v5 :: v_dual_add_nc_u32 v13, 12, v5
	v_cndmask_b32_e32 v1, v5, v1, vcc_lo
	s_delay_alu instid0(VALU_DEP_4) | instskip(SKIP_1) | instid1(VALU_DEP_4)
	v_cndmask_b32_e32 v5, v9, v8, vcc_lo
	v_cmp_le_i32_e64 s0, s13, v4
	v_dual_cndmask_b32 v14, v11, v10, vcc_lo :: v_dual_cndmask_b32 v12, v13, v12, vcc_lo
	s_clause 0x3
	global_load_b32 v8, v1, s[8:9] scale_offset
	global_load_b32 v9, v5, s[8:9] scale_offset
	;; [unrolled: 1-line block ×4, first 2 shown]
	s_wait_xcnt 0x3
	v_ashrrev_i32_e32 v1, 31, v0
	s_or_b32 s1, s0, s1
	s_wait_xcnt 0x1
	s_delay_alu instid0(VALU_DEP_1) | instskip(SKIP_1) | instid1(VALU_DEP_2)
	v_lshlrev_b64_e32 v[14:15], 2, v[0:1]
	v_add_nc_u32_e32 v0, 0x100, v0
	v_add_nc_u64_e32 v[16:17], s[10:11], v[14:15]
	v_add_nc_u64_e32 v[18:19], s[6:7], v[14:15]
	s_wait_loadcnt 0x4
	v_subrev_nc_u32_e32 v1, s15, v7
	s_wait_xcnt 0x0
	s_delay_alu instid0(VALU_DEP_1) | instskip(NEXT) | instid1(VALU_DEP_1)
	v_lshl_add_u32 v12, v1, 2, s14
	v_dual_add_nc_u32 v14, 2, v12 :: v_dual_add_nc_u32 v13, 1, v12
	v_add_nc_u32_e32 v15, 3, v12
	global_store_b128 v[16:17], v[12:15], off
	s_wait_loadcnt 0x0
	global_store_b128 v[18:19], v[8:11], off
	s_wait_xcnt 0x0
	s_and_not1_b32 exec_lo, exec_lo, s1
	s_cbranch_execnz .LBB3_11
.LBB3_12:
	s_endpgm
	.section	.rodata,"a",@progbits
	.p2align	6, 0x0
	.amdhsa_kernel _ZN9rocsparseL32bsr2csr_block_per_row_2_7_kernelILj256ELj4EiiiEEv20rocsparse_direction_T3_S2_21rocsparse_index_base_PKT1_PKT2_PKS2_S2_S3_PS4_PS7_PS2_
		.amdhsa_group_segment_fixed_size 0
		.amdhsa_private_segment_fixed_size 0
		.amdhsa_kernarg_size 72
		.amdhsa_user_sgpr_count 2
		.amdhsa_user_sgpr_dispatch_ptr 0
		.amdhsa_user_sgpr_queue_ptr 0
		.amdhsa_user_sgpr_kernarg_segment_ptr 1
		.amdhsa_user_sgpr_dispatch_id 0
		.amdhsa_user_sgpr_kernarg_preload_length 0
		.amdhsa_user_sgpr_kernarg_preload_offset 0
		.amdhsa_user_sgpr_private_segment_size 0
		.amdhsa_wavefront_size32 1
		.amdhsa_uses_dynamic_stack 0
		.amdhsa_enable_private_segment 0
		.amdhsa_system_sgpr_workgroup_id_x 1
		.amdhsa_system_sgpr_workgroup_id_y 0
		.amdhsa_system_sgpr_workgroup_id_z 0
		.amdhsa_system_sgpr_workgroup_info 0
		.amdhsa_system_vgpr_workitem_id 0
		.amdhsa_next_free_vgpr 38
		.amdhsa_next_free_sgpr 21
		.amdhsa_named_barrier_count 0
		.amdhsa_reserve_vcc 1
		.amdhsa_float_round_mode_32 0
		.amdhsa_float_round_mode_16_64 0
		.amdhsa_float_denorm_mode_32 3
		.amdhsa_float_denorm_mode_16_64 3
		.amdhsa_fp16_overflow 0
		.amdhsa_memory_ordered 1
		.amdhsa_forward_progress 1
		.amdhsa_inst_pref_size 15
		.amdhsa_round_robin_scheduling 0
		.amdhsa_exception_fp_ieee_invalid_op 0
		.amdhsa_exception_fp_denorm_src 0
		.amdhsa_exception_fp_ieee_div_zero 0
		.amdhsa_exception_fp_ieee_overflow 0
		.amdhsa_exception_fp_ieee_underflow 0
		.amdhsa_exception_fp_ieee_inexact 0
		.amdhsa_exception_int_div_zero 0
	.end_amdhsa_kernel
	.section	.text._ZN9rocsparseL32bsr2csr_block_per_row_2_7_kernelILj256ELj4EiiiEEv20rocsparse_direction_T3_S2_21rocsparse_index_base_PKT1_PKT2_PKS2_S2_S3_PS4_PS7_PS2_,"axG",@progbits,_ZN9rocsparseL32bsr2csr_block_per_row_2_7_kernelILj256ELj4EiiiEEv20rocsparse_direction_T3_S2_21rocsparse_index_base_PKT1_PKT2_PKS2_S2_S3_PS4_PS7_PS2_,comdat
.Lfunc_end3:
	.size	_ZN9rocsparseL32bsr2csr_block_per_row_2_7_kernelILj256ELj4EiiiEEv20rocsparse_direction_T3_S2_21rocsparse_index_base_PKT1_PKT2_PKS2_S2_S3_PS4_PS7_PS2_, .Lfunc_end3-_ZN9rocsparseL32bsr2csr_block_per_row_2_7_kernelILj256ELj4EiiiEEv20rocsparse_direction_T3_S2_21rocsparse_index_base_PKT1_PKT2_PKS2_S2_S3_PS4_PS7_PS2_
                                        ; -- End function
	.set _ZN9rocsparseL32bsr2csr_block_per_row_2_7_kernelILj256ELj4EiiiEEv20rocsparse_direction_T3_S2_21rocsparse_index_base_PKT1_PKT2_PKS2_S2_S3_PS4_PS7_PS2_.num_vgpr, 38
	.set _ZN9rocsparseL32bsr2csr_block_per_row_2_7_kernelILj256ELj4EiiiEEv20rocsparse_direction_T3_S2_21rocsparse_index_base_PKT1_PKT2_PKS2_S2_S3_PS4_PS7_PS2_.num_agpr, 0
	.set _ZN9rocsparseL32bsr2csr_block_per_row_2_7_kernelILj256ELj4EiiiEEv20rocsparse_direction_T3_S2_21rocsparse_index_base_PKT1_PKT2_PKS2_S2_S3_PS4_PS7_PS2_.numbered_sgpr, 21
	.set _ZN9rocsparseL32bsr2csr_block_per_row_2_7_kernelILj256ELj4EiiiEEv20rocsparse_direction_T3_S2_21rocsparse_index_base_PKT1_PKT2_PKS2_S2_S3_PS4_PS7_PS2_.num_named_barrier, 0
	.set _ZN9rocsparseL32bsr2csr_block_per_row_2_7_kernelILj256ELj4EiiiEEv20rocsparse_direction_T3_S2_21rocsparse_index_base_PKT1_PKT2_PKS2_S2_S3_PS4_PS7_PS2_.private_seg_size, 0
	.set _ZN9rocsparseL32bsr2csr_block_per_row_2_7_kernelILj256ELj4EiiiEEv20rocsparse_direction_T3_S2_21rocsparse_index_base_PKT1_PKT2_PKS2_S2_S3_PS4_PS7_PS2_.uses_vcc, 1
	.set _ZN9rocsparseL32bsr2csr_block_per_row_2_7_kernelILj256ELj4EiiiEEv20rocsparse_direction_T3_S2_21rocsparse_index_base_PKT1_PKT2_PKS2_S2_S3_PS4_PS7_PS2_.uses_flat_scratch, 0
	.set _ZN9rocsparseL32bsr2csr_block_per_row_2_7_kernelILj256ELj4EiiiEEv20rocsparse_direction_T3_S2_21rocsparse_index_base_PKT1_PKT2_PKS2_S2_S3_PS4_PS7_PS2_.has_dyn_sized_stack, 0
	.set _ZN9rocsparseL32bsr2csr_block_per_row_2_7_kernelILj256ELj4EiiiEEv20rocsparse_direction_T3_S2_21rocsparse_index_base_PKT1_PKT2_PKS2_S2_S3_PS4_PS7_PS2_.has_recursion, 0
	.set _ZN9rocsparseL32bsr2csr_block_per_row_2_7_kernelILj256ELj4EiiiEEv20rocsparse_direction_T3_S2_21rocsparse_index_base_PKT1_PKT2_PKS2_S2_S3_PS4_PS7_PS2_.has_indirect_call, 0
	.section	.AMDGPU.csdata,"",@progbits
; Kernel info:
; codeLenInByte = 1824
; TotalNumSgprs: 23
; NumVgprs: 38
; ScratchSize: 0
; MemoryBound: 0
; FloatMode: 240
; IeeeMode: 1
; LDSByteSize: 0 bytes/workgroup (compile time only)
; SGPRBlocks: 0
; VGPRBlocks: 2
; NumSGPRsForWavesPerEU: 23
; NumVGPRsForWavesPerEU: 38
; NamedBarCnt: 0
; Occupancy: 16
; WaveLimiterHint : 0
; COMPUTE_PGM_RSRC2:SCRATCH_EN: 0
; COMPUTE_PGM_RSRC2:USER_SGPR: 2
; COMPUTE_PGM_RSRC2:TRAP_HANDLER: 0
; COMPUTE_PGM_RSRC2:TGID_X_EN: 1
; COMPUTE_PGM_RSRC2:TGID_Y_EN: 0
; COMPUTE_PGM_RSRC2:TGID_Z_EN: 0
; COMPUTE_PGM_RSRC2:TIDIG_COMP_CNT: 0
	.section	.text._ZN9rocsparseL32bsr2csr_block_per_row_2_7_kernelILj256ELj5EiiiEEv20rocsparse_direction_T3_S2_21rocsparse_index_base_PKT1_PKT2_PKS2_S2_S3_PS4_PS7_PS2_,"axG",@progbits,_ZN9rocsparseL32bsr2csr_block_per_row_2_7_kernelILj256ELj5EiiiEEv20rocsparse_direction_T3_S2_21rocsparse_index_base_PKT1_PKT2_PKS2_S2_S3_PS4_PS7_PS2_,comdat
	.globl	_ZN9rocsparseL32bsr2csr_block_per_row_2_7_kernelILj256ELj5EiiiEEv20rocsparse_direction_T3_S2_21rocsparse_index_base_PKT1_PKT2_PKS2_S2_S3_PS4_PS7_PS2_ ; -- Begin function _ZN9rocsparseL32bsr2csr_block_per_row_2_7_kernelILj256ELj5EiiiEEv20rocsparse_direction_T3_S2_21rocsparse_index_base_PKT1_PKT2_PKS2_S2_S3_PS4_PS7_PS2_
	.p2align	8
	.type	_ZN9rocsparseL32bsr2csr_block_per_row_2_7_kernelILj256ELj5EiiiEEv20rocsparse_direction_T3_S2_21rocsparse_index_base_PKT1_PKT2_PKS2_S2_S3_PS4_PS7_PS2_,@function
_ZN9rocsparseL32bsr2csr_block_per_row_2_7_kernelILj256ELj5EiiiEEv20rocsparse_direction_T3_S2_21rocsparse_index_base_PKT1_PKT2_PKS2_S2_S3_PS4_PS7_PS2_: ; @_ZN9rocsparseL32bsr2csr_block_per_row_2_7_kernelILj256ELj5EiiiEEv20rocsparse_direction_T3_S2_21rocsparse_index_base_PKT1_PKT2_PKS2_S2_S3_PS4_PS7_PS2_
; %bb.0:
	s_clause 0x1
	s_load_b32 s12, s[0:1], 0x2c
	s_load_b64 s[2:3], s[0:1], 0x38
	s_bfe_u32 s4, ttmp6, 0x4000c
	s_and_b32 s5, ttmp6, 15
	s_add_co_i32 s4, s4, 1
	s_getreg_b32 s6, hwreg(HW_REG_IB_STS2, 6, 4)
	s_mul_i32 s4, ttmp9, s4
	s_delay_alu instid0(SALU_CYCLE_1) | instskip(SKIP_4) | instid1(VALU_DEP_1)
	s_add_co_i32 s5, s5, s4
	s_cmp_eq_u32 s6, 0
	s_cselect_b32 s4, ttmp9, s5
	s_mov_b32 s5, exec_lo
	v_or_b32_e32 v1, s4, v0
	v_cmpx_eq_u32_e32 0, v1
	s_cbranch_execz .LBB4_2
; %bb.1:
	s_wait_kmcnt 0x0
	v_dual_mov_b32 v1, 0 :: v_dual_mov_b32 v2, s12
	global_store_b32 v1, v2, s[2:3]
.LBB4_2:
	s_wait_xcnt 0x0
	s_or_b32 exec_lo, exec_lo, s5
	v_and_b32_e32 v1, 7, v0
	s_mov_b32 s5, exec_lo
	s_delay_alu instid0(VALU_DEP_1)
	v_cmpx_gt_u32_e32 5, v1
	s_cbranch_execz .LBB4_6
; %bb.3:
	s_clause 0x1
	s_load_b64 s[6:7], s[0:1], 0x18
	s_load_b32 s13, s[0:1], 0xc
	s_ashr_i32 s5, s4, 31
	v_lshrrev_b32_e32 v0, 3, v0
	s_lshl_b64 s[8:9], s[4:5], 2
	s_mul_i32 s4, s4, 5
	s_delay_alu instid0(SALU_CYCLE_1)
	v_add3_u32 v5, v1, s4, 1
	s_wait_kmcnt 0x0
	s_add_nc_u64 s[6:7], s[6:7], s[8:9]
	s_load_b64 s[10:11], s[6:7], 0x0
	s_wait_kmcnt 0x0
	s_sub_co_i32 s5, s10, s13
	s_sub_co_i32 s11, s11, s13
	v_add_nc_u32_e32 v2, s5, v0
	s_sub_co_i32 s6, s11, s5
	s_mul_i32 s7, s5, 25
	s_mul_i32 s6, s6, 5
	s_delay_alu instid0(SALU_CYCLE_1) | instskip(SKIP_2) | instid1(VALU_DEP_2)
	v_mul_lo_u32 v3, s6, v1
	s_add_co_i32 s6, s6, s12
	v_cmp_gt_i32_e32 vcc_lo, s11, v2
	v_add3_u32 v4, s6, s7, v3
	global_store_b32 v5, v4, s[2:3] scale_offset
	s_wait_xcnt 0x0
	s_and_b32 exec_lo, exec_lo, vcc_lo
	s_cbranch_execz .LBB4_6
; %bb.4:
	s_clause 0x2
	s_load_b64 s[2:3], s[0:1], 0x20
	s_load_b64 s[4:5], s[0:1], 0x30
	s_load_b32 s14, s[0:1], 0x0
	v_add_nc_u32_e32 v4, s10, v0
	v_mul_u32_u24_e32 v5, 5, v1
	s_clause 0x1
	s_load_b64 s[6:7], s[0:1], 0x10
	s_load_b64 s[8:9], s[0:1], 0x40
	v_mul_u32_u24_e32 v0, 5, v0
	s_wait_xcnt 0x0
	s_mul_i32 s0, s10, 25
	s_mov_b32 s1, 0
	v_mad_u32 v4, v4, 25, v5
	s_mov_b32 s10, 0
	v_add3_u32 v0, v3, s0, v0
	v_mad_u32 v3, v2, 25, v1
	s_mul_i32 s0, s13, 25
	s_delay_alu instid0(VALU_DEP_2) | instid1(SALU_CYCLE_1)
	v_subrev_nc_u32_e32 v0, s0, v0
	s_delay_alu instid0(VALU_DEP_4)
	v_subrev_nc_u32_e32 v4, s0, v4
	s_wait_kmcnt 0x0
	s_cmp_eq_u32 s14, 0
	s_cselect_b32 vcc_lo, -1, 0
.LBB4_5:                                ; =>This Inner Loop Header: Depth=1
	global_load_b32 v5, v2, s[2:3] scale_offset
	v_dual_add_nc_u32 v1, s10, v4 :: v_dual_add_nc_u32 v6, s10, v3
	s_wait_xcnt 0x0
	v_add_nc_u32_e32 v2, 32, v2
	s_addk_co_i32 s10, 0x320
	s_delay_alu instid0(VALU_DEP_2) | instskip(SKIP_3) | instid1(VALU_DEP_3)
	v_dual_add_nc_u32 v9, 2, v1 :: v_dual_add_nc_u32 v10, 4, v1
	v_dual_add_nc_u32 v11, 20, v6 :: v_dual_add_nc_u32 v12, 10, v6
	;; [unrolled: 1-line block ×4, first 2 shown]
	v_dual_cndmask_b32 v1, v6, v1 :: v_dual_cndmask_b32 v10, v11, v10
	s_delay_alu instid0(VALU_DEP_3) | instskip(SKIP_1) | instid1(VALU_DEP_4)
	v_cndmask_b32_e32 v11, v8, v7, vcc_lo
	v_cndmask_b32_e32 v12, v12, v9, vcc_lo
	;; [unrolled: 1-line block ×3, first 2 shown]
	s_clause 0x4
	global_load_b32 v6, v1, s[6:7] scale_offset
	global_load_b32 v18, v10, s[6:7] scale_offset
	;; [unrolled: 1-line block ×5, first 2 shown]
	s_wait_xcnt 0x4
	v_ashrrev_i32_e32 v1, 31, v0
	v_cmp_le_i32_e64 s0, s11, v2
	s_delay_alu instid0(VALU_DEP_2) | instskip(SKIP_1) | instid1(VALU_DEP_1)
	v_lshlrev_b64_e32 v[14:15], 2, v[0:1]
	s_or_b32 s1, s0, s1
	v_add_nc_u64_e32 v[16:17], s[8:9], v[14:15]
	v_add_nc_u64_e32 v[14:15], s[4:5], v[14:15]
	s_wait_loadcnt 0x5
	v_subrev_nc_u32_e32 v1, s13, v5
	s_wait_xcnt 0x3
	s_delay_alu instid0(VALU_DEP_1) | instskip(SKIP_1) | instid1(VALU_DEP_1)
	v_mad_u32 v10, v1, 5, s12
	s_wait_xcnt 0x1
	v_dual_add_nc_u32 v11, 1, v10 :: v_dual_add_nc_u32 v12, 2, v10
	s_wait_xcnt 0x0
	v_dual_add_nc_u32 v13, 3, v10 :: v_dual_add_nc_u32 v1, 4, v10
	s_clause 0x1
	global_store_b128 v[16:17], v[10:13], off
	global_store_b32 v0, v1, s[8:9] offset:16 scale_offset
	s_wait_loadcnt 0x3
	global_store_b32 v0, v18, s[4:5] offset:16 scale_offset
	s_wait_xcnt 0x0
	v_add_nc_u32_e32 v0, 0xa0, v0
	s_wait_loadcnt 0x0
	global_store_b128 v[14:15], v[6:9], off
	s_wait_xcnt 0x0
	s_and_not1_b32 exec_lo, exec_lo, s1
	s_cbranch_execnz .LBB4_5
.LBB4_6:
	s_endpgm
	.section	.rodata,"a",@progbits
	.p2align	6, 0x0
	.amdhsa_kernel _ZN9rocsparseL32bsr2csr_block_per_row_2_7_kernelILj256ELj5EiiiEEv20rocsparse_direction_T3_S2_21rocsparse_index_base_PKT1_PKT2_PKS2_S2_S3_PS4_PS7_PS2_
		.amdhsa_group_segment_fixed_size 0
		.amdhsa_private_segment_fixed_size 0
		.amdhsa_kernarg_size 72
		.amdhsa_user_sgpr_count 2
		.amdhsa_user_sgpr_dispatch_ptr 0
		.amdhsa_user_sgpr_queue_ptr 0
		.amdhsa_user_sgpr_kernarg_segment_ptr 1
		.amdhsa_user_sgpr_dispatch_id 0
		.amdhsa_user_sgpr_kernarg_preload_length 0
		.amdhsa_user_sgpr_kernarg_preload_offset 0
		.amdhsa_user_sgpr_private_segment_size 0
		.amdhsa_wavefront_size32 1
		.amdhsa_uses_dynamic_stack 0
		.amdhsa_enable_private_segment 0
		.amdhsa_system_sgpr_workgroup_id_x 1
		.amdhsa_system_sgpr_workgroup_id_y 0
		.amdhsa_system_sgpr_workgroup_id_z 0
		.amdhsa_system_sgpr_workgroup_info 0
		.amdhsa_system_vgpr_workitem_id 0
		.amdhsa_next_free_vgpr 19
		.amdhsa_next_free_sgpr 15
		.amdhsa_named_barrier_count 0
		.amdhsa_reserve_vcc 1
		.amdhsa_float_round_mode_32 0
		.amdhsa_float_round_mode_16_64 0
		.amdhsa_float_denorm_mode_32 3
		.amdhsa_float_denorm_mode_16_64 3
		.amdhsa_fp16_overflow 0
		.amdhsa_memory_ordered 1
		.amdhsa_forward_progress 1
		.amdhsa_inst_pref_size 6
		.amdhsa_round_robin_scheduling 0
		.amdhsa_exception_fp_ieee_invalid_op 0
		.amdhsa_exception_fp_denorm_src 0
		.amdhsa_exception_fp_ieee_div_zero 0
		.amdhsa_exception_fp_ieee_overflow 0
		.amdhsa_exception_fp_ieee_underflow 0
		.amdhsa_exception_fp_ieee_inexact 0
		.amdhsa_exception_int_div_zero 0
	.end_amdhsa_kernel
	.section	.text._ZN9rocsparseL32bsr2csr_block_per_row_2_7_kernelILj256ELj5EiiiEEv20rocsparse_direction_T3_S2_21rocsparse_index_base_PKT1_PKT2_PKS2_S2_S3_PS4_PS7_PS2_,"axG",@progbits,_ZN9rocsparseL32bsr2csr_block_per_row_2_7_kernelILj256ELj5EiiiEEv20rocsparse_direction_T3_S2_21rocsparse_index_base_PKT1_PKT2_PKS2_S2_S3_PS4_PS7_PS2_,comdat
.Lfunc_end4:
	.size	_ZN9rocsparseL32bsr2csr_block_per_row_2_7_kernelILj256ELj5EiiiEEv20rocsparse_direction_T3_S2_21rocsparse_index_base_PKT1_PKT2_PKS2_S2_S3_PS4_PS7_PS2_, .Lfunc_end4-_ZN9rocsparseL32bsr2csr_block_per_row_2_7_kernelILj256ELj5EiiiEEv20rocsparse_direction_T3_S2_21rocsparse_index_base_PKT1_PKT2_PKS2_S2_S3_PS4_PS7_PS2_
                                        ; -- End function
	.set _ZN9rocsparseL32bsr2csr_block_per_row_2_7_kernelILj256ELj5EiiiEEv20rocsparse_direction_T3_S2_21rocsparse_index_base_PKT1_PKT2_PKS2_S2_S3_PS4_PS7_PS2_.num_vgpr, 19
	.set _ZN9rocsparseL32bsr2csr_block_per_row_2_7_kernelILj256ELj5EiiiEEv20rocsparse_direction_T3_S2_21rocsparse_index_base_PKT1_PKT2_PKS2_S2_S3_PS4_PS7_PS2_.num_agpr, 0
	.set _ZN9rocsparseL32bsr2csr_block_per_row_2_7_kernelILj256ELj5EiiiEEv20rocsparse_direction_T3_S2_21rocsparse_index_base_PKT1_PKT2_PKS2_S2_S3_PS4_PS7_PS2_.numbered_sgpr, 15
	.set _ZN9rocsparseL32bsr2csr_block_per_row_2_7_kernelILj256ELj5EiiiEEv20rocsparse_direction_T3_S2_21rocsparse_index_base_PKT1_PKT2_PKS2_S2_S3_PS4_PS7_PS2_.num_named_barrier, 0
	.set _ZN9rocsparseL32bsr2csr_block_per_row_2_7_kernelILj256ELj5EiiiEEv20rocsparse_direction_T3_S2_21rocsparse_index_base_PKT1_PKT2_PKS2_S2_S3_PS4_PS7_PS2_.private_seg_size, 0
	.set _ZN9rocsparseL32bsr2csr_block_per_row_2_7_kernelILj256ELj5EiiiEEv20rocsparse_direction_T3_S2_21rocsparse_index_base_PKT1_PKT2_PKS2_S2_S3_PS4_PS7_PS2_.uses_vcc, 1
	.set _ZN9rocsparseL32bsr2csr_block_per_row_2_7_kernelILj256ELj5EiiiEEv20rocsparse_direction_T3_S2_21rocsparse_index_base_PKT1_PKT2_PKS2_S2_S3_PS4_PS7_PS2_.uses_flat_scratch, 0
	.set _ZN9rocsparseL32bsr2csr_block_per_row_2_7_kernelILj256ELj5EiiiEEv20rocsparse_direction_T3_S2_21rocsparse_index_base_PKT1_PKT2_PKS2_S2_S3_PS4_PS7_PS2_.has_dyn_sized_stack, 0
	.set _ZN9rocsparseL32bsr2csr_block_per_row_2_7_kernelILj256ELj5EiiiEEv20rocsparse_direction_T3_S2_21rocsparse_index_base_PKT1_PKT2_PKS2_S2_S3_PS4_PS7_PS2_.has_recursion, 0
	.set _ZN9rocsparseL32bsr2csr_block_per_row_2_7_kernelILj256ELj5EiiiEEv20rocsparse_direction_T3_S2_21rocsparse_index_base_PKT1_PKT2_PKS2_S2_S3_PS4_PS7_PS2_.has_indirect_call, 0
	.section	.AMDGPU.csdata,"",@progbits
; Kernel info:
; codeLenInByte = 760
; TotalNumSgprs: 17
; NumVgprs: 19
; ScratchSize: 0
; MemoryBound: 0
; FloatMode: 240
; IeeeMode: 1
; LDSByteSize: 0 bytes/workgroup (compile time only)
; SGPRBlocks: 0
; VGPRBlocks: 1
; NumSGPRsForWavesPerEU: 17
; NumVGPRsForWavesPerEU: 19
; NamedBarCnt: 0
; Occupancy: 16
; WaveLimiterHint : 1
; COMPUTE_PGM_RSRC2:SCRATCH_EN: 0
; COMPUTE_PGM_RSRC2:USER_SGPR: 2
; COMPUTE_PGM_RSRC2:TRAP_HANDLER: 0
; COMPUTE_PGM_RSRC2:TGID_X_EN: 1
; COMPUTE_PGM_RSRC2:TGID_Y_EN: 0
; COMPUTE_PGM_RSRC2:TGID_Z_EN: 0
; COMPUTE_PGM_RSRC2:TIDIG_COMP_CNT: 0
	.section	.text._ZN9rocsparseL32bsr2csr_block_per_row_2_7_kernelILj256ELj6EiiiEEv20rocsparse_direction_T3_S2_21rocsparse_index_base_PKT1_PKT2_PKS2_S2_S3_PS4_PS7_PS2_,"axG",@progbits,_ZN9rocsparseL32bsr2csr_block_per_row_2_7_kernelILj256ELj6EiiiEEv20rocsparse_direction_T3_S2_21rocsparse_index_base_PKT1_PKT2_PKS2_S2_S3_PS4_PS7_PS2_,comdat
	.globl	_ZN9rocsparseL32bsr2csr_block_per_row_2_7_kernelILj256ELj6EiiiEEv20rocsparse_direction_T3_S2_21rocsparse_index_base_PKT1_PKT2_PKS2_S2_S3_PS4_PS7_PS2_ ; -- Begin function _ZN9rocsparseL32bsr2csr_block_per_row_2_7_kernelILj256ELj6EiiiEEv20rocsparse_direction_T3_S2_21rocsparse_index_base_PKT1_PKT2_PKS2_S2_S3_PS4_PS7_PS2_
	.p2align	8
	.type	_ZN9rocsparseL32bsr2csr_block_per_row_2_7_kernelILj256ELj6EiiiEEv20rocsparse_direction_T3_S2_21rocsparse_index_base_PKT1_PKT2_PKS2_S2_S3_PS4_PS7_PS2_,@function
_ZN9rocsparseL32bsr2csr_block_per_row_2_7_kernelILj256ELj6EiiiEEv20rocsparse_direction_T3_S2_21rocsparse_index_base_PKT1_PKT2_PKS2_S2_S3_PS4_PS7_PS2_: ; @_ZN9rocsparseL32bsr2csr_block_per_row_2_7_kernelILj256ELj6EiiiEEv20rocsparse_direction_T3_S2_21rocsparse_index_base_PKT1_PKT2_PKS2_S2_S3_PS4_PS7_PS2_
; %bb.0:
	s_clause 0x1
	s_load_b32 s12, s[0:1], 0x2c
	s_load_b64 s[2:3], s[0:1], 0x38
	s_bfe_u32 s4, ttmp6, 0x4000c
	s_and_b32 s5, ttmp6, 15
	s_add_co_i32 s4, s4, 1
	s_getreg_b32 s6, hwreg(HW_REG_IB_STS2, 6, 4)
	s_mul_i32 s4, ttmp9, s4
	s_delay_alu instid0(SALU_CYCLE_1) | instskip(SKIP_4) | instid1(VALU_DEP_1)
	s_add_co_i32 s5, s5, s4
	s_cmp_eq_u32 s6, 0
	s_cselect_b32 s4, ttmp9, s5
	s_mov_b32 s5, exec_lo
	v_or_b32_e32 v1, s4, v0
	v_cmpx_eq_u32_e32 0, v1
	s_cbranch_execz .LBB5_2
; %bb.1:
	s_wait_kmcnt 0x0
	v_dual_mov_b32 v1, 0 :: v_dual_mov_b32 v2, s12
	global_store_b32 v1, v2, s[2:3]
.LBB5_2:
	s_wait_xcnt 0x0
	s_or_b32 exec_lo, exec_lo, s5
	v_and_b32_e32 v1, 7, v0
	s_mov_b32 s5, exec_lo
	s_delay_alu instid0(VALU_DEP_1)
	v_cmpx_gt_u32_e32 6, v1
	s_cbranch_execz .LBB5_6
; %bb.3:
	s_clause 0x1
	s_load_b64 s[6:7], s[0:1], 0x18
	s_load_b32 s13, s[0:1], 0xc
	s_ashr_i32 s5, s4, 31
	v_lshrrev_b32_e32 v0, 3, v0
	s_lshl_b64 s[8:9], s[4:5], 2
	s_mul_i32 s4, s4, 6
	s_delay_alu instid0(SALU_CYCLE_1)
	v_add3_u32 v5, v1, s4, 1
	s_wait_kmcnt 0x0
	s_add_nc_u64 s[6:7], s[6:7], s[8:9]
	s_load_b64 s[10:11], s[6:7], 0x0
	s_wait_kmcnt 0x0
	s_sub_co_i32 s5, s10, s13
	s_sub_co_i32 s11, s11, s13
	v_add_nc_u32_e32 v2, s5, v0
	s_sub_co_i32 s6, s11, s5
	s_mul_i32 s7, s5, 36
	s_mul_i32 s6, s6, 6
	s_delay_alu instid0(SALU_CYCLE_1) | instskip(SKIP_2) | instid1(VALU_DEP_2)
	v_mul_lo_u32 v4, s6, v1
	s_add_co_i32 s6, s6, s12
	v_cmp_gt_i32_e32 vcc_lo, s11, v2
	v_add3_u32 v3, s6, s7, v4
	global_store_b32 v5, v3, s[2:3] scale_offset
	s_wait_xcnt 0x0
	s_and_b32 exec_lo, exec_lo, vcc_lo
	s_cbranch_execz .LBB5_6
; %bb.4:
	s_clause 0x4
	s_load_b64 s[2:3], s[0:1], 0x20
	s_load_b64 s[4:5], s[0:1], 0x30
	s_load_b32 s14, s[0:1], 0x0
	s_load_b64 s[6:7], s[0:1], 0x10
	s_load_b64 s[8:9], s[0:1], 0x40
	v_mul_u32_u24_e32 v0, 6, v0
	s_wait_xcnt 0x0
	s_mul_i32 s0, s10, 36
	v_mad_u32 v3, v2, 36, v1
	s_mov_b32 s1, 0
	v_add3_u32 v0, v4, s0, v0
	s_mul_i32 s0, s13, 36
	v_mul_u32_u24_e32 v4, 5, v1
	s_delay_alu instid0(VALU_DEP_2)
	v_subrev_nc_u32_e32 v0, s0, v0
	s_wait_kmcnt 0x0
	s_cmp_eq_u32 s14, 0
	s_cselect_b32 vcc_lo, -1, 0
.LBB5_5:                                ; =>This Inner Loop Header: Depth=1
	global_load_b32 v5, v2, s[2:3] scale_offset
	v_dual_add_nc_u32 v1, v4, v3 :: v_dual_add_nc_u32 v6, 6, v3
	v_dual_add_nc_u32 v7, 12, v3 :: v_dual_add_nc_u32 v8, 18, v3
	;; [unrolled: 1-line block ×3, first 2 shown]
	s_delay_alu instid0(VALU_DEP_3) | instskip(SKIP_2) | instid1(VALU_DEP_2)
	v_dual_cndmask_b32 v11, v3, v1 :: v_dual_add_nc_u32 v12, 1, v1
	v_dual_add_nc_u32 v13, 2, v1 :: v_dual_add_nc_u32 v14, 3, v1
	v_dual_add_nc_u32 v15, 4, v1 :: v_dual_add_nc_u32 v1, 5, v1
	v_dual_cndmask_b32 v12, v6, v12 :: v_dual_cndmask_b32 v13, v7, v13
	s_delay_alu instid0(VALU_DEP_2) | instskip(SKIP_1) | instid1(VALU_DEP_3)
	v_dual_cndmask_b32 v16, v8, v14 :: v_dual_cndmask_b32 v17, v9, v15
	s_wait_xcnt 0x0
	v_dual_cndmask_b32 v1, v10, v1 :: v_dual_add_nc_u32 v2, 32, v2
	s_clause 0x5
	global_load_b32 v6, v11, s[6:7] scale_offset
	global_load_b32 v7, v12, s[6:7] scale_offset
	;; [unrolled: 1-line block ×6, first 2 shown]
	v_add_nc_u32_e32 v3, 0x480, v3
	v_cmp_le_i32_e64 s0, s11, v2
	s_or_b32 s1, s0, s1
	s_wait_loadcnt 0x6
	v_subrev_nc_u32_e32 v5, s13, v5
	s_delay_alu instid0(VALU_DEP_1) | instskip(SKIP_1) | instid1(VALU_DEP_1)
	v_mad_u32 v10, v5, 6, s12
	s_wait_xcnt 0x0
	v_dual_ashrrev_i32 v1, 31, v0 :: v_dual_add_nc_u32 v11, 1, v10
	s_delay_alu instid0(VALU_DEP_1) | instskip(SKIP_2) | instid1(VALU_DEP_3)
	v_lshlrev_b64_e32 v[12:13], 2, v[0:1]
	v_add_nc_u32_e32 v0, 0xc0, v0
	v_dual_add_nc_u32 v20, 4, v10 :: v_dual_add_nc_u32 v21, 5, v10
	v_add_nc_u64_e32 v[18:19], s[4:5], v[12:13]
	v_add_nc_u64_e32 v[16:17], s[8:9], v[12:13]
	v_dual_add_nc_u32 v12, 2, v10 :: v_dual_add_nc_u32 v13, 3, v10
	s_wait_loadcnt 0x2
	global_store_b128 v[18:19], v[6:9], off
	s_wait_loadcnt 0x0
	global_store_b64 v[18:19], v[14:15], off offset:16
	s_clause 0x1
	global_store_b128 v[16:17], v[10:13], off
	global_store_b64 v[16:17], v[20:21], off offset:16
	s_wait_xcnt 0x0
	s_and_not1_b32 exec_lo, exec_lo, s1
	s_cbranch_execnz .LBB5_5
.LBB5_6:
	s_endpgm
	.section	.rodata,"a",@progbits
	.p2align	6, 0x0
	.amdhsa_kernel _ZN9rocsparseL32bsr2csr_block_per_row_2_7_kernelILj256ELj6EiiiEEv20rocsparse_direction_T3_S2_21rocsparse_index_base_PKT1_PKT2_PKS2_S2_S3_PS4_PS7_PS2_
		.amdhsa_group_segment_fixed_size 0
		.amdhsa_private_segment_fixed_size 0
		.amdhsa_kernarg_size 72
		.amdhsa_user_sgpr_count 2
		.amdhsa_user_sgpr_dispatch_ptr 0
		.amdhsa_user_sgpr_queue_ptr 0
		.amdhsa_user_sgpr_kernarg_segment_ptr 1
		.amdhsa_user_sgpr_dispatch_id 0
		.amdhsa_user_sgpr_kernarg_preload_length 0
		.amdhsa_user_sgpr_kernarg_preload_offset 0
		.amdhsa_user_sgpr_private_segment_size 0
		.amdhsa_wavefront_size32 1
		.amdhsa_uses_dynamic_stack 0
		.amdhsa_enable_private_segment 0
		.amdhsa_system_sgpr_workgroup_id_x 1
		.amdhsa_system_sgpr_workgroup_id_y 0
		.amdhsa_system_sgpr_workgroup_id_z 0
		.amdhsa_system_sgpr_workgroup_info 0
		.amdhsa_system_vgpr_workitem_id 0
		.amdhsa_next_free_vgpr 22
		.amdhsa_next_free_sgpr 15
		.amdhsa_named_barrier_count 0
		.amdhsa_reserve_vcc 1
		.amdhsa_float_round_mode_32 0
		.amdhsa_float_round_mode_16_64 0
		.amdhsa_float_denorm_mode_32 3
		.amdhsa_float_denorm_mode_16_64 3
		.amdhsa_fp16_overflow 0
		.amdhsa_memory_ordered 1
		.amdhsa_forward_progress 1
		.amdhsa_inst_pref_size 6
		.amdhsa_round_robin_scheduling 0
		.amdhsa_exception_fp_ieee_invalid_op 0
		.amdhsa_exception_fp_denorm_src 0
		.amdhsa_exception_fp_ieee_div_zero 0
		.amdhsa_exception_fp_ieee_overflow 0
		.amdhsa_exception_fp_ieee_underflow 0
		.amdhsa_exception_fp_ieee_inexact 0
		.amdhsa_exception_int_div_zero 0
	.end_amdhsa_kernel
	.section	.text._ZN9rocsparseL32bsr2csr_block_per_row_2_7_kernelILj256ELj6EiiiEEv20rocsparse_direction_T3_S2_21rocsparse_index_base_PKT1_PKT2_PKS2_S2_S3_PS4_PS7_PS2_,"axG",@progbits,_ZN9rocsparseL32bsr2csr_block_per_row_2_7_kernelILj256ELj6EiiiEEv20rocsparse_direction_T3_S2_21rocsparse_index_base_PKT1_PKT2_PKS2_S2_S3_PS4_PS7_PS2_,comdat
.Lfunc_end5:
	.size	_ZN9rocsparseL32bsr2csr_block_per_row_2_7_kernelILj256ELj6EiiiEEv20rocsparse_direction_T3_S2_21rocsparse_index_base_PKT1_PKT2_PKS2_S2_S3_PS4_PS7_PS2_, .Lfunc_end5-_ZN9rocsparseL32bsr2csr_block_per_row_2_7_kernelILj256ELj6EiiiEEv20rocsparse_direction_T3_S2_21rocsparse_index_base_PKT1_PKT2_PKS2_S2_S3_PS4_PS7_PS2_
                                        ; -- End function
	.set _ZN9rocsparseL32bsr2csr_block_per_row_2_7_kernelILj256ELj6EiiiEEv20rocsparse_direction_T3_S2_21rocsparse_index_base_PKT1_PKT2_PKS2_S2_S3_PS4_PS7_PS2_.num_vgpr, 22
	.set _ZN9rocsparseL32bsr2csr_block_per_row_2_7_kernelILj256ELj6EiiiEEv20rocsparse_direction_T3_S2_21rocsparse_index_base_PKT1_PKT2_PKS2_S2_S3_PS4_PS7_PS2_.num_agpr, 0
	.set _ZN9rocsparseL32bsr2csr_block_per_row_2_7_kernelILj256ELj6EiiiEEv20rocsparse_direction_T3_S2_21rocsparse_index_base_PKT1_PKT2_PKS2_S2_S3_PS4_PS7_PS2_.numbered_sgpr, 15
	.set _ZN9rocsparseL32bsr2csr_block_per_row_2_7_kernelILj256ELj6EiiiEEv20rocsparse_direction_T3_S2_21rocsparse_index_base_PKT1_PKT2_PKS2_S2_S3_PS4_PS7_PS2_.num_named_barrier, 0
	.set _ZN9rocsparseL32bsr2csr_block_per_row_2_7_kernelILj256ELj6EiiiEEv20rocsparse_direction_T3_S2_21rocsparse_index_base_PKT1_PKT2_PKS2_S2_S3_PS4_PS7_PS2_.private_seg_size, 0
	.set _ZN9rocsparseL32bsr2csr_block_per_row_2_7_kernelILj256ELj6EiiiEEv20rocsparse_direction_T3_S2_21rocsparse_index_base_PKT1_PKT2_PKS2_S2_S3_PS4_PS7_PS2_.uses_vcc, 1
	.set _ZN9rocsparseL32bsr2csr_block_per_row_2_7_kernelILj256ELj6EiiiEEv20rocsparse_direction_T3_S2_21rocsparse_index_base_PKT1_PKT2_PKS2_S2_S3_PS4_PS7_PS2_.uses_flat_scratch, 0
	.set _ZN9rocsparseL32bsr2csr_block_per_row_2_7_kernelILj256ELj6EiiiEEv20rocsparse_direction_T3_S2_21rocsparse_index_base_PKT1_PKT2_PKS2_S2_S3_PS4_PS7_PS2_.has_dyn_sized_stack, 0
	.set _ZN9rocsparseL32bsr2csr_block_per_row_2_7_kernelILj256ELj6EiiiEEv20rocsparse_direction_T3_S2_21rocsparse_index_base_PKT1_PKT2_PKS2_S2_S3_PS4_PS7_PS2_.has_recursion, 0
	.set _ZN9rocsparseL32bsr2csr_block_per_row_2_7_kernelILj256ELj6EiiiEEv20rocsparse_direction_T3_S2_21rocsparse_index_base_PKT1_PKT2_PKS2_S2_S3_PS4_PS7_PS2_.has_indirect_call, 0
	.section	.AMDGPU.csdata,"",@progbits
; Kernel info:
; codeLenInByte = 748
; TotalNumSgprs: 17
; NumVgprs: 22
; ScratchSize: 0
; MemoryBound: 0
; FloatMode: 240
; IeeeMode: 1
; LDSByteSize: 0 bytes/workgroup (compile time only)
; SGPRBlocks: 0
; VGPRBlocks: 1
; NumSGPRsForWavesPerEU: 17
; NumVGPRsForWavesPerEU: 22
; NamedBarCnt: 0
; Occupancy: 16
; WaveLimiterHint : 0
; COMPUTE_PGM_RSRC2:SCRATCH_EN: 0
; COMPUTE_PGM_RSRC2:USER_SGPR: 2
; COMPUTE_PGM_RSRC2:TRAP_HANDLER: 0
; COMPUTE_PGM_RSRC2:TGID_X_EN: 1
; COMPUTE_PGM_RSRC2:TGID_Y_EN: 0
; COMPUTE_PGM_RSRC2:TGID_Z_EN: 0
; COMPUTE_PGM_RSRC2:TIDIG_COMP_CNT: 0
	.section	.text._ZN9rocsparseL32bsr2csr_block_per_row_2_7_kernelILj256ELj7EiiiEEv20rocsparse_direction_T3_S2_21rocsparse_index_base_PKT1_PKT2_PKS2_S2_S3_PS4_PS7_PS2_,"axG",@progbits,_ZN9rocsparseL32bsr2csr_block_per_row_2_7_kernelILj256ELj7EiiiEEv20rocsparse_direction_T3_S2_21rocsparse_index_base_PKT1_PKT2_PKS2_S2_S3_PS4_PS7_PS2_,comdat
	.globl	_ZN9rocsparseL32bsr2csr_block_per_row_2_7_kernelILj256ELj7EiiiEEv20rocsparse_direction_T3_S2_21rocsparse_index_base_PKT1_PKT2_PKS2_S2_S3_PS4_PS7_PS2_ ; -- Begin function _ZN9rocsparseL32bsr2csr_block_per_row_2_7_kernelILj256ELj7EiiiEEv20rocsparse_direction_T3_S2_21rocsparse_index_base_PKT1_PKT2_PKS2_S2_S3_PS4_PS7_PS2_
	.p2align	8
	.type	_ZN9rocsparseL32bsr2csr_block_per_row_2_7_kernelILj256ELj7EiiiEEv20rocsparse_direction_T3_S2_21rocsparse_index_base_PKT1_PKT2_PKS2_S2_S3_PS4_PS7_PS2_,@function
_ZN9rocsparseL32bsr2csr_block_per_row_2_7_kernelILj256ELj7EiiiEEv20rocsparse_direction_T3_S2_21rocsparse_index_base_PKT1_PKT2_PKS2_S2_S3_PS4_PS7_PS2_: ; @_ZN9rocsparseL32bsr2csr_block_per_row_2_7_kernelILj256ELj7EiiiEEv20rocsparse_direction_T3_S2_21rocsparse_index_base_PKT1_PKT2_PKS2_S2_S3_PS4_PS7_PS2_
; %bb.0:
	s_clause 0x1
	s_load_b32 s12, s[0:1], 0x2c
	s_load_b64 s[2:3], s[0:1], 0x38
	s_bfe_u32 s4, ttmp6, 0x4000c
	s_and_b32 s5, ttmp6, 15
	s_add_co_i32 s4, s4, 1
	s_getreg_b32 s6, hwreg(HW_REG_IB_STS2, 6, 4)
	s_mul_i32 s4, ttmp9, s4
	s_delay_alu instid0(SALU_CYCLE_1) | instskip(SKIP_4) | instid1(VALU_DEP_1)
	s_add_co_i32 s5, s5, s4
	s_cmp_eq_u32 s6, 0
	s_cselect_b32 s4, ttmp9, s5
	s_mov_b32 s5, exec_lo
	v_or_b32_e32 v1, s4, v0
	v_cmpx_eq_u32_e32 0, v1
	s_cbranch_execz .LBB6_2
; %bb.1:
	s_wait_kmcnt 0x0
	v_dual_mov_b32 v1, 0 :: v_dual_mov_b32 v2, s12
	global_store_b32 v1, v2, s[2:3]
.LBB6_2:
	s_wait_xcnt 0x0
	s_or_b32 exec_lo, exec_lo, s5
	v_and_b32_e32 v1, 7, v0
	s_mov_b32 s5, exec_lo
	s_delay_alu instid0(VALU_DEP_1)
	v_cmpx_ne_u32_e32 7, v1
	s_cbranch_execz .LBB6_6
; %bb.3:
	s_clause 0x1
	s_load_b64 s[6:7], s[0:1], 0x18
	s_load_b32 s13, s[0:1], 0xc
	s_ashr_i32 s5, s4, 31
	v_lshrrev_b32_e32 v0, 3, v0
	s_lshl_b64 s[8:9], s[4:5], 2
	s_mul_i32 s4, s4, 7
	s_delay_alu instid0(SALU_CYCLE_1)
	v_add3_u32 v5, v1, s4, 1
	s_wait_kmcnt 0x0
	s_add_nc_u64 s[6:7], s[6:7], s[8:9]
	s_load_b64 s[10:11], s[6:7], 0x0
	s_wait_kmcnt 0x0
	s_sub_co_i32 s5, s10, s13
	s_sub_co_i32 s11, s11, s13
	v_add_nc_u32_e32 v2, s5, v0
	s_sub_co_i32 s6, s11, s5
	s_mul_i32 s7, s5, 49
	s_mul_i32 s6, s6, 7
	s_delay_alu instid0(SALU_CYCLE_1) | instskip(SKIP_2) | instid1(VALU_DEP_2)
	v_mul_lo_u32 v4, s6, v1
	s_add_co_i32 s6, s6, s12
	v_cmp_gt_i32_e32 vcc_lo, s11, v2
	v_add3_u32 v3, s6, s7, v4
	global_store_b32 v5, v3, s[2:3] scale_offset
	s_wait_xcnt 0x0
	s_and_b32 exec_lo, exec_lo, vcc_lo
	s_cbranch_execz .LBB6_6
; %bb.4:
	s_clause 0x4
	s_load_b64 s[2:3], s[0:1], 0x20
	s_load_b64 s[4:5], s[0:1], 0x30
	s_load_b32 s14, s[0:1], 0x0
	s_load_b64 s[6:7], s[0:1], 0x10
	s_load_b64 s[8:9], s[0:1], 0x40
	v_mul_u32_u24_e32 v0, 7, v0
	s_wait_xcnt 0x0
	s_mul_i32 s0, s10, 49
	v_mad_u32 v3, v2, 49, v1
	s_mov_b32 s1, 0
	v_add3_u32 v0, v4, s0, v0
	s_mul_i32 s0, s13, 49
	v_mul_u32_u24_e32 v4, 6, v1
	s_delay_alu instid0(VALU_DEP_2)
	v_subrev_nc_u32_e32 v0, s0, v0
	s_wait_kmcnt 0x0
	s_cmp_eq_u32 s14, 0
	s_cselect_b32 vcc_lo, -1, 0
.LBB6_5:                                ; =>This Inner Loop Header: Depth=1
	global_load_b32 v5, v2, s[2:3] scale_offset
	v_dual_add_nc_u32 v1, v4, v3 :: v_dual_add_nc_u32 v6, 7, v3
	v_dual_add_nc_u32 v7, 14, v3 :: v_dual_add_nc_u32 v8, 21, v3
	v_dual_add_nc_u32 v9, 28, v3 :: v_dual_add_nc_u32 v10, 35, v3
	s_delay_alu instid0(VALU_DEP_3) | instskip(SKIP_3) | instid1(VALU_DEP_4)
	v_dual_add_nc_u32 v13, 1, v1 :: v_dual_add_nc_u32 v14, 2, v1
	v_dual_add_nc_u32 v15, 3, v1 :: v_dual_add_nc_u32 v16, 4, v1
	v_dual_cndmask_b32 v12, v3, v1 :: v_dual_add_nc_u32 v11, 42, v3
	v_dual_add_nc_u32 v17, 5, v1 :: v_dual_add_nc_u32 v1, 6, v1
	v_dual_cndmask_b32 v13, v6, v13 :: v_dual_cndmask_b32 v18, v7, v14
	s_delay_alu instid0(VALU_DEP_4) | instskip(NEXT) | instid1(VALU_DEP_3)
	v_dual_cndmask_b32 v19, v8, v15 :: v_dual_cndmask_b32 v20, v9, v16
	v_cndmask_b32_e32 v10, v10, v17, vcc_lo
	s_wait_xcnt 0x0
	v_dual_cndmask_b32 v1, v11, v1 :: v_dual_add_nc_u32 v2, 32, v2
	s_clause 0x6
	global_load_b32 v6, v12, s[6:7] scale_offset
	global_load_b32 v7, v13, s[6:7] scale_offset
	;; [unrolled: 1-line block ×7, first 2 shown]
	s_wait_xcnt 0x0
	v_ashrrev_i32_e32 v1, 31, v0
	v_add_nc_u32_e32 v3, 0x620, v3
	v_cmp_le_i32_e64 s0, s11, v2
	s_delay_alu instid0(VALU_DEP_3) | instskip(SKIP_2) | instid1(VALU_DEP_2)
	v_lshlrev_b64_e32 v[12:13], 2, v[0:1]
	v_add_nc_u32_e32 v0, 0xe0, v0
	s_or_b32 s1, s0, s1
	v_add_nc_u64_e32 v[24:25], s[4:5], v[12:13]
	v_add_nc_u64_e32 v[22:23], s[8:9], v[12:13]
	s_wait_loadcnt 0x7
	v_subrev_nc_u32_e32 v1, s13, v5
	s_delay_alu instid0(VALU_DEP_1) | instskip(NEXT) | instid1(VALU_DEP_1)
	v_mad_u32 v10, v1, 7, s12
	v_dual_add_nc_u32 v11, 1, v10 :: v_dual_add_nc_u32 v12, 2, v10
	v_dual_add_nc_u32 v13, 3, v10 :: v_dual_add_nc_u32 v18, 4, v10
	;; [unrolled: 1-line block ×3, first 2 shown]
	s_wait_loadcnt 0x3
	global_store_b128 v[24:25], v[6:9], off
	s_wait_loadcnt 0x0
	global_store_b96 v[24:25], v[14:16], off offset:16
	s_clause 0x1
	global_store_b128 v[22:23], v[10:13], off
	global_store_b96 v[22:23], v[18:20], off offset:16
	s_wait_xcnt 0x0
	s_and_not1_b32 exec_lo, exec_lo, s1
	s_cbranch_execnz .LBB6_5
.LBB6_6:
	s_endpgm
	.section	.rodata,"a",@progbits
	.p2align	6, 0x0
	.amdhsa_kernel _ZN9rocsparseL32bsr2csr_block_per_row_2_7_kernelILj256ELj7EiiiEEv20rocsparse_direction_T3_S2_21rocsparse_index_base_PKT1_PKT2_PKS2_S2_S3_PS4_PS7_PS2_
		.amdhsa_group_segment_fixed_size 0
		.amdhsa_private_segment_fixed_size 0
		.amdhsa_kernarg_size 72
		.amdhsa_user_sgpr_count 2
		.amdhsa_user_sgpr_dispatch_ptr 0
		.amdhsa_user_sgpr_queue_ptr 0
		.amdhsa_user_sgpr_kernarg_segment_ptr 1
		.amdhsa_user_sgpr_dispatch_id 0
		.amdhsa_user_sgpr_kernarg_preload_length 0
		.amdhsa_user_sgpr_kernarg_preload_offset 0
		.amdhsa_user_sgpr_private_segment_size 0
		.amdhsa_wavefront_size32 1
		.amdhsa_uses_dynamic_stack 0
		.amdhsa_enable_private_segment 0
		.amdhsa_system_sgpr_workgroup_id_x 1
		.amdhsa_system_sgpr_workgroup_id_y 0
		.amdhsa_system_sgpr_workgroup_id_z 0
		.amdhsa_system_sgpr_workgroup_info 0
		.amdhsa_system_vgpr_workitem_id 0
		.amdhsa_next_free_vgpr 26
		.amdhsa_next_free_sgpr 15
		.amdhsa_named_barrier_count 0
		.amdhsa_reserve_vcc 1
		.amdhsa_float_round_mode_32 0
		.amdhsa_float_round_mode_16_64 0
		.amdhsa_float_denorm_mode_32 3
		.amdhsa_float_denorm_mode_16_64 3
		.amdhsa_fp16_overflow 0
		.amdhsa_memory_ordered 1
		.amdhsa_forward_progress 1
		.amdhsa_inst_pref_size 7
		.amdhsa_round_robin_scheduling 0
		.amdhsa_exception_fp_ieee_invalid_op 0
		.amdhsa_exception_fp_denorm_src 0
		.amdhsa_exception_fp_ieee_div_zero 0
		.amdhsa_exception_fp_ieee_overflow 0
		.amdhsa_exception_fp_ieee_underflow 0
		.amdhsa_exception_fp_ieee_inexact 0
		.amdhsa_exception_int_div_zero 0
	.end_amdhsa_kernel
	.section	.text._ZN9rocsparseL32bsr2csr_block_per_row_2_7_kernelILj256ELj7EiiiEEv20rocsparse_direction_T3_S2_21rocsparse_index_base_PKT1_PKT2_PKS2_S2_S3_PS4_PS7_PS2_,"axG",@progbits,_ZN9rocsparseL32bsr2csr_block_per_row_2_7_kernelILj256ELj7EiiiEEv20rocsparse_direction_T3_S2_21rocsparse_index_base_PKT1_PKT2_PKS2_S2_S3_PS4_PS7_PS2_,comdat
.Lfunc_end6:
	.size	_ZN9rocsparseL32bsr2csr_block_per_row_2_7_kernelILj256ELj7EiiiEEv20rocsparse_direction_T3_S2_21rocsparse_index_base_PKT1_PKT2_PKS2_S2_S3_PS4_PS7_PS2_, .Lfunc_end6-_ZN9rocsparseL32bsr2csr_block_per_row_2_7_kernelILj256ELj7EiiiEEv20rocsparse_direction_T3_S2_21rocsparse_index_base_PKT1_PKT2_PKS2_S2_S3_PS4_PS7_PS2_
                                        ; -- End function
	.set _ZN9rocsparseL32bsr2csr_block_per_row_2_7_kernelILj256ELj7EiiiEEv20rocsparse_direction_T3_S2_21rocsparse_index_base_PKT1_PKT2_PKS2_S2_S3_PS4_PS7_PS2_.num_vgpr, 26
	.set _ZN9rocsparseL32bsr2csr_block_per_row_2_7_kernelILj256ELj7EiiiEEv20rocsparse_direction_T3_S2_21rocsparse_index_base_PKT1_PKT2_PKS2_S2_S3_PS4_PS7_PS2_.num_agpr, 0
	.set _ZN9rocsparseL32bsr2csr_block_per_row_2_7_kernelILj256ELj7EiiiEEv20rocsparse_direction_T3_S2_21rocsparse_index_base_PKT1_PKT2_PKS2_S2_S3_PS4_PS7_PS2_.numbered_sgpr, 15
	.set _ZN9rocsparseL32bsr2csr_block_per_row_2_7_kernelILj256ELj7EiiiEEv20rocsparse_direction_T3_S2_21rocsparse_index_base_PKT1_PKT2_PKS2_S2_S3_PS4_PS7_PS2_.num_named_barrier, 0
	.set _ZN9rocsparseL32bsr2csr_block_per_row_2_7_kernelILj256ELj7EiiiEEv20rocsparse_direction_T3_S2_21rocsparse_index_base_PKT1_PKT2_PKS2_S2_S3_PS4_PS7_PS2_.private_seg_size, 0
	.set _ZN9rocsparseL32bsr2csr_block_per_row_2_7_kernelILj256ELj7EiiiEEv20rocsparse_direction_T3_S2_21rocsparse_index_base_PKT1_PKT2_PKS2_S2_S3_PS4_PS7_PS2_.uses_vcc, 1
	.set _ZN9rocsparseL32bsr2csr_block_per_row_2_7_kernelILj256ELj7EiiiEEv20rocsparse_direction_T3_S2_21rocsparse_index_base_PKT1_PKT2_PKS2_S2_S3_PS4_PS7_PS2_.uses_flat_scratch, 0
	.set _ZN9rocsparseL32bsr2csr_block_per_row_2_7_kernelILj256ELj7EiiiEEv20rocsparse_direction_T3_S2_21rocsparse_index_base_PKT1_PKT2_PKS2_S2_S3_PS4_PS7_PS2_.has_dyn_sized_stack, 0
	.set _ZN9rocsparseL32bsr2csr_block_per_row_2_7_kernelILj256ELj7EiiiEEv20rocsparse_direction_T3_S2_21rocsparse_index_base_PKT1_PKT2_PKS2_S2_S3_PS4_PS7_PS2_.has_recursion, 0
	.set _ZN9rocsparseL32bsr2csr_block_per_row_2_7_kernelILj256ELj7EiiiEEv20rocsparse_direction_T3_S2_21rocsparse_index_base_PKT1_PKT2_PKS2_S2_S3_PS4_PS7_PS2_.has_indirect_call, 0
	.section	.AMDGPU.csdata,"",@progbits
; Kernel info:
; codeLenInByte = 780
; TotalNumSgprs: 17
; NumVgprs: 26
; ScratchSize: 0
; MemoryBound: 0
; FloatMode: 240
; IeeeMode: 1
; LDSByteSize: 0 bytes/workgroup (compile time only)
; SGPRBlocks: 0
; VGPRBlocks: 1
; NumSGPRsForWavesPerEU: 17
; NumVGPRsForWavesPerEU: 26
; NamedBarCnt: 0
; Occupancy: 16
; WaveLimiterHint : 0
; COMPUTE_PGM_RSRC2:SCRATCH_EN: 0
; COMPUTE_PGM_RSRC2:USER_SGPR: 2
; COMPUTE_PGM_RSRC2:TRAP_HANDLER: 0
; COMPUTE_PGM_RSRC2:TGID_X_EN: 1
; COMPUTE_PGM_RSRC2:TGID_Y_EN: 0
; COMPUTE_PGM_RSRC2:TGID_Z_EN: 0
; COMPUTE_PGM_RSRC2:TIDIG_COMP_CNT: 0
	.section	.text._ZN9rocsparseL33bsr2csr_block_per_row_8_32_kernelILj1024ELj8EiiiEEv20rocsparse_direction_T3_S2_21rocsparse_index_base_PKT1_PKT2_PKS2_S2_S3_PS4_PS7_PS2_,"axG",@progbits,_ZN9rocsparseL33bsr2csr_block_per_row_8_32_kernelILj1024ELj8EiiiEEv20rocsparse_direction_T3_S2_21rocsparse_index_base_PKT1_PKT2_PKS2_S2_S3_PS4_PS7_PS2_,comdat
	.globl	_ZN9rocsparseL33bsr2csr_block_per_row_8_32_kernelILj1024ELj8EiiiEEv20rocsparse_direction_T3_S2_21rocsparse_index_base_PKT1_PKT2_PKS2_S2_S3_PS4_PS7_PS2_ ; -- Begin function _ZN9rocsparseL33bsr2csr_block_per_row_8_32_kernelILj1024ELj8EiiiEEv20rocsparse_direction_T3_S2_21rocsparse_index_base_PKT1_PKT2_PKS2_S2_S3_PS4_PS7_PS2_
	.p2align	8
	.type	_ZN9rocsparseL33bsr2csr_block_per_row_8_32_kernelILj1024ELj8EiiiEEv20rocsparse_direction_T3_S2_21rocsparse_index_base_PKT1_PKT2_PKS2_S2_S3_PS4_PS7_PS2_,@function
_ZN9rocsparseL33bsr2csr_block_per_row_8_32_kernelILj1024ELj8EiiiEEv20rocsparse_direction_T3_S2_21rocsparse_index_base_PKT1_PKT2_PKS2_S2_S3_PS4_PS7_PS2_: ; @_ZN9rocsparseL33bsr2csr_block_per_row_8_32_kernelILj1024ELj8EiiiEEv20rocsparse_direction_T3_S2_21rocsparse_index_base_PKT1_PKT2_PKS2_S2_S3_PS4_PS7_PS2_
; %bb.0:
	s_clause 0x1
	s_load_b64 s[4:5], s[0:1], 0x28
	s_load_b64 s[2:3], s[0:1], 0x38
	s_bfe_u32 s6, ttmp6, 0x4000c
	s_and_b32 s7, ttmp6, 15
	s_add_co_i32 s6, s6, 1
	s_getreg_b32 s8, hwreg(HW_REG_IB_STS2, 6, 4)
	s_mul_i32 s6, ttmp9, s6
	s_delay_alu instid0(SALU_CYCLE_1) | instskip(SKIP_4) | instid1(VALU_DEP_1)
	s_add_co_i32 s7, s7, s6
	s_cmp_eq_u32 s8, 0
	s_cselect_b32 s6, ttmp9, s7
	s_mov_b32 s7, exec_lo
	v_or_b32_e32 v1, s6, v0
	v_cmpx_eq_u32_e32 0, v1
	s_cbranch_execz .LBB7_2
; %bb.1:
	s_wait_kmcnt 0x0
	v_dual_mov_b32 v1, 0 :: v_dual_mov_b32 v2, s5
	global_store_b32 v1, v2, s[2:3]
.LBB7_2:
	s_wait_xcnt 0x0
	s_or_b32 exec_lo, exec_lo, s7
	v_and_b32_e32 v10, 7, v0
	v_bfe_u32 v4, v0, 3, 3
	s_mov_b32 s7, exec_lo
	s_delay_alu instid0(VALU_DEP_1) | instskip(SKIP_1) | instid1(VALU_DEP_1)
	v_max_i32_e32 v1, v4, v10
	s_wait_kmcnt 0x0
	v_cmpx_gt_i32_e64 s4, v1
	s_cbranch_execz .LBB7_15
; %bb.3:
	s_clause 0x1
	s_load_b64 s[8:9], s[0:1], 0x18
	s_load_b32 s16, s[0:1], 0xc
	s_ashr_i32 s7, s6, 31
	s_mul_i32 s17, s4, s4
	s_lshl_b64 s[10:11], s[6:7], 2
	v_lshrrev_b32_e32 v5, 6, v0
	v_mad_u32 v2, s4, s6, v4
	s_wait_kmcnt 0x0
	s_add_nc_u64 s[8:9], s[8:9], s[10:11]
	s_load_b64 s[12:13], s[8:9], 0x0
	s_wait_kmcnt 0x0
	s_sub_co_i32 s18, s12, s16
	s_sub_co_i32 s13, s13, s16
	s_mul_i32 s7, s18, s17
	s_sub_co_i32 s19, s13, s18
	v_add_nc_u32_e32 v0, s18, v5
	s_mul_i32 s8, s19, s4
	s_delay_alu instid0(SALU_CYCLE_1) | instskip(NEXT) | instid1(VALU_DEP_2)
	v_mad_u32 v1, s8, v4, s7
	v_cmp_gt_i32_e32 vcc_lo, s13, v0
	s_delay_alu instid0(VALU_DEP_2)
	v_add3_u32 v3, s8, s5, v1
	global_store_b32 v2, v3, s[2:3] offset:4 scale_offset
	s_wait_xcnt 0x0
	s_and_b32 exec_lo, exec_lo, vcc_lo
	s_cbranch_execz .LBB7_15
; %bb.4:
	s_clause 0x2
	s_load_b64 s[6:7], s[0:1], 0x20
	s_load_b64 s[8:9], s[0:1], 0x30
	s_load_b32 s2, s[0:1], 0x0
	v_add_nc_u32_e32 v2, s12, v5
	s_clause 0x1
	s_load_b64 s[10:11], s[0:1], 0x10
	s_load_b64 s[14:15], s[0:1], 0x40
	v_mad_u32 v11, s4, v10, v4
	v_mad_u32 v12, s4, v4, v10
	v_mul_lo_u32 v13, s19, v4
	v_subrev_nc_u32_e32 v2, s16, v2
	s_wait_xcnt 0x0
	s_mov_b32 s1, 0
	s_mul_i32 s3, s4, s18
                                        ; implicit-def: $vgpr6
                                        ; implicit-def: $vgpr3
	s_delay_alu instid0(VALU_DEP_1)
	v_add_max_i32_e64 v2, v2, 16, s13
	s_wait_kmcnt 0x0
	s_cmp_eq_u32 s2, 0
	s_mov_b32 s2, exec_lo
	s_cselect_b32 vcc_lo, -1, 0
	s_not_b32 s0, s12
	s_delay_alu instid0(SALU_CYCLE_1) | instskip(NEXT) | instid1(VALU_DEP_1)
	v_add3_u32 v2, s0, s16, v2
	v_dual_sub_nc_u32 v7, v2, v5 :: v_dual_add_nc_u32 v2, s5, v10
	s_delay_alu instid0(VALU_DEP_1)
	v_cmpx_lt_u32_e32 0x18f, v7
	s_xor_b32 s5, exec_lo, s2
	s_cbranch_execnz .LBB7_7
; %bb.5:
	s_and_not1_saveexec_b32 s0, s5
	s_cbranch_execnz .LBB7_12
.LBB7_6:
	s_or_b32 exec_lo, exec_lo, s0
	s_delay_alu instid0(SALU_CYCLE_1)
	s_and_b32 exec_lo, exec_lo, s1
	s_cbranch_execnz .LBB7_13
	s_branch .LBB7_15
.LBB7_7:
	v_mul_lo_u32 v13, s19, v4
	s_lshl_b32 s19, s4, 4
	s_mov_b32 s20, 0
	s_sub_co_i32 s1, 0, s19
	s_cmp_lt_i32 s19, 0
	s_cselect_b32 s0, -1, 0
	s_delay_alu instid0(SALU_CYCLE_1) | instskip(SKIP_1) | instid1(VALU_DEP_1)
	s_and_b32 s2, s0, exec_lo
	s_cselect_b32 s2, s1, s19
	v_add3_u32 v4, v5, s3, v13
	s_delay_alu instid0(VALU_DEP_1) | instskip(SKIP_1) | instid1(VALU_DEP_1)
	v_mad_u32 v4, s4, v4, v10
	v_lshrrev_b32_e32 v3, 4, v7
	v_mul_lo_u32 v5, s2, v3
	s_delay_alu instid0(VALU_DEP_1) | instskip(NEXT) | instid1(VALU_DEP_1)
	v_sub_nc_u32_e32 v6, v4, v5
	v_cmp_gt_i32_e64 s1, v6, v4
	s_delay_alu instid0(VALU_DEP_1) | instskip(SKIP_1) | instid1(VALU_DEP_1)
	v_cndmask_b32_e64 v6, 0, 1, s1
	v_add_nc_u32_e32 v5, v4, v5
	v_cmp_lt_i32_e64 s1, v5, v4
	v_mul_hi_u32 v5, s2, v3
	s_delay_alu instid0(VALU_DEP_2) | instskip(NEXT) | instid1(VALU_DEP_1)
	v_cndmask_b32_e64 v4, 0, 1, s1
	v_dual_cndmask_b32 v4, v4, v6, s0 :: v_dual_bitop2_b32 v6, -16, v7 bitop3:0x40
	s_delay_alu instid0(VALU_DEP_3) | instskip(NEXT) | instid1(VALU_DEP_2)
	v_cmp_eq_u32_e64 s1, 0, v5
	v_dual_add_nc_u32 v6, v0, v6 :: v_dual_bitop2_b32 v4, 1, v4 bitop3:0x40
	s_delay_alu instid0(VALU_DEP_1) | instskip(NEXT) | instid1(VALU_DEP_2)
	v_cmp_eq_u32_e64 s0, 1, v4
	v_cmp_ge_i32_e64 s2, v6, v0
	s_xor_b32 s0, s0, -1
	s_delay_alu instid0(SALU_CYCLE_1) | instskip(SKIP_2) | instid1(SALU_CYCLE_1)
	s_and_b32 s1, s0, s1
	s_mov_b32 s0, -1
	s_and_b32 s2, s2, s1
	s_and_saveexec_b32 s1, s2
	s_cbranch_execz .LBB7_11
; %bb.8:
	v_dual_add_nc_u32 v14, 1, v3 :: v_dual_add_nc_u32 v4, v1, v10
	v_dual_cndmask_b32 v6, v11, v12 :: v_dual_mov_b32 v3, v2
	v_add_nc_u32_e32 v1, 16, v0
	s_delay_alu instid0(VALU_DEP_3) | instskip(NEXT) | instid1(VALU_DEP_3)
	v_and_b32_e32 v15, 0x1ffffffe, v14
	v_dual_mov_b32 v7, v4 :: v_dual_mov_b32 v5, v6
	s_mov_b32 s2, s16
	s_delay_alu instid0(VALU_DEP_3) | instskip(NEXT) | instid1(VALU_DEP_3)
	v_mov_b64_e32 v[8:9], v[0:1]
	v_mov_b32_e32 v16, v15
	s_mov_b32 s21, s18
	s_mov_b32 s22, s4
	;; [unrolled: 1-line block ×3, first 2 shown]
.LBB7_9:                                ; =>This Inner Loop Header: Depth=1
	s_clause 0x1
	global_load_b32 v1, v8, s[6:7] scale_offset
	global_load_b32 v17, v9, s[6:7] scale_offset
	v_mad_u32 v18, v8, s17, v6
	v_mad_u32 v19, v9, s23, v5
	v_add_nc_u32_e32 v16, -2, v16
	s_clause 0x1
	global_load_b32 v20, v18, s[10:11] scale_offset
	global_load_b32 v21, v19, s[10:11] scale_offset
	s_wait_xcnt 0x0
	v_subrev_nc_u32_e32 v19, s18, v8
	v_subrev_nc_u32_e32 v18, s21, v9
	v_add_nc_u32_e32 v9, 32, v9
	v_cmp_eq_u32_e64 s0, 0, v16
	v_add_nc_u32_e32 v8, 32, v8
	v_mad_u32 v19, v19, s4, v4
	v_mad_u32 v18, v18, s22, v7
	s_or_b32 s20, s0, s20
	s_wait_loadcnt 0x3
	v_subrev_nc_u32_e32 v1, s16, v1
	s_wait_loadcnt 0x2
	v_subrev_nc_u32_e32 v17, s2, v17
	s_delay_alu instid0(VALU_DEP_2) | instskip(NEXT) | instid1(VALU_DEP_2)
	v_mad_u32 v1, v1, s4, v2
	v_mad_u32 v17, v17, s22, v3
	global_store_b32 v19, v1, s[14:15] scale_offset
	s_wait_loadcnt 0x1
	global_store_b32 v19, v20, s[8:9] scale_offset
	global_store_b32 v18, v17, s[14:15] scale_offset
	s_wait_loadcnt 0x0
	global_store_b32 v18, v21, s[8:9] scale_offset
	s_wait_xcnt 0x0
	s_and_not1_b32 exec_lo, exec_lo, s20
	s_cbranch_execnz .LBB7_9
; %bb.10:
	s_or_b32 exec_lo, exec_lo, s20
	v_cmp_ne_u32_e64 s0, v14, v15
	v_lshl_add_u32 v0, v15, 4, v0
	s_or_not1_b32 s0, s0, exec_lo
.LBB7_11:
	s_or_b32 exec_lo, exec_lo, s1
	v_dual_mov_b32 v3, s19 :: v_dual_mov_b32 v6, s3
	s_and_b32 s1, s0, exec_lo
	s_and_not1_saveexec_b32 s0, s5
	s_cbranch_execz .LBB7_6
.LBB7_12:
	s_lshl_b32 s2, s4, 4
	s_delay_alu instid0(SALU_CYCLE_1) | instskip(SKIP_2) | instid1(SALU_CYCLE_1)
	v_dual_mov_b32 v6, s3 :: v_dual_mov_b32 v3, s2
	s_or_b32 s1, s1, exec_lo
	s_or_b32 exec_lo, exec_lo, s0
	s_and_b32 exec_lo, exec_lo, s1
	s_cbranch_execz .LBB7_15
.LBB7_13:
	v_add_nc_u32_e32 v1, s16, v0
	v_cndmask_b32_e32 v4, v11, v12, vcc_lo
	s_lshl_b32 s0, s17, 4
	s_mov_b32 s1, 0
	s_delay_alu instid0(VALU_DEP_2) | instskip(NEXT) | instid1(VALU_DEP_1)
	v_add3_u32 v1, v1, v6, v13
	v_subrev_nc_u32_e32 v5, s12, v1
	v_mad_u32 v1, v0, s17, v4
	s_delay_alu instid0(VALU_DEP_2)
	v_mad_u32 v4, s4, v5, v10
.LBB7_14:                               ; =>This Inner Loop Header: Depth=1
	global_load_b32 v5, v0, s[6:7] scale_offset
	global_load_b32 v6, v1, s[10:11] scale_offset
	s_wait_xcnt 0x0
	v_dual_add_nc_u32 v0, 16, v0 :: v_dual_add_nc_u32 v1, s0, v1
	s_delay_alu instid0(VALU_DEP_1) | instskip(SKIP_3) | instid1(VALU_DEP_1)
	v_cmp_le_i32_e32 vcc_lo, s13, v0
	s_or_b32 s1, vcc_lo, s1
	s_wait_loadcnt 0x1
	v_subrev_nc_u32_e32 v5, s16, v5
	v_mad_u32 v5, v5, s4, v2
	global_store_b32 v4, v5, s[14:15] scale_offset
	s_wait_loadcnt 0x0
	global_store_b32 v4, v6, s[8:9] scale_offset
	s_wait_xcnt 0x0
	v_add_nc_u32_e32 v4, v4, v3
	s_and_not1_b32 exec_lo, exec_lo, s1
	s_cbranch_execnz .LBB7_14
.LBB7_15:
	s_endpgm
	.section	.rodata,"a",@progbits
	.p2align	6, 0x0
	.amdhsa_kernel _ZN9rocsparseL33bsr2csr_block_per_row_8_32_kernelILj1024ELj8EiiiEEv20rocsparse_direction_T3_S2_21rocsparse_index_base_PKT1_PKT2_PKS2_S2_S3_PS4_PS7_PS2_
		.amdhsa_group_segment_fixed_size 0
		.amdhsa_private_segment_fixed_size 0
		.amdhsa_kernarg_size 72
		.amdhsa_user_sgpr_count 2
		.amdhsa_user_sgpr_dispatch_ptr 0
		.amdhsa_user_sgpr_queue_ptr 0
		.amdhsa_user_sgpr_kernarg_segment_ptr 1
		.amdhsa_user_sgpr_dispatch_id 0
		.amdhsa_user_sgpr_kernarg_preload_length 0
		.amdhsa_user_sgpr_kernarg_preload_offset 0
		.amdhsa_user_sgpr_private_segment_size 0
		.amdhsa_wavefront_size32 1
		.amdhsa_uses_dynamic_stack 0
		.amdhsa_enable_private_segment 0
		.amdhsa_system_sgpr_workgroup_id_x 1
		.amdhsa_system_sgpr_workgroup_id_y 0
		.amdhsa_system_sgpr_workgroup_id_z 0
		.amdhsa_system_sgpr_workgroup_info 0
		.amdhsa_system_vgpr_workitem_id 0
		.amdhsa_next_free_vgpr 22
		.amdhsa_next_free_sgpr 24
		.amdhsa_named_barrier_count 0
		.amdhsa_reserve_vcc 1
		.amdhsa_float_round_mode_32 0
		.amdhsa_float_round_mode_16_64 0
		.amdhsa_float_denorm_mode_32 3
		.amdhsa_float_denorm_mode_16_64 3
		.amdhsa_fp16_overflow 0
		.amdhsa_memory_ordered 1
		.amdhsa_forward_progress 1
		.amdhsa_inst_pref_size 10
		.amdhsa_round_robin_scheduling 0
		.amdhsa_exception_fp_ieee_invalid_op 0
		.amdhsa_exception_fp_denorm_src 0
		.amdhsa_exception_fp_ieee_div_zero 0
		.amdhsa_exception_fp_ieee_overflow 0
		.amdhsa_exception_fp_ieee_underflow 0
		.amdhsa_exception_fp_ieee_inexact 0
		.amdhsa_exception_int_div_zero 0
	.end_amdhsa_kernel
	.section	.text._ZN9rocsparseL33bsr2csr_block_per_row_8_32_kernelILj1024ELj8EiiiEEv20rocsparse_direction_T3_S2_21rocsparse_index_base_PKT1_PKT2_PKS2_S2_S3_PS4_PS7_PS2_,"axG",@progbits,_ZN9rocsparseL33bsr2csr_block_per_row_8_32_kernelILj1024ELj8EiiiEEv20rocsparse_direction_T3_S2_21rocsparse_index_base_PKT1_PKT2_PKS2_S2_S3_PS4_PS7_PS2_,comdat
.Lfunc_end7:
	.size	_ZN9rocsparseL33bsr2csr_block_per_row_8_32_kernelILj1024ELj8EiiiEEv20rocsparse_direction_T3_S2_21rocsparse_index_base_PKT1_PKT2_PKS2_S2_S3_PS4_PS7_PS2_, .Lfunc_end7-_ZN9rocsparseL33bsr2csr_block_per_row_8_32_kernelILj1024ELj8EiiiEEv20rocsparse_direction_T3_S2_21rocsparse_index_base_PKT1_PKT2_PKS2_S2_S3_PS4_PS7_PS2_
                                        ; -- End function
	.set _ZN9rocsparseL33bsr2csr_block_per_row_8_32_kernelILj1024ELj8EiiiEEv20rocsparse_direction_T3_S2_21rocsparse_index_base_PKT1_PKT2_PKS2_S2_S3_PS4_PS7_PS2_.num_vgpr, 22
	.set _ZN9rocsparseL33bsr2csr_block_per_row_8_32_kernelILj1024ELj8EiiiEEv20rocsparse_direction_T3_S2_21rocsparse_index_base_PKT1_PKT2_PKS2_S2_S3_PS4_PS7_PS2_.num_agpr, 0
	.set _ZN9rocsparseL33bsr2csr_block_per_row_8_32_kernelILj1024ELj8EiiiEEv20rocsparse_direction_T3_S2_21rocsparse_index_base_PKT1_PKT2_PKS2_S2_S3_PS4_PS7_PS2_.numbered_sgpr, 24
	.set _ZN9rocsparseL33bsr2csr_block_per_row_8_32_kernelILj1024ELj8EiiiEEv20rocsparse_direction_T3_S2_21rocsparse_index_base_PKT1_PKT2_PKS2_S2_S3_PS4_PS7_PS2_.num_named_barrier, 0
	.set _ZN9rocsparseL33bsr2csr_block_per_row_8_32_kernelILj1024ELj8EiiiEEv20rocsparse_direction_T3_S2_21rocsparse_index_base_PKT1_PKT2_PKS2_S2_S3_PS4_PS7_PS2_.private_seg_size, 0
	.set _ZN9rocsparseL33bsr2csr_block_per_row_8_32_kernelILj1024ELj8EiiiEEv20rocsparse_direction_T3_S2_21rocsparse_index_base_PKT1_PKT2_PKS2_S2_S3_PS4_PS7_PS2_.uses_vcc, 1
	.set _ZN9rocsparseL33bsr2csr_block_per_row_8_32_kernelILj1024ELj8EiiiEEv20rocsparse_direction_T3_S2_21rocsparse_index_base_PKT1_PKT2_PKS2_S2_S3_PS4_PS7_PS2_.uses_flat_scratch, 0
	.set _ZN9rocsparseL33bsr2csr_block_per_row_8_32_kernelILj1024ELj8EiiiEEv20rocsparse_direction_T3_S2_21rocsparse_index_base_PKT1_PKT2_PKS2_S2_S3_PS4_PS7_PS2_.has_dyn_sized_stack, 0
	.set _ZN9rocsparseL33bsr2csr_block_per_row_8_32_kernelILj1024ELj8EiiiEEv20rocsparse_direction_T3_S2_21rocsparse_index_base_PKT1_PKT2_PKS2_S2_S3_PS4_PS7_PS2_.has_recursion, 0
	.set _ZN9rocsparseL33bsr2csr_block_per_row_8_32_kernelILj1024ELj8EiiiEEv20rocsparse_direction_T3_S2_21rocsparse_index_base_PKT1_PKT2_PKS2_S2_S3_PS4_PS7_PS2_.has_indirect_call, 0
	.section	.AMDGPU.csdata,"",@progbits
; Kernel info:
; codeLenInByte = 1252
; TotalNumSgprs: 26
; NumVgprs: 22
; ScratchSize: 0
; MemoryBound: 0
; FloatMode: 240
; IeeeMode: 1
; LDSByteSize: 0 bytes/workgroup (compile time only)
; SGPRBlocks: 0
; VGPRBlocks: 1
; NumSGPRsForWavesPerEU: 26
; NumVGPRsForWavesPerEU: 22
; NamedBarCnt: 0
; Occupancy: 16
; WaveLimiterHint : 0
; COMPUTE_PGM_RSRC2:SCRATCH_EN: 0
; COMPUTE_PGM_RSRC2:USER_SGPR: 2
; COMPUTE_PGM_RSRC2:TRAP_HANDLER: 0
; COMPUTE_PGM_RSRC2:TGID_X_EN: 1
; COMPUTE_PGM_RSRC2:TGID_Y_EN: 0
; COMPUTE_PGM_RSRC2:TGID_Z_EN: 0
; COMPUTE_PGM_RSRC2:TIDIG_COMP_CNT: 0
	.section	.text._ZN9rocsparseL33bsr2csr_block_per_row_8_32_kernelILj1024ELj16EiiiEEv20rocsparse_direction_T3_S2_21rocsparse_index_base_PKT1_PKT2_PKS2_S2_S3_PS4_PS7_PS2_,"axG",@progbits,_ZN9rocsparseL33bsr2csr_block_per_row_8_32_kernelILj1024ELj16EiiiEEv20rocsparse_direction_T3_S2_21rocsparse_index_base_PKT1_PKT2_PKS2_S2_S3_PS4_PS7_PS2_,comdat
	.globl	_ZN9rocsparseL33bsr2csr_block_per_row_8_32_kernelILj1024ELj16EiiiEEv20rocsparse_direction_T3_S2_21rocsparse_index_base_PKT1_PKT2_PKS2_S2_S3_PS4_PS7_PS2_ ; -- Begin function _ZN9rocsparseL33bsr2csr_block_per_row_8_32_kernelILj1024ELj16EiiiEEv20rocsparse_direction_T3_S2_21rocsparse_index_base_PKT1_PKT2_PKS2_S2_S3_PS4_PS7_PS2_
	.p2align	8
	.type	_ZN9rocsparseL33bsr2csr_block_per_row_8_32_kernelILj1024ELj16EiiiEEv20rocsparse_direction_T3_S2_21rocsparse_index_base_PKT1_PKT2_PKS2_S2_S3_PS4_PS7_PS2_,@function
_ZN9rocsparseL33bsr2csr_block_per_row_8_32_kernelILj1024ELj16EiiiEEv20rocsparse_direction_T3_S2_21rocsparse_index_base_PKT1_PKT2_PKS2_S2_S3_PS4_PS7_PS2_: ; @_ZN9rocsparseL33bsr2csr_block_per_row_8_32_kernelILj1024ELj16EiiiEEv20rocsparse_direction_T3_S2_21rocsparse_index_base_PKT1_PKT2_PKS2_S2_S3_PS4_PS7_PS2_
; %bb.0:
	s_clause 0x1
	s_load_b64 s[4:5], s[0:1], 0x28
	s_load_b64 s[2:3], s[0:1], 0x38
	s_bfe_u32 s6, ttmp6, 0x4000c
	s_and_b32 s7, ttmp6, 15
	s_add_co_i32 s6, s6, 1
	s_getreg_b32 s8, hwreg(HW_REG_IB_STS2, 6, 4)
	s_mul_i32 s6, ttmp9, s6
	s_delay_alu instid0(SALU_CYCLE_1) | instskip(SKIP_4) | instid1(VALU_DEP_1)
	s_add_co_i32 s7, s7, s6
	s_cmp_eq_u32 s8, 0
	s_cselect_b32 s6, ttmp9, s7
	s_mov_b32 s7, exec_lo
	v_or_b32_e32 v1, s6, v0
	v_cmpx_eq_u32_e32 0, v1
	s_cbranch_execz .LBB8_2
; %bb.1:
	s_wait_kmcnt 0x0
	v_dual_mov_b32 v1, 0 :: v_dual_mov_b32 v2, s5
	global_store_b32 v1, v2, s[2:3]
.LBB8_2:
	s_wait_xcnt 0x0
	s_or_b32 exec_lo, exec_lo, s7
	v_and_b32_e32 v10, 15, v0
	v_bfe_u32 v4, v0, 4, 4
	s_mov_b32 s7, exec_lo
	s_delay_alu instid0(VALU_DEP_1) | instskip(SKIP_1) | instid1(VALU_DEP_1)
	v_max_i32_e32 v1, v4, v10
	s_wait_kmcnt 0x0
	v_cmpx_gt_i32_e64 s4, v1
	s_cbranch_execz .LBB8_15
; %bb.3:
	s_clause 0x1
	s_load_b64 s[8:9], s[0:1], 0x18
	s_load_b32 s16, s[0:1], 0xc
	s_ashr_i32 s7, s6, 31
	s_mul_i32 s17, s4, s4
	s_lshl_b64 s[10:11], s[6:7], 2
	v_lshrrev_b32_e32 v5, 8, v0
	v_mad_u32 v2, s4, s6, v4
	s_wait_kmcnt 0x0
	s_add_nc_u64 s[8:9], s[8:9], s[10:11]
	s_load_b64 s[12:13], s[8:9], 0x0
	s_wait_kmcnt 0x0
	s_sub_co_i32 s18, s12, s16
	s_sub_co_i32 s13, s13, s16
	s_mul_i32 s7, s18, s17
	s_sub_co_i32 s19, s13, s18
	v_add_nc_u32_e32 v0, s18, v5
	s_mul_i32 s8, s19, s4
	s_delay_alu instid0(SALU_CYCLE_1) | instskip(NEXT) | instid1(VALU_DEP_2)
	v_mad_u32 v1, s8, v4, s7
	v_cmp_gt_i32_e32 vcc_lo, s13, v0
	s_delay_alu instid0(VALU_DEP_2)
	v_add3_u32 v3, s8, s5, v1
	global_store_b32 v2, v3, s[2:3] offset:4 scale_offset
	s_wait_xcnt 0x0
	s_and_b32 exec_lo, exec_lo, vcc_lo
	s_cbranch_execz .LBB8_15
; %bb.4:
	s_clause 0x2
	s_load_b64 s[6:7], s[0:1], 0x20
	s_load_b64 s[8:9], s[0:1], 0x30
	s_load_b32 s2, s[0:1], 0x0
	v_add_nc_u32_e32 v2, s12, v5
	s_clause 0x1
	s_load_b64 s[10:11], s[0:1], 0x10
	s_load_b64 s[14:15], s[0:1], 0x40
	v_mad_u32 v11, s4, v10, v4
	v_mad_u32 v12, s4, v4, v10
	v_mul_lo_u32 v13, s19, v4
	v_subrev_nc_u32_e32 v2, s16, v2
	s_wait_xcnt 0x0
	s_mov_b32 s1, 0
	s_mul_i32 s3, s4, s18
                                        ; implicit-def: $vgpr6
                                        ; implicit-def: $vgpr3
	s_delay_alu instid0(VALU_DEP_1)
	v_add_max_i32_e64 v2, v2, 4, s13
	s_wait_kmcnt 0x0
	s_cmp_eq_u32 s2, 0
	s_mov_b32 s2, exec_lo
	s_cselect_b32 vcc_lo, -1, 0
	s_not_b32 s0, s12
	s_delay_alu instid0(SALU_CYCLE_1) | instskip(NEXT) | instid1(VALU_DEP_1)
	v_add3_u32 v2, s0, s16, v2
	v_dual_sub_nc_u32 v7, v2, v5 :: v_dual_add_nc_u32 v2, s5, v10
	s_delay_alu instid0(VALU_DEP_1)
	v_cmpx_lt_u32_e32 0x63, v7
	s_xor_b32 s5, exec_lo, s2
	s_cbranch_execnz .LBB8_7
; %bb.5:
	s_and_not1_saveexec_b32 s0, s5
	s_cbranch_execnz .LBB8_12
.LBB8_6:
	s_or_b32 exec_lo, exec_lo, s0
	s_delay_alu instid0(SALU_CYCLE_1)
	s_and_b32 exec_lo, exec_lo, s1
	s_cbranch_execnz .LBB8_13
	s_branch .LBB8_15
.LBB8_7:
	v_mul_lo_u32 v13, s19, v4
	s_lshl_b32 s19, s4, 2
	s_mov_b32 s20, 0
	s_sub_co_i32 s1, 0, s19
	s_cmp_lt_i32 s19, 0
	s_cselect_b32 s0, -1, 0
	s_delay_alu instid0(SALU_CYCLE_1) | instskip(SKIP_1) | instid1(VALU_DEP_1)
	s_and_b32 s2, s0, exec_lo
	s_cselect_b32 s2, s1, s19
	v_add3_u32 v4, v5, s3, v13
	s_delay_alu instid0(VALU_DEP_1) | instskip(SKIP_1) | instid1(VALU_DEP_1)
	v_mad_u32 v4, s4, v4, v10
	v_lshrrev_b32_e32 v3, 2, v7
	v_mul_lo_u32 v5, s2, v3
	s_delay_alu instid0(VALU_DEP_1) | instskip(NEXT) | instid1(VALU_DEP_1)
	v_sub_nc_u32_e32 v6, v4, v5
	v_cmp_gt_i32_e64 s1, v6, v4
	s_delay_alu instid0(VALU_DEP_1) | instskip(SKIP_1) | instid1(VALU_DEP_1)
	v_cndmask_b32_e64 v6, 0, 1, s1
	v_add_nc_u32_e32 v5, v4, v5
	v_cmp_lt_i32_e64 s1, v5, v4
	v_mul_hi_u32 v5, s2, v3
	s_delay_alu instid0(VALU_DEP_2) | instskip(NEXT) | instid1(VALU_DEP_1)
	v_cndmask_b32_e64 v4, 0, 1, s1
	v_dual_cndmask_b32 v4, v4, v6, s0 :: v_dual_bitop2_b32 v6, -4, v7 bitop3:0x40
	s_delay_alu instid0(VALU_DEP_3) | instskip(NEXT) | instid1(VALU_DEP_2)
	v_cmp_eq_u32_e64 s1, 0, v5
	v_dual_add_nc_u32 v6, v0, v6 :: v_dual_bitop2_b32 v4, 1, v4 bitop3:0x40
	s_delay_alu instid0(VALU_DEP_1) | instskip(NEXT) | instid1(VALU_DEP_2)
	v_cmp_eq_u32_e64 s0, 1, v4
	v_cmp_ge_i32_e64 s2, v6, v0
	s_xor_b32 s0, s0, -1
	s_delay_alu instid0(SALU_CYCLE_1) | instskip(SKIP_2) | instid1(SALU_CYCLE_1)
	s_and_b32 s1, s0, s1
	s_mov_b32 s0, -1
	s_and_b32 s2, s2, s1
	s_and_saveexec_b32 s1, s2
	s_cbranch_execz .LBB8_11
; %bb.8:
	v_dual_add_nc_u32 v14, 1, v3 :: v_dual_add_nc_u32 v4, v1, v10
	v_dual_cndmask_b32 v6, v11, v12 :: v_dual_mov_b32 v3, v2
	v_add_nc_u32_e32 v1, 4, v0
	s_delay_alu instid0(VALU_DEP_3) | instskip(NEXT) | instid1(VALU_DEP_3)
	v_and_b32_e32 v15, 0x7ffffffe, v14
	v_dual_mov_b32 v7, v4 :: v_dual_mov_b32 v5, v6
	s_mov_b32 s2, s16
	s_delay_alu instid0(VALU_DEP_3) | instskip(NEXT) | instid1(VALU_DEP_3)
	v_mov_b64_e32 v[8:9], v[0:1]
	v_mov_b32_e32 v16, v15
	s_mov_b32 s21, s18
	s_mov_b32 s22, s4
	;; [unrolled: 1-line block ×3, first 2 shown]
.LBB8_9:                                ; =>This Inner Loop Header: Depth=1
	s_clause 0x1
	global_load_b32 v1, v8, s[6:7] scale_offset
	global_load_b32 v17, v9, s[6:7] scale_offset
	v_mad_u32 v18, v8, s17, v6
	v_mad_u32 v19, v9, s23, v5
	v_add_nc_u32_e32 v16, -2, v16
	s_clause 0x1
	global_load_b32 v20, v18, s[10:11] scale_offset
	global_load_b32 v21, v19, s[10:11] scale_offset
	s_wait_xcnt 0x0
	v_subrev_nc_u32_e32 v19, s18, v8
	v_subrev_nc_u32_e32 v18, s21, v9
	v_add_nc_u32_e32 v9, 8, v9
	v_cmp_eq_u32_e64 s0, 0, v16
	v_add_nc_u32_e32 v8, 8, v8
	v_mad_u32 v19, v19, s4, v4
	v_mad_u32 v18, v18, s22, v7
	s_or_b32 s20, s0, s20
	s_wait_loadcnt 0x3
	v_subrev_nc_u32_e32 v1, s16, v1
	s_wait_loadcnt 0x2
	v_subrev_nc_u32_e32 v17, s2, v17
	s_delay_alu instid0(VALU_DEP_2) | instskip(NEXT) | instid1(VALU_DEP_2)
	v_mad_u32 v1, v1, s4, v2
	v_mad_u32 v17, v17, s22, v3
	global_store_b32 v19, v1, s[14:15] scale_offset
	s_wait_loadcnt 0x1
	global_store_b32 v19, v20, s[8:9] scale_offset
	global_store_b32 v18, v17, s[14:15] scale_offset
	s_wait_loadcnt 0x0
	global_store_b32 v18, v21, s[8:9] scale_offset
	s_wait_xcnt 0x0
	s_and_not1_b32 exec_lo, exec_lo, s20
	s_cbranch_execnz .LBB8_9
; %bb.10:
	s_or_b32 exec_lo, exec_lo, s20
	v_cmp_ne_u32_e64 s0, v14, v15
	v_lshl_add_u32 v0, v15, 2, v0
	s_or_not1_b32 s0, s0, exec_lo
.LBB8_11:
	s_or_b32 exec_lo, exec_lo, s1
	v_dual_mov_b32 v3, s19 :: v_dual_mov_b32 v6, s3
	s_and_b32 s1, s0, exec_lo
	s_and_not1_saveexec_b32 s0, s5
	s_cbranch_execz .LBB8_6
.LBB8_12:
	s_lshl_b32 s2, s4, 2
	s_delay_alu instid0(SALU_CYCLE_1) | instskip(SKIP_2) | instid1(SALU_CYCLE_1)
	v_dual_mov_b32 v6, s3 :: v_dual_mov_b32 v3, s2
	s_or_b32 s1, s1, exec_lo
	s_or_b32 exec_lo, exec_lo, s0
	s_and_b32 exec_lo, exec_lo, s1
	s_cbranch_execz .LBB8_15
.LBB8_13:
	v_add_nc_u32_e32 v1, s16, v0
	v_cndmask_b32_e32 v4, v11, v12, vcc_lo
	s_lshl_b32 s0, s17, 2
	s_mov_b32 s1, 0
	s_delay_alu instid0(VALU_DEP_2) | instskip(NEXT) | instid1(VALU_DEP_1)
	v_add3_u32 v1, v1, v6, v13
	v_subrev_nc_u32_e32 v5, s12, v1
	v_mad_u32 v1, v0, s17, v4
	s_delay_alu instid0(VALU_DEP_2)
	v_mad_u32 v4, s4, v5, v10
.LBB8_14:                               ; =>This Inner Loop Header: Depth=1
	global_load_b32 v5, v0, s[6:7] scale_offset
	global_load_b32 v6, v1, s[10:11] scale_offset
	s_wait_xcnt 0x0
	v_dual_add_nc_u32 v0, 4, v0 :: v_dual_add_nc_u32 v1, s0, v1
	s_delay_alu instid0(VALU_DEP_1) | instskip(SKIP_3) | instid1(VALU_DEP_1)
	v_cmp_le_i32_e32 vcc_lo, s13, v0
	s_or_b32 s1, vcc_lo, s1
	s_wait_loadcnt 0x1
	v_subrev_nc_u32_e32 v5, s16, v5
	v_mad_u32 v5, v5, s4, v2
	global_store_b32 v4, v5, s[14:15] scale_offset
	s_wait_loadcnt 0x0
	global_store_b32 v4, v6, s[8:9] scale_offset
	s_wait_xcnt 0x0
	v_add_nc_u32_e32 v4, v4, v3
	s_and_not1_b32 exec_lo, exec_lo, s1
	s_cbranch_execnz .LBB8_14
.LBB8_15:
	s_endpgm
	.section	.rodata,"a",@progbits
	.p2align	6, 0x0
	.amdhsa_kernel _ZN9rocsparseL33bsr2csr_block_per_row_8_32_kernelILj1024ELj16EiiiEEv20rocsparse_direction_T3_S2_21rocsparse_index_base_PKT1_PKT2_PKS2_S2_S3_PS4_PS7_PS2_
		.amdhsa_group_segment_fixed_size 0
		.amdhsa_private_segment_fixed_size 0
		.amdhsa_kernarg_size 72
		.amdhsa_user_sgpr_count 2
		.amdhsa_user_sgpr_dispatch_ptr 0
		.amdhsa_user_sgpr_queue_ptr 0
		.amdhsa_user_sgpr_kernarg_segment_ptr 1
		.amdhsa_user_sgpr_dispatch_id 0
		.amdhsa_user_sgpr_kernarg_preload_length 0
		.amdhsa_user_sgpr_kernarg_preload_offset 0
		.amdhsa_user_sgpr_private_segment_size 0
		.amdhsa_wavefront_size32 1
		.amdhsa_uses_dynamic_stack 0
		.amdhsa_enable_private_segment 0
		.amdhsa_system_sgpr_workgroup_id_x 1
		.amdhsa_system_sgpr_workgroup_id_y 0
		.amdhsa_system_sgpr_workgroup_id_z 0
		.amdhsa_system_sgpr_workgroup_info 0
		.amdhsa_system_vgpr_workitem_id 0
		.amdhsa_next_free_vgpr 22
		.amdhsa_next_free_sgpr 24
		.amdhsa_named_barrier_count 0
		.amdhsa_reserve_vcc 1
		.amdhsa_float_round_mode_32 0
		.amdhsa_float_round_mode_16_64 0
		.amdhsa_float_denorm_mode_32 3
		.amdhsa_float_denorm_mode_16_64 3
		.amdhsa_fp16_overflow 0
		.amdhsa_memory_ordered 1
		.amdhsa_forward_progress 1
		.amdhsa_inst_pref_size 10
		.amdhsa_round_robin_scheduling 0
		.amdhsa_exception_fp_ieee_invalid_op 0
		.amdhsa_exception_fp_denorm_src 0
		.amdhsa_exception_fp_ieee_div_zero 0
		.amdhsa_exception_fp_ieee_overflow 0
		.amdhsa_exception_fp_ieee_underflow 0
		.amdhsa_exception_fp_ieee_inexact 0
		.amdhsa_exception_int_div_zero 0
	.end_amdhsa_kernel
	.section	.text._ZN9rocsparseL33bsr2csr_block_per_row_8_32_kernelILj1024ELj16EiiiEEv20rocsparse_direction_T3_S2_21rocsparse_index_base_PKT1_PKT2_PKS2_S2_S3_PS4_PS7_PS2_,"axG",@progbits,_ZN9rocsparseL33bsr2csr_block_per_row_8_32_kernelILj1024ELj16EiiiEEv20rocsparse_direction_T3_S2_21rocsparse_index_base_PKT1_PKT2_PKS2_S2_S3_PS4_PS7_PS2_,comdat
.Lfunc_end8:
	.size	_ZN9rocsparseL33bsr2csr_block_per_row_8_32_kernelILj1024ELj16EiiiEEv20rocsparse_direction_T3_S2_21rocsparse_index_base_PKT1_PKT2_PKS2_S2_S3_PS4_PS7_PS2_, .Lfunc_end8-_ZN9rocsparseL33bsr2csr_block_per_row_8_32_kernelILj1024ELj16EiiiEEv20rocsparse_direction_T3_S2_21rocsparse_index_base_PKT1_PKT2_PKS2_S2_S3_PS4_PS7_PS2_
                                        ; -- End function
	.set _ZN9rocsparseL33bsr2csr_block_per_row_8_32_kernelILj1024ELj16EiiiEEv20rocsparse_direction_T3_S2_21rocsparse_index_base_PKT1_PKT2_PKS2_S2_S3_PS4_PS7_PS2_.num_vgpr, 22
	.set _ZN9rocsparseL33bsr2csr_block_per_row_8_32_kernelILj1024ELj16EiiiEEv20rocsparse_direction_T3_S2_21rocsparse_index_base_PKT1_PKT2_PKS2_S2_S3_PS4_PS7_PS2_.num_agpr, 0
	.set _ZN9rocsparseL33bsr2csr_block_per_row_8_32_kernelILj1024ELj16EiiiEEv20rocsparse_direction_T3_S2_21rocsparse_index_base_PKT1_PKT2_PKS2_S2_S3_PS4_PS7_PS2_.numbered_sgpr, 24
	.set _ZN9rocsparseL33bsr2csr_block_per_row_8_32_kernelILj1024ELj16EiiiEEv20rocsparse_direction_T3_S2_21rocsparse_index_base_PKT1_PKT2_PKS2_S2_S3_PS4_PS7_PS2_.num_named_barrier, 0
	.set _ZN9rocsparseL33bsr2csr_block_per_row_8_32_kernelILj1024ELj16EiiiEEv20rocsparse_direction_T3_S2_21rocsparse_index_base_PKT1_PKT2_PKS2_S2_S3_PS4_PS7_PS2_.private_seg_size, 0
	.set _ZN9rocsparseL33bsr2csr_block_per_row_8_32_kernelILj1024ELj16EiiiEEv20rocsparse_direction_T3_S2_21rocsparse_index_base_PKT1_PKT2_PKS2_S2_S3_PS4_PS7_PS2_.uses_vcc, 1
	.set _ZN9rocsparseL33bsr2csr_block_per_row_8_32_kernelILj1024ELj16EiiiEEv20rocsparse_direction_T3_S2_21rocsparse_index_base_PKT1_PKT2_PKS2_S2_S3_PS4_PS7_PS2_.uses_flat_scratch, 0
	.set _ZN9rocsparseL33bsr2csr_block_per_row_8_32_kernelILj1024ELj16EiiiEEv20rocsparse_direction_T3_S2_21rocsparse_index_base_PKT1_PKT2_PKS2_S2_S3_PS4_PS7_PS2_.has_dyn_sized_stack, 0
	.set _ZN9rocsparseL33bsr2csr_block_per_row_8_32_kernelILj1024ELj16EiiiEEv20rocsparse_direction_T3_S2_21rocsparse_index_base_PKT1_PKT2_PKS2_S2_S3_PS4_PS7_PS2_.has_recursion, 0
	.set _ZN9rocsparseL33bsr2csr_block_per_row_8_32_kernelILj1024ELj16EiiiEEv20rocsparse_direction_T3_S2_21rocsparse_index_base_PKT1_PKT2_PKS2_S2_S3_PS4_PS7_PS2_.has_indirect_call, 0
	.section	.AMDGPU.csdata,"",@progbits
; Kernel info:
; codeLenInByte = 1252
; TotalNumSgprs: 26
; NumVgprs: 22
; ScratchSize: 0
; MemoryBound: 0
; FloatMode: 240
; IeeeMode: 1
; LDSByteSize: 0 bytes/workgroup (compile time only)
; SGPRBlocks: 0
; VGPRBlocks: 1
; NumSGPRsForWavesPerEU: 26
; NumVGPRsForWavesPerEU: 22
; NamedBarCnt: 0
; Occupancy: 16
; WaveLimiterHint : 0
; COMPUTE_PGM_RSRC2:SCRATCH_EN: 0
; COMPUTE_PGM_RSRC2:USER_SGPR: 2
; COMPUTE_PGM_RSRC2:TRAP_HANDLER: 0
; COMPUTE_PGM_RSRC2:TGID_X_EN: 1
; COMPUTE_PGM_RSRC2:TGID_Y_EN: 0
; COMPUTE_PGM_RSRC2:TGID_Z_EN: 0
; COMPUTE_PGM_RSRC2:TIDIG_COMP_CNT: 0
	.section	.text._ZN9rocsparseL33bsr2csr_block_per_row_8_32_kernelILj1024ELj32EiiiEEv20rocsparse_direction_T3_S2_21rocsparse_index_base_PKT1_PKT2_PKS2_S2_S3_PS4_PS7_PS2_,"axG",@progbits,_ZN9rocsparseL33bsr2csr_block_per_row_8_32_kernelILj1024ELj32EiiiEEv20rocsparse_direction_T3_S2_21rocsparse_index_base_PKT1_PKT2_PKS2_S2_S3_PS4_PS7_PS2_,comdat
	.globl	_ZN9rocsparseL33bsr2csr_block_per_row_8_32_kernelILj1024ELj32EiiiEEv20rocsparse_direction_T3_S2_21rocsparse_index_base_PKT1_PKT2_PKS2_S2_S3_PS4_PS7_PS2_ ; -- Begin function _ZN9rocsparseL33bsr2csr_block_per_row_8_32_kernelILj1024ELj32EiiiEEv20rocsparse_direction_T3_S2_21rocsparse_index_base_PKT1_PKT2_PKS2_S2_S3_PS4_PS7_PS2_
	.p2align	8
	.type	_ZN9rocsparseL33bsr2csr_block_per_row_8_32_kernelILj1024ELj32EiiiEEv20rocsparse_direction_T3_S2_21rocsparse_index_base_PKT1_PKT2_PKS2_S2_S3_PS4_PS7_PS2_,@function
_ZN9rocsparseL33bsr2csr_block_per_row_8_32_kernelILj1024ELj32EiiiEEv20rocsparse_direction_T3_S2_21rocsparse_index_base_PKT1_PKT2_PKS2_S2_S3_PS4_PS7_PS2_: ; @_ZN9rocsparseL33bsr2csr_block_per_row_8_32_kernelILj1024ELj32EiiiEEv20rocsparse_direction_T3_S2_21rocsparse_index_base_PKT1_PKT2_PKS2_S2_S3_PS4_PS7_PS2_
; %bb.0:
	s_clause 0x1
	s_load_b64 s[2:3], s[0:1], 0x28
	s_load_b64 s[4:5], s[0:1], 0x38
	s_bfe_u32 s6, ttmp6, 0x4000c
	s_and_b32 s7, ttmp6, 15
	s_add_co_i32 s6, s6, 1
	s_getreg_b32 s8, hwreg(HW_REG_IB_STS2, 6, 4)
	s_mul_i32 s6, ttmp9, s6
	s_delay_alu instid0(SALU_CYCLE_1) | instskip(SKIP_4) | instid1(VALU_DEP_1)
	s_add_co_i32 s7, s7, s6
	s_cmp_eq_u32 s8, 0
	s_cselect_b32 s6, ttmp9, s7
	s_mov_b32 s7, exec_lo
	v_or_b32_e32 v1, s6, v0
	v_cmpx_eq_u32_e32 0, v1
	s_cbranch_execz .LBB9_2
; %bb.1:
	s_wait_kmcnt 0x0
	v_dual_mov_b32 v1, 0 :: v_dual_mov_b32 v2, s3
	global_store_b32 v1, v2, s[4:5]
.LBB9_2:
	s_wait_xcnt 0x0
	s_or_b32 exec_lo, exec_lo, s7
	v_dual_lshrrev_b32 v1, 5, v0 :: v_dual_bitop2_b32 v6, 31, v0 bitop3:0x40
	s_mov_b32 s7, exec_lo
	s_delay_alu instid0(VALU_DEP_1) | instskip(SKIP_1) | instid1(VALU_DEP_1)
	v_max_i32_e32 v0, v1, v6
	s_wait_kmcnt 0x0
	v_cmpx_gt_i32_e64 s2, v0
	s_cbranch_execz .LBB9_18
; %bb.3:
	s_clause 0x1
	s_load_b64 s[8:9], s[0:1], 0x18
	s_load_b32 s20, s[0:1], 0xc
	s_ashr_i32 s7, s6, 31
	s_mul_i32 s22, s2, s2
	s_lshl_b64 s[10:11], s[6:7], 2
	v_mad_u32 v2, s2, s6, v1
	s_wait_kmcnt 0x0
	s_add_nc_u64 s[8:9], s[8:9], s[10:11]
	s_load_b64 s[10:11], s[8:9], 0x0
	s_wait_kmcnt 0x0
	s_sub_co_i32 s12, s10, s20
	s_sub_co_i32 s21, s11, s20
	s_mul_i32 s23, s12, s22
	s_sub_co_i32 s13, s21, s12
	s_delay_alu instid0(SALU_CYCLE_1) | instskip(NEXT) | instid1(SALU_CYCLE_1)
	s_mul_i32 s7, s13, s2
	s_add_co_i32 s8, s7, s3
	s_delay_alu instid0(SALU_CYCLE_1)
	s_add_co_i32 s8, s8, s23
	s_cmp_ge_i32 s10, s11
	v_mad_u32 v0, s7, v1, s8
	global_store_b32 v2, v0, s[4:5] offset:4 scale_offset
	s_cbranch_scc1 .LBB9_18
; %bb.4:
	s_clause 0x4
	s_load_b64 s[14:15], s[0:1], 0x20
	s_load_b32 s11, s[0:1], 0x0
	s_load_b64 s[4:5], s[0:1], 0x10
	s_load_b64 s[6:7], s[0:1], 0x30
	;; [unrolled: 1-line block ×3, first 2 shown]
	v_mad_u32 v7, s2, v6, v1
	v_mad_u32 v8, s2, v1, v6
	v_mul_lo_u32 v9, v1, s13
	v_add_nc_u32_e32 v0, s3, v6
	s_wait_kmcnt 0x0
	s_cmp_eq_u32 s11, 0
	s_mov_b32 s11, 0
	s_cselect_b32 s0, -1, 0
	s_sub_co_i32 s1, s10, s20
	s_delay_alu instid0(SALU_CYCLE_1) | instskip(NEXT) | instid1(SALU_CYCLE_1)
	s_add_co_i32 s1, s1, 1
	s_max_i32 s1, s1, s21
	s_delay_alu instid0(SALU_CYCLE_1) | instskip(NEXT) | instid1(SALU_CYCLE_1)
	s_add_co_i32 s1, s20, s1
	s_sub_co_i32 s3, s1, s10
	s_delay_alu instid0(SALU_CYCLE_1)
	s_cmp_gt_u32 s3, 7
	s_cbranch_scc0 .LBB9_10
; %bb.5:
	v_mul_lo_u32 v10, v1, s13
	s_cmp_eq_u32 s2, 1
	s_cselect_b32 s11, -1, 0
	s_not_b32 s13, s10
	s_delay_alu instid0(VALU_DEP_1) | instskip(NEXT) | instid1(VALU_DEP_1)
	v_add3_u32 v1, s10, v10, v6
	v_subrev_nc_u32_e32 v1, s20, v1
	s_delay_alu instid0(VALU_DEP_1) | instskip(NEXT) | instid1(VALU_DEP_1)
	v_add3_u32 v2, s1, s13, v1
	v_cmp_ge_i32_e32 vcc_lo, v2, v1
	v_dual_mov_b32 v2, s12 :: v_dual_mov_b32 v1, s23
	s_and_b32 s13, s11, vcc_lo
	s_mov_b32 s11, -1
	s_and_saveexec_b32 s1, s13
	s_cbranch_execz .LBB9_14
; %bb.6:
	v_dual_cndmask_b32 v2, v7, v8, s0 :: v_dual_mov_b32 v1, v0
	v_add3_u32 v4, s12, v10, v6
	s_and_b32 s11, s3, -2
	s_add_co_i32 s13, s12, 1
	s_delay_alu instid0(VALU_DEP_2)
	v_mov_b32_e32 v3, v2
	s_mov_b32 s24, s20
	s_mov_b32 s25, s22
	;; [unrolled: 1-line block ×4, first 2 shown]
	s_mov_b64 s[18:19], s[12:13]
.LBB9_7:                                ; =>This Inner Loop Header: Depth=1
	s_delay_alu instid0(SALU_CYCLE_1)
	v_mad_u32 v5, s18, s22, v2
	v_mad_u32 v11, s19, s25, v3
	s_ashr_i32 s17, s16, 31
	s_add_co_i32 s26, s26, -2
	s_lshl_b64 s[28:29], s[16:17], 2
	s_add_co_i32 s19, s19, 2
	s_add_nc_u64 s[28:29], s[14:15], s[28:29]
	s_add_co_i32 s18, s18, 2
	s_add_co_i32 s16, s16, 2
	s_clause 0x1
	global_load_b32 v12, v5, s[4:5] scale_offset
	global_load_b32 v13, v11, s[4:5] scale_offset
	s_load_b64 s[30:31], s[28:29], 0x0
	s_wait_kmcnt 0x0
	s_sub_co_i32 s13, s31, s24
	s_delay_alu instid0(SALU_CYCLE_1) | instskip(SKIP_3) | instid1(VALU_DEP_2)
	v_dual_ashrrev_i32 v5, 31, v4 :: v_dual_add_nc_u32 v19, s13, v1
	s_sub_co_i32 s17, s30, s20
	s_cmp_lg_u32 s26, 0
	v_add_nc_u32_e32 v18, s17, v0
	v_lshlrev_b64_e32 v[14:15], 2, v[4:5]
	v_add_nc_u32_e32 v4, 2, v4
	s_delay_alu instid0(VALU_DEP_2)
	v_add_nc_u64_e32 v[16:17], s[8:9], v[14:15]
	v_add_nc_u64_e32 v[14:15], s[6:7], v[14:15]
	global_store_b64 v[16:17], v[18:19], off
	s_wait_loadcnt 0x0
	global_store_b64 v[14:15], v[12:13], off
	s_cbranch_scc1 .LBB9_7
; %bb.8:
	s_cmp_eq_u32 s3, s11
	s_cbranch_scc1 .LBB9_12
; %bb.9:
	s_add_co_i32 s11, s12, s11
	s_mov_b32 s3, -1
	s_mul_i32 s13, s11, s22
	s_branch .LBB9_13
.LBB9_10:
                                        ; implicit-def: $vgpr2
                                        ; implicit-def: $vgpr1
                                        ; implicit-def: $vgpr10
	s_cbranch_execnz .LBB9_15
.LBB9_11:
	v_mov_b32_e32 v9, v10
	s_and_b32 exec_lo, exec_lo, s11
	s_cbranch_execnz .LBB9_16
	s_branch .LBB9_18
.LBB9_12:
	s_mov_b32 s3, 0
                                        ; implicit-def: $sgpr11
                                        ; implicit-def: $sgpr13
.LBB9_13:
	v_dual_mov_b32 v2, s11 :: v_dual_mov_b32 v1, s13
	s_or_not1_b32 s11, s3, exec_lo
.LBB9_14:
	s_wait_xcnt 0x0
	s_or_b32 exec_lo, exec_lo, s1
	s_branch .LBB9_11
.LBB9_15:
	v_dual_mov_b32 v2, s12 :: v_dual_mov_b32 v1, s23
	s_or_b32 s11, s11, exec_lo
	s_delay_alu instid0(SALU_CYCLE_1)
	s_and_b32 exec_lo, exec_lo, s11
	s_cbranch_execz .LBB9_18
.LBB9_16:
	s_mul_i32 s1, s2, s12
	v_cndmask_b32_e64 v4, v7, v8, s0
	s_add_co_i32 s1, s1, s20
	s_mov_b32 s0, 0
	v_add3_u32 v3, s1, v2, v9
	s_delay_alu instid0(VALU_DEP_1) | instskip(NEXT) | instid1(VALU_DEP_1)
	v_subrev_nc_u32_e32 v3, s10, v3
	v_mad_u32 v6, s2, v3, v6
	v_dual_ashrrev_i32 v3, 31, v2 :: v_dual_add_nc_u32 v1, v4, v1
	s_delay_alu instid0(VALU_DEP_1)
	v_lshl_add_u64 v[4:5], v[2:3], 2, s[14:15]
.LBB9_17:                               ; =>This Inner Loop Header: Depth=1
	global_load_b32 v3, v[4:5], off
	global_load_b32 v7, v1, s[4:5] scale_offset
	s_wait_xcnt 0x0
	v_dual_add_nc_u32 v2, 1, v2 :: v_dual_add_nc_u32 v1, s22, v1
	v_add_nc_u64_e32 v[4:5], 4, v[4:5]
	s_delay_alu instid0(VALU_DEP_2) | instskip(SKIP_3) | instid1(VALU_DEP_1)
	v_cmp_le_i32_e32 vcc_lo, s21, v2
	s_or_b32 s0, vcc_lo, s0
	s_wait_loadcnt 0x1
	v_subrev_nc_u32_e32 v3, s20, v3
	v_mad_u32 v3, v3, s2, v0
	global_store_b32 v6, v3, s[8:9] scale_offset
	s_wait_loadcnt 0x0
	global_store_b32 v6, v7, s[6:7] scale_offset
	s_wait_xcnt 0x0
	v_add_nc_u32_e32 v6, s2, v6
	s_and_not1_b32 exec_lo, exec_lo, s0
	s_cbranch_execnz .LBB9_17
.LBB9_18:
	s_endpgm
	.section	.rodata,"a",@progbits
	.p2align	6, 0x0
	.amdhsa_kernel _ZN9rocsparseL33bsr2csr_block_per_row_8_32_kernelILj1024ELj32EiiiEEv20rocsparse_direction_T3_S2_21rocsparse_index_base_PKT1_PKT2_PKS2_S2_S3_PS4_PS7_PS2_
		.amdhsa_group_segment_fixed_size 0
		.amdhsa_private_segment_fixed_size 0
		.amdhsa_kernarg_size 72
		.amdhsa_user_sgpr_count 2
		.amdhsa_user_sgpr_dispatch_ptr 0
		.amdhsa_user_sgpr_queue_ptr 0
		.amdhsa_user_sgpr_kernarg_segment_ptr 1
		.amdhsa_user_sgpr_dispatch_id 0
		.amdhsa_user_sgpr_kernarg_preload_length 0
		.amdhsa_user_sgpr_kernarg_preload_offset 0
		.amdhsa_user_sgpr_private_segment_size 0
		.amdhsa_wavefront_size32 1
		.amdhsa_uses_dynamic_stack 0
		.amdhsa_enable_private_segment 0
		.amdhsa_system_sgpr_workgroup_id_x 1
		.amdhsa_system_sgpr_workgroup_id_y 0
		.amdhsa_system_sgpr_workgroup_id_z 0
		.amdhsa_system_sgpr_workgroup_info 0
		.amdhsa_system_vgpr_workitem_id 0
		.amdhsa_next_free_vgpr 20
		.amdhsa_next_free_sgpr 32
		.amdhsa_named_barrier_count 0
		.amdhsa_reserve_vcc 1
		.amdhsa_float_round_mode_32 0
		.amdhsa_float_round_mode_16_64 0
		.amdhsa_float_denorm_mode_32 3
		.amdhsa_float_denorm_mode_16_64 3
		.amdhsa_fp16_overflow 0
		.amdhsa_memory_ordered 1
		.amdhsa_forward_progress 1
		.amdhsa_inst_pref_size 8
		.amdhsa_round_robin_scheduling 0
		.amdhsa_exception_fp_ieee_invalid_op 0
		.amdhsa_exception_fp_denorm_src 0
		.amdhsa_exception_fp_ieee_div_zero 0
		.amdhsa_exception_fp_ieee_overflow 0
		.amdhsa_exception_fp_ieee_underflow 0
		.amdhsa_exception_fp_ieee_inexact 0
		.amdhsa_exception_int_div_zero 0
	.end_amdhsa_kernel
	.section	.text._ZN9rocsparseL33bsr2csr_block_per_row_8_32_kernelILj1024ELj32EiiiEEv20rocsparse_direction_T3_S2_21rocsparse_index_base_PKT1_PKT2_PKS2_S2_S3_PS4_PS7_PS2_,"axG",@progbits,_ZN9rocsparseL33bsr2csr_block_per_row_8_32_kernelILj1024ELj32EiiiEEv20rocsparse_direction_T3_S2_21rocsparse_index_base_PKT1_PKT2_PKS2_S2_S3_PS4_PS7_PS2_,comdat
.Lfunc_end9:
	.size	_ZN9rocsparseL33bsr2csr_block_per_row_8_32_kernelILj1024ELj32EiiiEEv20rocsparse_direction_T3_S2_21rocsparse_index_base_PKT1_PKT2_PKS2_S2_S3_PS4_PS7_PS2_, .Lfunc_end9-_ZN9rocsparseL33bsr2csr_block_per_row_8_32_kernelILj1024ELj32EiiiEEv20rocsparse_direction_T3_S2_21rocsparse_index_base_PKT1_PKT2_PKS2_S2_S3_PS4_PS7_PS2_
                                        ; -- End function
	.set _ZN9rocsparseL33bsr2csr_block_per_row_8_32_kernelILj1024ELj32EiiiEEv20rocsparse_direction_T3_S2_21rocsparse_index_base_PKT1_PKT2_PKS2_S2_S3_PS4_PS7_PS2_.num_vgpr, 20
	.set _ZN9rocsparseL33bsr2csr_block_per_row_8_32_kernelILj1024ELj32EiiiEEv20rocsparse_direction_T3_S2_21rocsparse_index_base_PKT1_PKT2_PKS2_S2_S3_PS4_PS7_PS2_.num_agpr, 0
	.set _ZN9rocsparseL33bsr2csr_block_per_row_8_32_kernelILj1024ELj32EiiiEEv20rocsparse_direction_T3_S2_21rocsparse_index_base_PKT1_PKT2_PKS2_S2_S3_PS4_PS7_PS2_.numbered_sgpr, 32
	.set _ZN9rocsparseL33bsr2csr_block_per_row_8_32_kernelILj1024ELj32EiiiEEv20rocsparse_direction_T3_S2_21rocsparse_index_base_PKT1_PKT2_PKS2_S2_S3_PS4_PS7_PS2_.num_named_barrier, 0
	.set _ZN9rocsparseL33bsr2csr_block_per_row_8_32_kernelILj1024ELj32EiiiEEv20rocsparse_direction_T3_S2_21rocsparse_index_base_PKT1_PKT2_PKS2_S2_S3_PS4_PS7_PS2_.private_seg_size, 0
	.set _ZN9rocsparseL33bsr2csr_block_per_row_8_32_kernelILj1024ELj32EiiiEEv20rocsparse_direction_T3_S2_21rocsparse_index_base_PKT1_PKT2_PKS2_S2_S3_PS4_PS7_PS2_.uses_vcc, 1
	.set _ZN9rocsparseL33bsr2csr_block_per_row_8_32_kernelILj1024ELj32EiiiEEv20rocsparse_direction_T3_S2_21rocsparse_index_base_PKT1_PKT2_PKS2_S2_S3_PS4_PS7_PS2_.uses_flat_scratch, 0
	.set _ZN9rocsparseL33bsr2csr_block_per_row_8_32_kernelILj1024ELj32EiiiEEv20rocsparse_direction_T3_S2_21rocsparse_index_base_PKT1_PKT2_PKS2_S2_S3_PS4_PS7_PS2_.has_dyn_sized_stack, 0
	.set _ZN9rocsparseL33bsr2csr_block_per_row_8_32_kernelILj1024ELj32EiiiEEv20rocsparse_direction_T3_S2_21rocsparse_index_base_PKT1_PKT2_PKS2_S2_S3_PS4_PS7_PS2_.has_recursion, 0
	.set _ZN9rocsparseL33bsr2csr_block_per_row_8_32_kernelILj1024ELj32EiiiEEv20rocsparse_direction_T3_S2_21rocsparse_index_base_PKT1_PKT2_PKS2_S2_S3_PS4_PS7_PS2_.has_indirect_call, 0
	.section	.AMDGPU.csdata,"",@progbits
; Kernel info:
; codeLenInByte = 988
; TotalNumSgprs: 34
; NumVgprs: 20
; ScratchSize: 0
; MemoryBound: 0
; FloatMode: 240
; IeeeMode: 1
; LDSByteSize: 0 bytes/workgroup (compile time only)
; SGPRBlocks: 0
; VGPRBlocks: 1
; NumSGPRsForWavesPerEU: 34
; NumVGPRsForWavesPerEU: 20
; NamedBarCnt: 0
; Occupancy: 16
; WaveLimiterHint : 0
; COMPUTE_PGM_RSRC2:SCRATCH_EN: 0
; COMPUTE_PGM_RSRC2:USER_SGPR: 2
; COMPUTE_PGM_RSRC2:TRAP_HANDLER: 0
; COMPUTE_PGM_RSRC2:TGID_X_EN: 1
; COMPUTE_PGM_RSRC2:TGID_Y_EN: 0
; COMPUTE_PGM_RSRC2:TGID_Z_EN: 0
; COMPUTE_PGM_RSRC2:TIDIG_COMP_CNT: 0
	.section	.text._ZN9rocsparseL35bsr2csr_block_per_row_33_256_kernelILj1024ELj64ELj32EiiiEEv20rocsparse_direction_T4_S2_21rocsparse_index_base_PKT2_PKT3_PKS2_S2_S3_PS4_PS7_PS2_,"axG",@progbits,_ZN9rocsparseL35bsr2csr_block_per_row_33_256_kernelILj1024ELj64ELj32EiiiEEv20rocsparse_direction_T4_S2_21rocsparse_index_base_PKT2_PKT3_PKS2_S2_S3_PS4_PS7_PS2_,comdat
	.globl	_ZN9rocsparseL35bsr2csr_block_per_row_33_256_kernelILj1024ELj64ELj32EiiiEEv20rocsparse_direction_T4_S2_21rocsparse_index_base_PKT2_PKT3_PKS2_S2_S3_PS4_PS7_PS2_ ; -- Begin function _ZN9rocsparseL35bsr2csr_block_per_row_33_256_kernelILj1024ELj64ELj32EiiiEEv20rocsparse_direction_T4_S2_21rocsparse_index_base_PKT2_PKT3_PKS2_S2_S3_PS4_PS7_PS2_
	.p2align	8
	.type	_ZN9rocsparseL35bsr2csr_block_per_row_33_256_kernelILj1024ELj64ELj32EiiiEEv20rocsparse_direction_T4_S2_21rocsparse_index_base_PKT2_PKT3_PKS2_S2_S3_PS4_PS7_PS2_,@function
_ZN9rocsparseL35bsr2csr_block_per_row_33_256_kernelILj1024ELj64ELj32EiiiEEv20rocsparse_direction_T4_S2_21rocsparse_index_base_PKT2_PKT3_PKS2_S2_S3_PS4_PS7_PS2_: ; @_ZN9rocsparseL35bsr2csr_block_per_row_33_256_kernelILj1024ELj64ELj32EiiiEEv20rocsparse_direction_T4_S2_21rocsparse_index_base_PKT2_PKT3_PKS2_S2_S3_PS4_PS7_PS2_
; %bb.0:
	s_load_b64 s[2:3], s[0:1], 0x18
	s_bfe_u32 s4, ttmp6, 0x4000c
	s_and_b32 s5, ttmp6, 15
	s_add_co_i32 s4, s4, 1
	s_getreg_b32 s6, hwreg(HW_REG_IB_STS2, 6, 4)
	s_mul_i32 s4, ttmp9, s4
	s_delay_alu instid0(SALU_CYCLE_1)
	s_add_co_i32 s5, s5, s4
	s_cmp_eq_u32 s6, 0
	s_cselect_b32 s10, ttmp9, s5
	s_clause 0x1
	s_load_b64 s[4:5], s[0:1], 0x28
	s_load_b64 s[8:9], s[0:1], 0x38
	s_ashr_i32 s11, s10, 31
	v_or_b32_e32 v1, s10, v0
	s_lshl_b64 s[6:7], s[10:11], 2
	s_wait_kmcnt 0x0
	s_add_nc_u64 s[2:3], s[2:3], s[6:7]
	s_load_b64 s[14:15], s[2:3], 0x0
	s_wait_xcnt 0x0
	s_mov_b32 s2, exec_lo
	v_cmpx_eq_u32_e32 0, v1
	s_cbranch_execz .LBB10_2
; %bb.1:
	v_dual_mov_b32 v1, 0 :: v_dual_mov_b32 v2, s5
	global_store_b32 v1, v2, s[8:9]
.LBB10_2:
	s_wait_xcnt 0x0
	s_or_b32 exec_lo, exec_lo, s2
	s_load_b32 s16, s[0:1], 0xc
	v_lshrrev_b32_e32 v2, 5, v0
	s_mul_i32 s10, s4, s10
	s_delay_alu instid0(VALU_DEP_1)
	v_cmp_gt_i32_e64 s2, s4, v2
	s_wait_kmcnt 0x0
	s_sub_co_i32 s6, s14, s16
	s_sub_co_i32 s17, s15, s16
	s_mul_i32 s7, s4, s6
	s_sub_co_i32 s12, s17, s6
	s_mul_i32 s3, s7, s4
	s_mul_i32 s13, s12, s4
	s_add_co_i32 s18, s3, s5
	s_delay_alu instid0(SALU_CYCLE_1)
	s_add_co_i32 s18, s18, s13
	s_and_saveexec_b32 s3, s2
	s_cbranch_execz .LBB10_4
; %bb.3:
	v_mad_u32 v1, v2, s13, s18
	v_add_nc_u32_e32 v3, s10, v2
	global_store_b32 v3, v1, s[8:9] offset:4 scale_offset
.LBB10_4:
	s_wait_xcnt 0x0
	s_or_b32 exec_lo, exec_lo, s3
	v_or_b32_e32 v1, 32, v2
	s_delay_alu instid0(VALU_DEP_1)
	v_cmp_gt_i32_e64 s3, s4, v1
	s_and_saveexec_b32 s19, s3
	s_cbranch_execz .LBB10_6
; %bb.5:
	v_mov_b32_e32 v3, 0
	s_ashr_i32 s11, s10, 31
	v_mad_u32 v1, v1, s13, s18
	s_delay_alu instid0(VALU_DEP_2) | instskip(NEXT) | instid1(VALU_DEP_1)
	v_add_nc_u64_e32 v[4:5], s[10:11], v[2:3]
	v_lshl_add_u64 v[4:5], v[4:5], 2, s[8:9]
	global_store_b32 v[4:5], v1, off offset:132
.LBB10_6:
	s_wait_xcnt 0x0
	s_or_b32 exec_lo, exec_lo, s19
	s_cmp_lt_i32 s14, s15
	s_cbranch_scc0 .LBB10_17
; %bb.7:
	s_clause 0x1
	s_load_b64 s[20:21], s[0:1], 0x20
	s_load_b32 s18, s[0:1], 0x0
	v_mad_u32 v8, v2, s12, s7
	v_dual_add_nc_u32 v3, s7, v2 :: v_dual_bitop2_b32 v0, 31, v0 bitop3:0x40
	s_clause 0x2
	s_load_b64 s[8:9], s[0:1], 0x10
	s_load_b64 s[10:11], s[0:1], 0x30
	;; [unrolled: 1-line block ×3, first 2 shown]
	v_dual_add_nc_u32 v5, s7, v0 :: v_dual_bitop2_b32 v1, 32, v0 bitop3:0x54
	v_add_nc_u32_e32 v4, 32, v3
	v_mul_lo_u32 v3, s4, v3
	s_wait_xcnt 0x0
	v_cmp_gt_i32_e64 s0, s4, v0
	v_lshl_add_u32 v6, s15, 5, v8
	v_add_nc_u32_e32 v7, 32, v5
	v_mul_lo_u32 v4, s4, v4
	v_mul_lo_u32 v5, s4, v5
	;; [unrolled: 1-line block ×3, first 2 shown]
	s_wait_kmcnt 0x0
	s_cmp_eq_u32 s18, 0
	s_cselect_b32 vcc_lo, -1, 0
	s_lshl_b32 s1, s14, 5
	s_ashr_i32 s7, s6, 31
	v_subrev_nc_u32_e32 v9, s1, v6
	v_mul_lo_u32 v6, s4, v7
	v_cmp_gt_i32_e64 s1, s4, v1
	s_lshl_b64 s[22:23], s[6:7], 2
	s_mul_i32 s14, s4, s4
	v_mul_lo_u32 v7, s4, v9
	s_and_b32 s15, s2, s0
	s_and_b32 s2, s2, s1
	;; [unrolled: 1-line block ×4, first 2 shown]
	s_add_nc_u64 s[0:1], s[20:21], s[22:23]
	s_branch .LBB10_9
.LBB10_8:                               ;   in Loop: Header=BB10_9 Depth=1
	s_wait_xcnt 0x0
	s_or_b32 exec_lo, exec_lo, s7
	v_dual_add_nc_u32 v4, s14, v4 :: v_dual_add_nc_u32 v3, s14, v3
	v_dual_add_nc_u32 v2, s14, v2 :: v_dual_add_nc_u32 v7, s4, v7
	v_add_nc_u32_e32 v8, s4, v8
	s_add_co_i32 s6, s6, 1
	s_add_nc_u64 s[0:1], s[0:1], 4
	s_cmp_ge_i32 s6, s17
	s_cbranch_scc1 .LBB10_17
.LBB10_9:                               ; =>This Inner Loop Header: Depth=1
	s_load_b32 s7, s[0:1], 0x0
	s_wait_kmcnt 0x0
	s_sub_co_i32 s7, s7, s16
	s_delay_alu instid0(SALU_CYCLE_1) | instskip(NEXT) | instid1(SALU_CYCLE_1)
	s_mul_i32 s7, s7, s4
	s_add_co_i32 s7, s7, s5
	s_delay_alu instid0(SALU_CYCLE_1)
	v_add_nc_u32_e32 v9, s7, v0
	s_and_saveexec_b32 s19, s15
	s_cbranch_execz .LBB10_11
; %bb.10:                               ;   in Loop: Header=BB10_9 Depth=1
	v_dual_add_nc_u32 v10, v0, v3 :: v_dual_add_nc_u32 v11, v5, v2
	s_delay_alu instid0(VALU_DEP_1)
	v_dual_cndmask_b32 v10, v11, v10 :: v_dual_add_nc_u32 v11, v0, v8
	global_load_b32 v10, v10, s[8:9] scale_offset
	global_store_b32 v11, v9, s[12:13] scale_offset
	s_wait_loadcnt 0x0
	global_store_b32 v11, v10, s[10:11] scale_offset
.LBB10_11:                              ;   in Loop: Header=BB10_9 Depth=1
	s_wait_xcnt 0x0
	s_or_b32 exec_lo, exec_lo, s19
	v_dual_add_nc_u32 v10, s7, v1 :: v_dual_add_nc_u32 v11, v6, v2
	s_and_saveexec_b32 s7, s2
	s_cbranch_execnz .LBB10_14
; %bb.12:                               ;   in Loop: Header=BB10_9 Depth=1
	s_or_b32 exec_lo, exec_lo, s7
	v_add_nc_u32_e32 v12, v0, v4
	s_and_saveexec_b32 s7, s18
	s_cbranch_execnz .LBB10_15
.LBB10_13:                              ;   in Loop: Header=BB10_9 Depth=1
	s_or_b32 exec_lo, exec_lo, s7
	s_and_saveexec_b32 s7, s3
	s_cbranch_execz .LBB10_8
	s_branch .LBB10_16
.LBB10_14:                              ;   in Loop: Header=BB10_9 Depth=1
	v_add3_u32 v12, v0, v3, 32
	v_add3_u32 v13, v0, v8, 32
	s_delay_alu instid0(VALU_DEP_2)
	v_cndmask_b32_e32 v12, v11, v12, vcc_lo
	global_load_b32 v12, v12, s[8:9] scale_offset
	global_store_b32 v13, v10, s[12:13] scale_offset
	s_wait_loadcnt 0x0
	global_store_b32 v13, v12, s[10:11] scale_offset
	s_wait_xcnt 0x0
	s_or_b32 exec_lo, exec_lo, s7
	v_add_nc_u32_e32 v12, v0, v4
	s_and_saveexec_b32 s7, s18
	s_cbranch_execz .LBB10_13
.LBB10_15:                              ;   in Loop: Header=BB10_9 Depth=1
	v_add3_u32 v13, v5, v2, 32
	s_delay_alu instid0(VALU_DEP_1)
	v_dual_cndmask_b32 v13, v13, v12 :: v_dual_add_nc_u32 v14, v0, v7
	global_load_b32 v13, v13, s[8:9] scale_offset
	global_store_b32 v14, v9, s[12:13] scale_offset
	s_wait_loadcnt 0x0
	global_store_b32 v14, v13, s[10:11] scale_offset
	s_wait_xcnt 0x0
	s_or_b32 exec_lo, exec_lo, s7
	s_and_saveexec_b32 s7, s3
	s_cbranch_execz .LBB10_8
.LBB10_16:                              ;   in Loop: Header=BB10_9 Depth=1
	v_cndmask_b32_e32 v9, v11, v12, vcc_lo
	v_add3_u32 v11, v0, v7, 32
	s_delay_alu instid0(VALU_DEP_2)
	v_add_nc_u32_e32 v9, 32, v9
	global_load_b32 v9, v9, s[8:9] scale_offset
	global_store_b32 v11, v10, s[12:13] scale_offset
	s_wait_loadcnt 0x0
	global_store_b32 v11, v9, s[10:11] scale_offset
	s_branch .LBB10_8
.LBB10_17:
	s_endpgm
	.section	.rodata,"a",@progbits
	.p2align	6, 0x0
	.amdhsa_kernel _ZN9rocsparseL35bsr2csr_block_per_row_33_256_kernelILj1024ELj64ELj32EiiiEEv20rocsparse_direction_T4_S2_21rocsparse_index_base_PKT2_PKT3_PKS2_S2_S3_PS4_PS7_PS2_
		.amdhsa_group_segment_fixed_size 0
		.amdhsa_private_segment_fixed_size 0
		.amdhsa_kernarg_size 72
		.amdhsa_user_sgpr_count 2
		.amdhsa_user_sgpr_dispatch_ptr 0
		.amdhsa_user_sgpr_queue_ptr 0
		.amdhsa_user_sgpr_kernarg_segment_ptr 1
		.amdhsa_user_sgpr_dispatch_id 0
		.amdhsa_user_sgpr_kernarg_preload_length 0
		.amdhsa_user_sgpr_kernarg_preload_offset 0
		.amdhsa_user_sgpr_private_segment_size 0
		.amdhsa_wavefront_size32 1
		.amdhsa_uses_dynamic_stack 0
		.amdhsa_enable_private_segment 0
		.amdhsa_system_sgpr_workgroup_id_x 1
		.amdhsa_system_sgpr_workgroup_id_y 0
		.amdhsa_system_sgpr_workgroup_id_z 0
		.amdhsa_system_sgpr_workgroup_info 0
		.amdhsa_system_vgpr_workitem_id 0
		.amdhsa_next_free_vgpr 15
		.amdhsa_next_free_sgpr 24
		.amdhsa_named_barrier_count 0
		.amdhsa_reserve_vcc 1
		.amdhsa_float_round_mode_32 0
		.amdhsa_float_round_mode_16_64 0
		.amdhsa_float_denorm_mode_32 3
		.amdhsa_float_denorm_mode_16_64 3
		.amdhsa_fp16_overflow 0
		.amdhsa_memory_ordered 1
		.amdhsa_forward_progress 1
		.amdhsa_inst_pref_size 8
		.amdhsa_round_robin_scheduling 0
		.amdhsa_exception_fp_ieee_invalid_op 0
		.amdhsa_exception_fp_denorm_src 0
		.amdhsa_exception_fp_ieee_div_zero 0
		.amdhsa_exception_fp_ieee_overflow 0
		.amdhsa_exception_fp_ieee_underflow 0
		.amdhsa_exception_fp_ieee_inexact 0
		.amdhsa_exception_int_div_zero 0
	.end_amdhsa_kernel
	.section	.text._ZN9rocsparseL35bsr2csr_block_per_row_33_256_kernelILj1024ELj64ELj32EiiiEEv20rocsparse_direction_T4_S2_21rocsparse_index_base_PKT2_PKT3_PKS2_S2_S3_PS4_PS7_PS2_,"axG",@progbits,_ZN9rocsparseL35bsr2csr_block_per_row_33_256_kernelILj1024ELj64ELj32EiiiEEv20rocsparse_direction_T4_S2_21rocsparse_index_base_PKT2_PKT3_PKS2_S2_S3_PS4_PS7_PS2_,comdat
.Lfunc_end10:
	.size	_ZN9rocsparseL35bsr2csr_block_per_row_33_256_kernelILj1024ELj64ELj32EiiiEEv20rocsparse_direction_T4_S2_21rocsparse_index_base_PKT2_PKT3_PKS2_S2_S3_PS4_PS7_PS2_, .Lfunc_end10-_ZN9rocsparseL35bsr2csr_block_per_row_33_256_kernelILj1024ELj64ELj32EiiiEEv20rocsparse_direction_T4_S2_21rocsparse_index_base_PKT2_PKT3_PKS2_S2_S3_PS4_PS7_PS2_
                                        ; -- End function
	.set _ZN9rocsparseL35bsr2csr_block_per_row_33_256_kernelILj1024ELj64ELj32EiiiEEv20rocsparse_direction_T4_S2_21rocsparse_index_base_PKT2_PKT3_PKS2_S2_S3_PS4_PS7_PS2_.num_vgpr, 15
	.set _ZN9rocsparseL35bsr2csr_block_per_row_33_256_kernelILj1024ELj64ELj32EiiiEEv20rocsparse_direction_T4_S2_21rocsparse_index_base_PKT2_PKT3_PKS2_S2_S3_PS4_PS7_PS2_.num_agpr, 0
	.set _ZN9rocsparseL35bsr2csr_block_per_row_33_256_kernelILj1024ELj64ELj32EiiiEEv20rocsparse_direction_T4_S2_21rocsparse_index_base_PKT2_PKT3_PKS2_S2_S3_PS4_PS7_PS2_.numbered_sgpr, 24
	.set _ZN9rocsparseL35bsr2csr_block_per_row_33_256_kernelILj1024ELj64ELj32EiiiEEv20rocsparse_direction_T4_S2_21rocsparse_index_base_PKT2_PKT3_PKS2_S2_S3_PS4_PS7_PS2_.num_named_barrier, 0
	.set _ZN9rocsparseL35bsr2csr_block_per_row_33_256_kernelILj1024ELj64ELj32EiiiEEv20rocsparse_direction_T4_S2_21rocsparse_index_base_PKT2_PKT3_PKS2_S2_S3_PS4_PS7_PS2_.private_seg_size, 0
	.set _ZN9rocsparseL35bsr2csr_block_per_row_33_256_kernelILj1024ELj64ELj32EiiiEEv20rocsparse_direction_T4_S2_21rocsparse_index_base_PKT2_PKT3_PKS2_S2_S3_PS4_PS7_PS2_.uses_vcc, 1
	.set _ZN9rocsparseL35bsr2csr_block_per_row_33_256_kernelILj1024ELj64ELj32EiiiEEv20rocsparse_direction_T4_S2_21rocsparse_index_base_PKT2_PKT3_PKS2_S2_S3_PS4_PS7_PS2_.uses_flat_scratch, 0
	.set _ZN9rocsparseL35bsr2csr_block_per_row_33_256_kernelILj1024ELj64ELj32EiiiEEv20rocsparse_direction_T4_S2_21rocsparse_index_base_PKT2_PKT3_PKS2_S2_S3_PS4_PS7_PS2_.has_dyn_sized_stack, 0
	.set _ZN9rocsparseL35bsr2csr_block_per_row_33_256_kernelILj1024ELj64ELj32EiiiEEv20rocsparse_direction_T4_S2_21rocsparse_index_base_PKT2_PKT3_PKS2_S2_S3_PS4_PS7_PS2_.has_recursion, 0
	.set _ZN9rocsparseL35bsr2csr_block_per_row_33_256_kernelILj1024ELj64ELj32EiiiEEv20rocsparse_direction_T4_S2_21rocsparse_index_base_PKT2_PKT3_PKS2_S2_S3_PS4_PS7_PS2_.has_indirect_call, 0
	.section	.AMDGPU.csdata,"",@progbits
; Kernel info:
; codeLenInByte = 1000
; TotalNumSgprs: 26
; NumVgprs: 15
; ScratchSize: 0
; MemoryBound: 0
; FloatMode: 240
; IeeeMode: 1
; LDSByteSize: 0 bytes/workgroup (compile time only)
; SGPRBlocks: 0
; VGPRBlocks: 0
; NumSGPRsForWavesPerEU: 26
; NumVGPRsForWavesPerEU: 15
; NamedBarCnt: 0
; Occupancy: 16
; WaveLimiterHint : 1
; COMPUTE_PGM_RSRC2:SCRATCH_EN: 0
; COMPUTE_PGM_RSRC2:USER_SGPR: 2
; COMPUTE_PGM_RSRC2:TRAP_HANDLER: 0
; COMPUTE_PGM_RSRC2:TGID_X_EN: 1
; COMPUTE_PGM_RSRC2:TGID_Y_EN: 0
; COMPUTE_PGM_RSRC2:TGID_Z_EN: 0
; COMPUTE_PGM_RSRC2:TIDIG_COMP_CNT: 0
	.section	.text._ZN9rocsparseL35bsr2csr_block_per_row_33_256_kernelILj1024ELj128ELj32EiiiEEv20rocsparse_direction_T4_S2_21rocsparse_index_base_PKT2_PKT3_PKS2_S2_S3_PS4_PS7_PS2_,"axG",@progbits,_ZN9rocsparseL35bsr2csr_block_per_row_33_256_kernelILj1024ELj128ELj32EiiiEEv20rocsparse_direction_T4_S2_21rocsparse_index_base_PKT2_PKT3_PKS2_S2_S3_PS4_PS7_PS2_,comdat
	.globl	_ZN9rocsparseL35bsr2csr_block_per_row_33_256_kernelILj1024ELj128ELj32EiiiEEv20rocsparse_direction_T4_S2_21rocsparse_index_base_PKT2_PKT3_PKS2_S2_S3_PS4_PS7_PS2_ ; -- Begin function _ZN9rocsparseL35bsr2csr_block_per_row_33_256_kernelILj1024ELj128ELj32EiiiEEv20rocsparse_direction_T4_S2_21rocsparse_index_base_PKT2_PKT3_PKS2_S2_S3_PS4_PS7_PS2_
	.p2align	8
	.type	_ZN9rocsparseL35bsr2csr_block_per_row_33_256_kernelILj1024ELj128ELj32EiiiEEv20rocsparse_direction_T4_S2_21rocsparse_index_base_PKT2_PKT3_PKS2_S2_S3_PS4_PS7_PS2_,@function
_ZN9rocsparseL35bsr2csr_block_per_row_33_256_kernelILj1024ELj128ELj32EiiiEEv20rocsparse_direction_T4_S2_21rocsparse_index_base_PKT2_PKT3_PKS2_S2_S3_PS4_PS7_PS2_: ; @_ZN9rocsparseL35bsr2csr_block_per_row_33_256_kernelILj1024ELj128ELj32EiiiEEv20rocsparse_direction_T4_S2_21rocsparse_index_base_PKT2_PKT3_PKS2_S2_S3_PS4_PS7_PS2_
; %bb.0:
	s_load_b64 s[4:5], s[0:1], 0x18
	s_bfe_u32 s2, ttmp6, 0x4000c
	s_and_b32 s3, ttmp6, 15
	s_add_co_i32 s2, s2, 1
	s_getreg_b32 s6, hwreg(HW_REG_IB_STS2, 6, 4)
	s_mul_i32 s2, ttmp9, s2
	s_delay_alu instid0(SALU_CYCLE_1)
	s_add_co_i32 s3, s3, s2
	s_cmp_eq_u32 s6, 0
	s_clause 0x1
	s_load_b64 s[8:9], s[0:1], 0x28
	s_load_b64 s[6:7], s[0:1], 0x38
	s_cselect_b32 s2, ttmp9, s3
	s_delay_alu instid0(SALU_CYCLE_1)
	s_ashr_i32 s3, s2, 31
	v_or_b32_e32 v1, s2, v0
	s_lshl_b64 s[10:11], s[2:3], 2
	s_mov_b32 s3, exec_lo
	s_wait_kmcnt 0x0
	s_add_nc_u64 s[4:5], s[4:5], s[10:11]
	s_load_b64 s[18:19], s[4:5], 0x0
	v_cmpx_eq_u32_e32 0, v1
	s_cbranch_execz .LBB11_2
; %bb.1:
	v_dual_mov_b32 v1, 0 :: v_dual_mov_b32 v2, s9
	global_store_b32 v1, v2, s[6:7]
.LBB11_2:
	s_wait_xcnt 0x0
	s_or_b32 exec_lo, exec_lo, s3
	s_load_b32 s22, s[0:1], 0xc
	v_lshrrev_b32_e32 v2, 5, v0
	s_mul_i32 s12, s8, s2
	s_delay_alu instid0(VALU_DEP_1)
	v_cmp_gt_i32_e64 s4, s8, v2
	s_wait_kmcnt 0x0
	s_sub_co_i32 s10, s18, s22
	s_sub_co_i32 s23, s19, s22
	s_mul_i32 s11, s8, s10
	s_sub_co_i32 s34, s23, s10
	s_mul_i32 s3, s11, s8
	s_mul_i32 s14, s34, s8
	s_add_co_i32 s15, s3, s9
	s_delay_alu instid0(SALU_CYCLE_1)
	s_add_co_i32 s15, s15, s14
	s_and_saveexec_b32 s2, s4
	s_cbranch_execz .LBB11_4
; %bb.3:
	v_mad_u32 v1, v2, s14, s15
	v_add_nc_u32_e32 v3, s12, v2
	global_store_b32 v3, v1, s[6:7] offset:4 scale_offset
.LBB11_4:
	s_wait_xcnt 0x0
	s_or_b32 exec_lo, exec_lo, s2
	v_or_b32_e32 v1, 32, v2
	s_delay_alu instid0(VALU_DEP_1)
	v_cmp_gt_i32_e64 s5, s8, v1
	s_and_saveexec_b32 s2, s5
	s_cbranch_execz .LBB11_6
; %bb.5:
	v_mov_b32_e32 v3, 0
	s_ashr_i32 s13, s12, 31
	v_mad_u32 v1, v1, s14, s15
	s_delay_alu instid0(VALU_DEP_2) | instskip(NEXT) | instid1(VALU_DEP_1)
	v_add_nc_u64_e32 v[4:5], s[12:13], v[2:3]
	v_lshl_add_u64 v[4:5], v[4:5], 2, s[6:7]
	global_store_b32 v[4:5], v1, off offset:132
.LBB11_6:
	s_wait_xcnt 0x0
	s_or_b32 exec_lo, exec_lo, s2
	v_or_b32_e32 v1, 64, v2
	s_delay_alu instid0(VALU_DEP_1)
	v_cmp_gt_i32_e64 s2, s8, v1
	s_and_saveexec_b32 s3, s2
	s_cbranch_execz .LBB11_8
; %bb.7:
	v_mov_b32_e32 v3, 0
	s_ashr_i32 s13, s12, 31
	v_mad_u32 v1, v1, s14, s15
	s_delay_alu instid0(VALU_DEP_2) | instskip(NEXT) | instid1(VALU_DEP_1)
	v_add_nc_u64_e32 v[4:5], s[12:13], v[2:3]
	v_lshl_add_u64 v[4:5], v[4:5], 2, s[6:7]
	global_store_b32 v[4:5], v1, off offset:260
.LBB11_8:
	;; [unrolled: 16-line block ×3, first 2 shown]
	s_wait_xcnt 0x0
	s_or_b32 exec_lo, exec_lo, s16
	s_cmp_lt_i32 s18, s19
	s_cbranch_scc0 .LBB11_45
; %bb.11:
	s_clause 0x1
	s_load_b64 s[20:21], s[0:1], 0x20
	s_load_b32 s7, s[0:1], 0x0
	v_mad_u32 v15, v2, s34, s11
	v_dual_add_nc_u32 v8, s11, v2 :: v_dual_bitop2_b32 v0, 31, v0 bitop3:0x40
	s_clause 0x2
	s_load_b64 s[12:13], s[0:1], 0x10
	s_load_b64 s[14:15], s[0:1], 0x30
	;; [unrolled: 1-line block ×3, first 2 shown]
	s_mul_i32 s24, s8, s8
	s_mov_b32 s25, 0
	v_dual_add_nc_u32 v12, s11, v0 :: v_dual_bitop2_b32 v1, 32, v0 bitop3:0x54
	v_dual_add_nc_u32 v5, 32, v8 :: v_dual_add_nc_u32 v6, 64, v8
	v_add_nc_u32_e32 v7, 0x60, v8
	v_mad_u32 v11, 0x60, s19, v15
	v_lshl_add_u32 v13, s19, 5, v15
	v_lshl_add_u32 v14, s19, 6, v15
	v_add_nc_u32_e32 v9, 0x60, v12
	v_dual_add_nc_u32 v10, 64, v12 :: v_dual_add_nc_u32 v16, 32, v12
	v_or_b32_e32 v3, 64, v0
	v_or_b32_e32 v4, 0x60, v0
	s_wait_kmcnt 0x0
	s_cmp_eq_u32 s7, 0
	v_mul_lo_u32 v5, s8, v5
	s_cselect_b32 vcc_lo, -1, 0
	s_lshl_b32 s11, s18, 5
	v_mul_lo_u32 v6, s8, v6
	v_subrev_nc_u32_e32 v13, s11, v13
	s_lshl_b32 s11, s18, 6
	s_mulk_i32 s18, 0x60
	v_subrev_nc_u32_e32 v14, s11, v14
	v_subrev_nc_u32_e32 v17, s18, v11
	v_mul_lo_u32 v7, s8, v7
	v_mul_lo_u32 v8, s8, v8
	v_mad_u32 v9, s8, v9, v2
	v_mad_u32 v10, s8, v10, v2
	;; [unrolled: 1-line block ×4, first 2 shown]
	v_mul_lo_u32 v12, s8, v13
	v_mul_lo_u32 v13, s8, v14
	;; [unrolled: 1-line block ×4, first 2 shown]
	v_cmp_gt_i32_e64 s0, s8, v0
	v_cmp_gt_i32_e64 s1, s8, v1
	;; [unrolled: 1-line block ×4, first 2 shown]
	s_ashr_i32 s11, s10, 31
	s_and_b32 s26, s4, s0
	s_and_b32 s27, s4, s1
	;; [unrolled: 1-line block ×8, first 2 shown]
	s_lshl_b64 s[0:1], s[10:11], 2
	s_and_b32 s28, s4, s6
	s_and_b32 s4, s4, s7
	;; [unrolled: 1-line block ×8, first 2 shown]
	s_add_nc_u64 s[0:1], s[20:21], s[0:1]
	s_branch .LBB11_13
.LBB11_12:                              ;   in Loop: Header=BB11_13 Depth=1
	s_wait_xcnt 0x0
	s_or_b32 exec_lo, exec_lo, s7
	v_dual_add_nc_u32 v5, s24, v5 :: v_dual_add_nc_u32 v6, s24, v6
	v_dual_add_nc_u32 v7, s24, v7 :: v_dual_add_nc_u32 v8, s24, v8
	;; [unrolled: 1-line block ×4, first 2 shown]
	s_add_co_i32 s10, s10, 1
	s_add_co_i32 s25, s25, s24
	s_cmp_ge_i32 s10, s23
	s_add_nc_u64 s[0:1], s[0:1], 4
	s_cbranch_scc1 .LBB11_45
.LBB11_13:                              ; =>This Inner Loop Header: Depth=1
	s_load_b32 s7, s[0:1], 0x0
	s_wait_kmcnt 0x0
	s_sub_co_i32 s7, s7, s22
	s_delay_alu instid0(SALU_CYCLE_1) | instskip(NEXT) | instid1(SALU_CYCLE_1)
	s_mul_i32 s7, s7, s8
	s_add_co_i32 s7, s7, s9
	s_delay_alu instid0(SALU_CYCLE_1)
	v_add_nc_u32_e32 v16, s7, v0
	s_and_saveexec_b32 s11, s26
	s_cbranch_execz .LBB11_15
; %bb.14:                               ;   in Loop: Header=BB11_13 Depth=1
	v_dual_add_nc_u32 v17, v0, v8 :: v_dual_add_nc_u32 v18, s25, v2
	s_delay_alu instid0(VALU_DEP_1)
	v_dual_cndmask_b32 v17, v18, v17 :: v_dual_add_nc_u32 v18, v0, v15
	global_load_b32 v17, v17, s[12:13] scale_offset
	global_store_b32 v18, v16, s[16:17] scale_offset
	s_wait_loadcnt 0x0
	global_store_b32 v18, v17, s[14:15] scale_offset
.LBB11_15:                              ;   in Loop: Header=BB11_13 Depth=1
	s_wait_xcnt 0x0
	s_or_b32 exec_lo, exec_lo, s11
	v_dual_add_nc_u32 v17, s7, v1 :: v_dual_add_nc_u32 v22, s25, v11
	s_and_saveexec_b32 s11, s27
	s_cbranch_execz .LBB11_17
; %bb.16:                               ;   in Loop: Header=BB11_13 Depth=1
	v_add3_u32 v18, v0, v8, 32
	v_add3_u32 v19, v0, v15, 32
	s_delay_alu instid0(VALU_DEP_2)
	v_cndmask_b32_e32 v18, v22, v18, vcc_lo
	global_load_b32 v18, v18, s[12:13] scale_offset
	global_store_b32 v19, v17, s[16:17] scale_offset
	s_wait_loadcnt 0x0
	global_store_b32 v19, v18, s[14:15] scale_offset
.LBB11_17:                              ;   in Loop: Header=BB11_13 Depth=1
	s_wait_xcnt 0x0
	s_or_b32 exec_lo, exec_lo, s11
	v_dual_add_nc_u32 v18, s7, v3 :: v_dual_add_nc_u32 v21, s25, v10
	s_and_saveexec_b32 s11, s28
	s_cbranch_execz .LBB11_19
; %bb.18:                               ;   in Loop: Header=BB11_13 Depth=1
	v_add3_u32 v19, v0, v8, 64
	v_add3_u32 v20, v0, v15, 64
	s_delay_alu instid0(VALU_DEP_2)
	v_cndmask_b32_e32 v19, v21, v19, vcc_lo
	global_load_b32 v19, v19, s[12:13] scale_offset
	global_store_b32 v20, v18, s[16:17] scale_offset
	s_wait_loadcnt 0x0
	global_store_b32 v20, v19, s[14:15] scale_offset
.LBB11_19:                              ;   in Loop: Header=BB11_13 Depth=1
	s_wait_xcnt 0x0
	s_or_b32 exec_lo, exec_lo, s11
	v_dual_add_nc_u32 v19, s7, v4 :: v_dual_add_nc_u32 v20, s25, v9
	s_and_saveexec_b32 s7, s4
	s_cbranch_execnz .LBB11_32
; %bb.20:                               ;   in Loop: Header=BB11_13 Depth=1
	s_or_b32 exec_lo, exec_lo, s7
	v_add_nc_u32_e32 v23, v0, v5
	s_and_saveexec_b32 s7, s29
	s_cbranch_execnz .LBB11_33
.LBB11_21:                              ;   in Loop: Header=BB11_13 Depth=1
	s_or_b32 exec_lo, exec_lo, s7
	s_and_saveexec_b32 s7, s30
	s_cbranch_execnz .LBB11_34
.LBB11_22:                              ;   in Loop: Header=BB11_13 Depth=1
	s_or_b32 exec_lo, exec_lo, s7
	s_and_saveexec_b32 s7, s31
	s_cbranch_execnz .LBB11_35
.LBB11_23:                              ;   in Loop: Header=BB11_13 Depth=1
	s_or_b32 exec_lo, exec_lo, s7
	s_and_saveexec_b32 s7, s5
	s_cbranch_execnz .LBB11_36
.LBB11_24:                              ;   in Loop: Header=BB11_13 Depth=1
	s_or_b32 exec_lo, exec_lo, s7
	v_add_nc_u32_e32 v22, v0, v6
	s_and_saveexec_b32 s7, s33
	s_cbranch_execnz .LBB11_37
.LBB11_25:                              ;   in Loop: Header=BB11_13 Depth=1
	s_or_b32 exec_lo, exec_lo, s7
	s_and_saveexec_b32 s7, s34
	s_cbranch_execnz .LBB11_38
.LBB11_26:                              ;   in Loop: Header=BB11_13 Depth=1
	s_or_b32 exec_lo, exec_lo, s7
	s_and_saveexec_b32 s7, s18
	s_cbranch_execnz .LBB11_39
.LBB11_27:                              ;   in Loop: Header=BB11_13 Depth=1
	s_or_b32 exec_lo, exec_lo, s7
	s_and_saveexec_b32 s7, s2
	s_cbranch_execnz .LBB11_40
.LBB11_28:                              ;   in Loop: Header=BB11_13 Depth=1
	s_or_b32 exec_lo, exec_lo, s7
	v_add_nc_u32_e32 v21, v0, v7
	s_and_saveexec_b32 s7, s19
	s_cbranch_execnz .LBB11_41
.LBB11_29:                              ;   in Loop: Header=BB11_13 Depth=1
	s_or_b32 exec_lo, exec_lo, s7
	s_and_saveexec_b32 s7, s35
	s_cbranch_execnz .LBB11_42
.LBB11_30:                              ;   in Loop: Header=BB11_13 Depth=1
	s_or_b32 exec_lo, exec_lo, s7
	s_and_saveexec_b32 s7, s6
	s_cbranch_execnz .LBB11_43
.LBB11_31:                              ;   in Loop: Header=BB11_13 Depth=1
	s_or_b32 exec_lo, exec_lo, s7
	s_and_saveexec_b32 s7, s3
	s_cbranch_execz .LBB11_12
	s_branch .LBB11_44
.LBB11_32:                              ;   in Loop: Header=BB11_13 Depth=1
	v_add3_u32 v23, v0, v8, 0x60
	v_add3_u32 v24, v0, v15, 0x60
	s_delay_alu instid0(VALU_DEP_2)
	v_cndmask_b32_e32 v23, v20, v23, vcc_lo
	global_load_b32 v23, v23, s[12:13] scale_offset
	global_store_b32 v24, v19, s[16:17] scale_offset
	s_wait_loadcnt 0x0
	global_store_b32 v24, v23, s[14:15] scale_offset
	s_wait_xcnt 0x0
	s_or_b32 exec_lo, exec_lo, s7
	v_add_nc_u32_e32 v23, v0, v5
	s_and_saveexec_b32 s7, s29
	s_cbranch_execz .LBB11_21
.LBB11_33:                              ;   in Loop: Header=BB11_13 Depth=1
	v_add3_u32 v24, v2, s25, 32
	v_add_nc_u32_e32 v25, v0, v12
	s_delay_alu instid0(VALU_DEP_2)
	v_cndmask_b32_e32 v24, v24, v23, vcc_lo
	global_load_b32 v24, v24, s[12:13] scale_offset
	global_store_b32 v25, v16, s[16:17] scale_offset
	s_wait_loadcnt 0x0
	global_store_b32 v25, v24, s[14:15] scale_offset
	s_wait_xcnt 0x0
	s_or_b32 exec_lo, exec_lo, s7
	s_and_saveexec_b32 s7, s30
	s_cbranch_execz .LBB11_22
.LBB11_34:                              ;   in Loop: Header=BB11_13 Depth=1
	v_cndmask_b32_e32 v22, v22, v23, vcc_lo
	v_add3_u32 v23, v0, v12, 32
	s_delay_alu instid0(VALU_DEP_2)
	v_add_nc_u32_e32 v22, 32, v22
	global_load_b32 v22, v22, s[12:13] scale_offset
	global_store_b32 v23, v17, s[16:17] scale_offset
	s_wait_loadcnt 0x0
	global_store_b32 v23, v22, s[14:15] scale_offset
	s_wait_xcnt 0x0
	s_or_b32 exec_lo, exec_lo, s7
	s_and_saveexec_b32 s7, s31
	s_cbranch_execz .LBB11_23
.LBB11_35:                              ;   in Loop: Header=BB11_13 Depth=1
	v_add3_u32 v22, v0, v5, 64
	v_add3_u32 v23, v10, s25, 32
	s_delay_alu instid0(VALU_DEP_1)
	v_cndmask_b32_e32 v22, v23, v22, vcc_lo
	v_add3_u32 v23, v0, v12, 64
	global_load_b32 v22, v22, s[12:13] scale_offset
	global_store_b32 v23, v18, s[16:17] scale_offset
	s_wait_loadcnt 0x0
	global_store_b32 v23, v22, s[14:15] scale_offset
	s_wait_xcnt 0x0
	s_or_b32 exec_lo, exec_lo, s7
	s_and_saveexec_b32 s7, s5
	s_cbranch_execz .LBB11_24
.LBB11_36:                              ;   in Loop: Header=BB11_13 Depth=1
	v_add3_u32 v22, v0, v5, 0x60
	v_add3_u32 v23, v9, s25, 32
	s_delay_alu instid0(VALU_DEP_1)
	v_cndmask_b32_e32 v22, v23, v22, vcc_lo
	v_add3_u32 v23, v0, v12, 0x60
	global_load_b32 v22, v22, s[12:13] scale_offset
	global_store_b32 v23, v19, s[16:17] scale_offset
	s_wait_loadcnt 0x0
	global_store_b32 v23, v22, s[14:15] scale_offset
	s_wait_xcnt 0x0
	s_or_b32 exec_lo, exec_lo, s7
	v_add_nc_u32_e32 v22, v0, v6
	s_and_saveexec_b32 s7, s33
	s_cbranch_execz .LBB11_25
.LBB11_37:                              ;   in Loop: Header=BB11_13 Depth=1
	v_add3_u32 v23, v2, s25, 64
	s_delay_alu instid0(VALU_DEP_1)
	v_dual_cndmask_b32 v23, v23, v22 :: v_dual_add_nc_u32 v24, v0, v13
	global_load_b32 v23, v23, s[12:13] scale_offset
	global_store_b32 v24, v16, s[16:17] scale_offset
	s_wait_loadcnt 0x0
	global_store_b32 v24, v23, s[14:15] scale_offset
	s_wait_xcnt 0x0
	s_or_b32 exec_lo, exec_lo, s7
	s_and_saveexec_b32 s7, s34
	s_cbranch_execz .LBB11_26
.LBB11_38:                              ;   in Loop: Header=BB11_13 Depth=1
	v_add3_u32 v23, v0, v6, 32
	v_add3_u32 v24, v11, s25, 64
	s_delay_alu instid0(VALU_DEP_1)
	v_cndmask_b32_e32 v23, v24, v23, vcc_lo
	v_add3_u32 v24, v0, v13, 32
	global_load_b32 v23, v23, s[12:13] scale_offset
	global_store_b32 v24, v17, s[16:17] scale_offset
	s_wait_loadcnt 0x0
	global_store_b32 v24, v23, s[14:15] scale_offset
	s_wait_xcnt 0x0
	s_or_b32 exec_lo, exec_lo, s7
	s_and_saveexec_b32 s7, s18
	s_cbranch_execz .LBB11_27
.LBB11_39:                              ;   in Loop: Header=BB11_13 Depth=1
	v_cndmask_b32_e32 v21, v21, v22, vcc_lo
	v_add3_u32 v22, v0, v13, 64
	s_delay_alu instid0(VALU_DEP_2)
	v_add_nc_u32_e32 v21, 64, v21
	global_load_b32 v21, v21, s[12:13] scale_offset
	global_store_b32 v22, v18, s[16:17] scale_offset
	s_wait_loadcnt 0x0
	global_store_b32 v22, v21, s[14:15] scale_offset
	s_wait_xcnt 0x0
	s_or_b32 exec_lo, exec_lo, s7
	s_and_saveexec_b32 s7, s2
	s_cbranch_execz .LBB11_28
.LBB11_40:                              ;   in Loop: Header=BB11_13 Depth=1
	v_add3_u32 v21, v0, v6, 0x60
	v_add3_u32 v22, v9, s25, 64
	s_delay_alu instid0(VALU_DEP_1)
	v_cndmask_b32_e32 v21, v22, v21, vcc_lo
	v_add3_u32 v22, v0, v13, 0x60
	global_load_b32 v21, v21, s[12:13] scale_offset
	global_store_b32 v22, v19, s[16:17] scale_offset
	s_wait_loadcnt 0x0
	global_store_b32 v22, v21, s[14:15] scale_offset
	s_wait_xcnt 0x0
	s_or_b32 exec_lo, exec_lo, s7
	v_add_nc_u32_e32 v21, v0, v7
	s_and_saveexec_b32 s7, s19
	s_cbranch_execz .LBB11_29
.LBB11_41:                              ;   in Loop: Header=BB11_13 Depth=1
	v_add3_u32 v22, v2, s25, 0x60
	s_delay_alu instid0(VALU_DEP_1)
	v_dual_cndmask_b32 v22, v22, v21 :: v_dual_add_nc_u32 v23, v0, v14
	global_load_b32 v22, v22, s[12:13] scale_offset
	global_store_b32 v23, v16, s[16:17] scale_offset
	s_wait_loadcnt 0x0
	global_store_b32 v23, v22, s[14:15] scale_offset
	s_wait_xcnt 0x0
	s_or_b32 exec_lo, exec_lo, s7
	s_and_saveexec_b32 s7, s35
	s_cbranch_execz .LBB11_30
.LBB11_42:                              ;   in Loop: Header=BB11_13 Depth=1
	v_add3_u32 v16, v0, v7, 32
	v_add3_u32 v22, v11, s25, 0x60
	s_delay_alu instid0(VALU_DEP_1)
	v_cndmask_b32_e32 v16, v22, v16, vcc_lo
	v_add3_u32 v22, v0, v14, 32
	global_load_b32 v16, v16, s[12:13] scale_offset
	global_store_b32 v22, v17, s[16:17] scale_offset
	s_wait_loadcnt 0x0
	global_store_b32 v22, v16, s[14:15] scale_offset
	s_wait_xcnt 0x0
	s_or_b32 exec_lo, exec_lo, s7
	s_and_saveexec_b32 s7, s6
	s_cbranch_execz .LBB11_31
.LBB11_43:                              ;   in Loop: Header=BB11_13 Depth=1
	v_add3_u32 v16, v0, v7, 64
	v_add3_u32 v17, v10, s25, 0x60
	s_delay_alu instid0(VALU_DEP_1)
	v_cndmask_b32_e32 v16, v17, v16, vcc_lo
	v_add3_u32 v17, v0, v14, 64
	global_load_b32 v16, v16, s[12:13] scale_offset
	global_store_b32 v17, v18, s[16:17] scale_offset
	s_wait_loadcnt 0x0
	global_store_b32 v17, v16, s[14:15] scale_offset
	s_wait_xcnt 0x0
	s_or_b32 exec_lo, exec_lo, s7
	s_and_saveexec_b32 s7, s3
	s_cbranch_execz .LBB11_12
.LBB11_44:                              ;   in Loop: Header=BB11_13 Depth=1
	v_cndmask_b32_e32 v16, v20, v21, vcc_lo
	v_add3_u32 v17, v0, v14, 0x60
	s_delay_alu instid0(VALU_DEP_2)
	v_add_nc_u32_e32 v16, 0x60, v16
	global_load_b32 v16, v16, s[12:13] scale_offset
	global_store_b32 v17, v19, s[16:17] scale_offset
	s_wait_loadcnt 0x0
	global_store_b32 v17, v16, s[14:15] scale_offset
	s_branch .LBB11_12
.LBB11_45:
	s_endpgm
	.section	.rodata,"a",@progbits
	.p2align	6, 0x0
	.amdhsa_kernel _ZN9rocsparseL35bsr2csr_block_per_row_33_256_kernelILj1024ELj128ELj32EiiiEEv20rocsparse_direction_T4_S2_21rocsparse_index_base_PKT2_PKT3_PKS2_S2_S3_PS4_PS7_PS2_
		.amdhsa_group_segment_fixed_size 0
		.amdhsa_private_segment_fixed_size 0
		.amdhsa_kernarg_size 72
		.amdhsa_user_sgpr_count 2
		.amdhsa_user_sgpr_dispatch_ptr 0
		.amdhsa_user_sgpr_queue_ptr 0
		.amdhsa_user_sgpr_kernarg_segment_ptr 1
		.amdhsa_user_sgpr_dispatch_id 0
		.amdhsa_user_sgpr_kernarg_preload_length 0
		.amdhsa_user_sgpr_kernarg_preload_offset 0
		.amdhsa_user_sgpr_private_segment_size 0
		.amdhsa_wavefront_size32 1
		.amdhsa_uses_dynamic_stack 0
		.amdhsa_enable_private_segment 0
		.amdhsa_system_sgpr_workgroup_id_x 1
		.amdhsa_system_sgpr_workgroup_id_y 0
		.amdhsa_system_sgpr_workgroup_id_z 0
		.amdhsa_system_sgpr_workgroup_info 0
		.amdhsa_system_vgpr_workitem_id 0
		.amdhsa_next_free_vgpr 26
		.amdhsa_next_free_sgpr 36
		.amdhsa_named_barrier_count 0
		.amdhsa_reserve_vcc 1
		.amdhsa_float_round_mode_32 0
		.amdhsa_float_round_mode_16_64 0
		.amdhsa_float_denorm_mode_32 3
		.amdhsa_float_denorm_mode_16_64 3
		.amdhsa_fp16_overflow 0
		.amdhsa_memory_ordered 1
		.amdhsa_forward_progress 1
		.amdhsa_inst_pref_size 21
		.amdhsa_round_robin_scheduling 0
		.amdhsa_exception_fp_ieee_invalid_op 0
		.amdhsa_exception_fp_denorm_src 0
		.amdhsa_exception_fp_ieee_div_zero 0
		.amdhsa_exception_fp_ieee_overflow 0
		.amdhsa_exception_fp_ieee_underflow 0
		.amdhsa_exception_fp_ieee_inexact 0
		.amdhsa_exception_int_div_zero 0
	.end_amdhsa_kernel
	.section	.text._ZN9rocsparseL35bsr2csr_block_per_row_33_256_kernelILj1024ELj128ELj32EiiiEEv20rocsparse_direction_T4_S2_21rocsparse_index_base_PKT2_PKT3_PKS2_S2_S3_PS4_PS7_PS2_,"axG",@progbits,_ZN9rocsparseL35bsr2csr_block_per_row_33_256_kernelILj1024ELj128ELj32EiiiEEv20rocsparse_direction_T4_S2_21rocsparse_index_base_PKT2_PKT3_PKS2_S2_S3_PS4_PS7_PS2_,comdat
.Lfunc_end11:
	.size	_ZN9rocsparseL35bsr2csr_block_per_row_33_256_kernelILj1024ELj128ELj32EiiiEEv20rocsparse_direction_T4_S2_21rocsparse_index_base_PKT2_PKT3_PKS2_S2_S3_PS4_PS7_PS2_, .Lfunc_end11-_ZN9rocsparseL35bsr2csr_block_per_row_33_256_kernelILj1024ELj128ELj32EiiiEEv20rocsparse_direction_T4_S2_21rocsparse_index_base_PKT2_PKT3_PKS2_S2_S3_PS4_PS7_PS2_
                                        ; -- End function
	.set _ZN9rocsparseL35bsr2csr_block_per_row_33_256_kernelILj1024ELj128ELj32EiiiEEv20rocsparse_direction_T4_S2_21rocsparse_index_base_PKT2_PKT3_PKS2_S2_S3_PS4_PS7_PS2_.num_vgpr, 26
	.set _ZN9rocsparseL35bsr2csr_block_per_row_33_256_kernelILj1024ELj128ELj32EiiiEEv20rocsparse_direction_T4_S2_21rocsparse_index_base_PKT2_PKT3_PKS2_S2_S3_PS4_PS7_PS2_.num_agpr, 0
	.set _ZN9rocsparseL35bsr2csr_block_per_row_33_256_kernelILj1024ELj128ELj32EiiiEEv20rocsparse_direction_T4_S2_21rocsparse_index_base_PKT2_PKT3_PKS2_S2_S3_PS4_PS7_PS2_.numbered_sgpr, 36
	.set _ZN9rocsparseL35bsr2csr_block_per_row_33_256_kernelILj1024ELj128ELj32EiiiEEv20rocsparse_direction_T4_S2_21rocsparse_index_base_PKT2_PKT3_PKS2_S2_S3_PS4_PS7_PS2_.num_named_barrier, 0
	.set _ZN9rocsparseL35bsr2csr_block_per_row_33_256_kernelILj1024ELj128ELj32EiiiEEv20rocsparse_direction_T4_S2_21rocsparse_index_base_PKT2_PKT3_PKS2_S2_S3_PS4_PS7_PS2_.private_seg_size, 0
	.set _ZN9rocsparseL35bsr2csr_block_per_row_33_256_kernelILj1024ELj128ELj32EiiiEEv20rocsparse_direction_T4_S2_21rocsparse_index_base_PKT2_PKT3_PKS2_S2_S3_PS4_PS7_PS2_.uses_vcc, 1
	.set _ZN9rocsparseL35bsr2csr_block_per_row_33_256_kernelILj1024ELj128ELj32EiiiEEv20rocsparse_direction_T4_S2_21rocsparse_index_base_PKT2_PKT3_PKS2_S2_S3_PS4_PS7_PS2_.uses_flat_scratch, 0
	.set _ZN9rocsparseL35bsr2csr_block_per_row_33_256_kernelILj1024ELj128ELj32EiiiEEv20rocsparse_direction_T4_S2_21rocsparse_index_base_PKT2_PKT3_PKS2_S2_S3_PS4_PS7_PS2_.has_dyn_sized_stack, 0
	.set _ZN9rocsparseL35bsr2csr_block_per_row_33_256_kernelILj1024ELj128ELj32EiiiEEv20rocsparse_direction_T4_S2_21rocsparse_index_base_PKT2_PKT3_PKS2_S2_S3_PS4_PS7_PS2_.has_recursion, 0
	.set _ZN9rocsparseL35bsr2csr_block_per_row_33_256_kernelILj1024ELj128ELj32EiiiEEv20rocsparse_direction_T4_S2_21rocsparse_index_base_PKT2_PKT3_PKS2_S2_S3_PS4_PS7_PS2_.has_indirect_call, 0
	.section	.AMDGPU.csdata,"",@progbits
; Kernel info:
; codeLenInByte = 2568
; TotalNumSgprs: 38
; NumVgprs: 26
; ScratchSize: 0
; MemoryBound: 0
; FloatMode: 240
; IeeeMode: 1
; LDSByteSize: 0 bytes/workgroup (compile time only)
; SGPRBlocks: 0
; VGPRBlocks: 1
; NumSGPRsForWavesPerEU: 38
; NumVGPRsForWavesPerEU: 26
; NamedBarCnt: 0
; Occupancy: 16
; WaveLimiterHint : 1
; COMPUTE_PGM_RSRC2:SCRATCH_EN: 0
; COMPUTE_PGM_RSRC2:USER_SGPR: 2
; COMPUTE_PGM_RSRC2:TRAP_HANDLER: 0
; COMPUTE_PGM_RSRC2:TGID_X_EN: 1
; COMPUTE_PGM_RSRC2:TGID_Y_EN: 0
; COMPUTE_PGM_RSRC2:TGID_Z_EN: 0
; COMPUTE_PGM_RSRC2:TIDIG_COMP_CNT: 0
	.section	.text._ZN9rocsparseL35bsr2csr_block_per_row_33_256_kernelILj1024ELj256ELj32EiiiEEv20rocsparse_direction_T4_S2_21rocsparse_index_base_PKT2_PKT3_PKS2_S2_S3_PS4_PS7_PS2_,"axG",@progbits,_ZN9rocsparseL35bsr2csr_block_per_row_33_256_kernelILj1024ELj256ELj32EiiiEEv20rocsparse_direction_T4_S2_21rocsparse_index_base_PKT2_PKT3_PKS2_S2_S3_PS4_PS7_PS2_,comdat
	.globl	_ZN9rocsparseL35bsr2csr_block_per_row_33_256_kernelILj1024ELj256ELj32EiiiEEv20rocsparse_direction_T4_S2_21rocsparse_index_base_PKT2_PKT3_PKS2_S2_S3_PS4_PS7_PS2_ ; -- Begin function _ZN9rocsparseL35bsr2csr_block_per_row_33_256_kernelILj1024ELj256ELj32EiiiEEv20rocsparse_direction_T4_S2_21rocsparse_index_base_PKT2_PKT3_PKS2_S2_S3_PS4_PS7_PS2_
	.p2align	8
	.type	_ZN9rocsparseL35bsr2csr_block_per_row_33_256_kernelILj1024ELj256ELj32EiiiEEv20rocsparse_direction_T4_S2_21rocsparse_index_base_PKT2_PKT3_PKS2_S2_S3_PS4_PS7_PS2_,@function
_ZN9rocsparseL35bsr2csr_block_per_row_33_256_kernelILj1024ELj256ELj32EiiiEEv20rocsparse_direction_T4_S2_21rocsparse_index_base_PKT2_PKT3_PKS2_S2_S3_PS4_PS7_PS2_: ; @_ZN9rocsparseL35bsr2csr_block_per_row_33_256_kernelILj1024ELj256ELj32EiiiEEv20rocsparse_direction_T4_S2_21rocsparse_index_base_PKT2_PKT3_PKS2_S2_S3_PS4_PS7_PS2_
; %bb.0:
	s_load_b64 s[2:3], s[0:1], 0x18
	s_bfe_u32 s4, ttmp6, 0x4000c
	s_and_b32 s5, ttmp6, 15
	s_add_co_i32 s4, s4, 1
	s_getreg_b32 s6, hwreg(HW_REG_IB_STS2, 6, 4)
	s_mul_i32 s4, ttmp9, s4
	s_clause 0x1
	s_load_b64 s[16:17], s[0:1], 0x28
	s_load_b64 s[10:11], s[0:1], 0x38
	s_add_co_i32 s5, s5, s4
	s_cmp_eq_u32 s6, 0
	s_cselect_b32 s4, ttmp9, s5
	s_delay_alu instid0(SALU_CYCLE_1)
	s_ashr_i32 s5, s4, 31
	v_or_b32_e32 v1, s4, v0
	s_lshl_b64 s[6:7], s[4:5], 2
	s_wait_kmcnt 0x0
	s_add_nc_u64 s[2:3], s[2:3], s[6:7]
	s_load_b64 s[26:27], s[2:3], 0x0
	s_wait_xcnt 0x0
	s_mov_b32 s2, exec_lo
	v_cmpx_eq_u32_e32 0, v1
	s_cbranch_execz .LBB12_2
; %bb.1:
	v_dual_mov_b32 v1, 0 :: v_dual_mov_b32 v2, s17
	global_store_b32 v1, v2, s[10:11]
.LBB12_2:
	s_wait_xcnt 0x0
	s_or_b32 exec_lo, exec_lo, s2
	s_load_b32 s30, s[0:1], 0xc
	v_lshrrev_b32_e32 v2, 5, v0
	s_mul_i32 s12, s16, s4
	s_delay_alu instid0(VALU_DEP_1)
	v_cmp_gt_i32_e64 s2, s16, v2
	s_wait_kmcnt 0x0
	s_sub_co_i32 s18, s26, s30
	s_sub_co_i32 s31, s27, s30
	s_mul_i32 s19, s16, s18
	s_sub_co_i32 s86, s31, s18
	s_mul_i32 s3, s19, s16
	s_mul_i32 s14, s86, s16
	s_add_co_i32 s15, s3, s17
	s_delay_alu instid0(SALU_CYCLE_1)
	s_add_co_i32 s15, s15, s14
	s_and_saveexec_b32 s3, s2
	s_cbranch_execz .LBB12_4
; %bb.3:
	v_mad_u32 v1, v2, s14, s15
	v_add_nc_u32_e32 v3, s12, v2
	global_store_b32 v3, v1, s[10:11] offset:4 scale_offset
.LBB12_4:
	s_wait_xcnt 0x0
	s_or_b32 exec_lo, exec_lo, s3
	v_or_b32_e32 v1, 32, v2
	s_delay_alu instid0(VALU_DEP_1)
	v_cmp_gt_i32_e64 s3, s16, v1
	s_and_saveexec_b32 s4, s3
	s_cbranch_execz .LBB12_6
; %bb.5:
	v_mov_b32_e32 v3, 0
	s_ashr_i32 s13, s12, 31
	v_mad_u32 v1, v1, s14, s15
	s_delay_alu instid0(VALU_DEP_2) | instskip(NEXT) | instid1(VALU_DEP_1)
	v_add_nc_u64_e32 v[4:5], s[12:13], v[2:3]
	v_lshl_add_u64 v[4:5], v[4:5], 2, s[10:11]
	global_store_b32 v[4:5], v1, off offset:132
.LBB12_6:
	s_wait_xcnt 0x0
	s_or_b32 exec_lo, exec_lo, s4
	v_or_b32_e32 v1, 64, v2
	s_delay_alu instid0(VALU_DEP_1)
	v_cmp_gt_i32_e64 s5, s16, v1
	s_and_saveexec_b32 s4, s5
	s_cbranch_execz .LBB12_8
; %bb.7:
	v_mov_b32_e32 v3, 0
	s_ashr_i32 s13, s12, 31
	v_mad_u32 v1, v1, s14, s15
	s_delay_alu instid0(VALU_DEP_2) | instskip(NEXT) | instid1(VALU_DEP_1)
	v_add_nc_u64_e32 v[4:5], s[12:13], v[2:3]
	v_lshl_add_u64 v[4:5], v[4:5], 2, s[10:11]
	global_store_b32 v[4:5], v1, off offset:260
.LBB12_8:
	;; [unrolled: 16-line block ×7, first 2 shown]
	s_wait_xcnt 0x0
	s_or_b32 exec_lo, exec_lo, s20
	s_cmp_lt_i32 s26, s27
	s_cbranch_scc0 .LBB12_149
; %bb.19:
	s_clause 0x3
	s_load_b64 s[28:29], s[0:1], 0x20
	s_load_b32 s11, s[0:1], 0x0
	s_load_b64 s[20:21], s[0:1], 0x10
	s_load_b64 s[22:23], s[0:1], 0x30
	v_mad_u32 v31, v2, s86, s19
	v_dual_add_nc_u32 v22, s19, v2 :: v_dual_bitop2_b32 v0, 31, v0 bitop3:0x40
	s_load_b64 s[24:25], s[0:1], 0x40
	s_mul_i32 s33, s16, s16
	s_mov_b32 s34, 0
	s_wait_xcnt 0x0
	v_cmp_gt_i32_e64 s0, s16, v0
	v_add_nc_u32_e32 v26, 0xe0, v22
	v_dual_add_nc_u32 v14, s19, v0 :: v_dual_bitop2_b32 v1, 32, v0 bitop3:0x54
	v_or_b32_e32 v3, 64, v0
	v_mad_u32 v23, 0xe0, s27, v31
	v_mad_u32 v24, 0xc0, s27, v31
	;; [unrolled: 1-line block ×5, first 2 shown]
	v_add_nc_u32_e32 v13, 0xa0, v14
	s_wait_kmcnt 0x0
	s_cmp_eq_u32 s11, 0
	v_add_nc_u32_e32 v15, 0x80, v14
	s_cselect_b32 vcc_lo, -1, 0
	s_and_b32 s35, s2, s0
	s_and_b32 s42, s3, s0
	s_and_b32 s49, s5, s0
	s_and_b32 s56, s6, s0
	s_and_b32 s63, s7, s0
	s_and_b32 s70, s8, s0
	s_and_b32 s77, s9, s0
	s_and_b32 s84, s4, s0
	s_mul_i32 s0, s26, 0xe0
	v_add_nc_u32_e32 v11, 0xe0, v14
	v_subrev_nc_u32_e32 v27, s0, v23
	v_mad_u32 v23, s16, v26, v0
	v_mad_u32 v26, 0x60, s27, v31
	v_add_nc_u32_e32 v12, 0xc0, v14
	v_add_nc_u32_e32 v16, 0x60, v14
	v_dual_add_nc_u32 v17, 64, v14 :: v_dual_add_nc_u32 v18, 32, v14
	v_add_nc_u32_e32 v19, 32, v22
	v_add_nc_u32_e32 v25, 0xc0, v22
	v_cmp_gt_i32_e64 s1, s16, v1
	s_mul_i32 s0, s26, 0xc0
	v_mad_u32 v11, s16, v11, v2
	v_mad_u32 v12, s16, v12, v2
	;; [unrolled: 1-line block ×7, first 2 shown]
	v_add_nc_u32_e32 v18, 64, v22
	v_mad_u32 v17, s16, v19, v0
	v_add_nc_u32_e32 v19, 0x60, v22
	v_add_nc_u32_e32 v20, 0x80, v22
	v_add_nc_u32_e32 v21, 0xa0, v22
	v_mad_u32 v22, s16, v25, v0
	v_subrev_nc_u32_e32 v25, s0, v24
	v_mul_lo_u32 v24, s16, v27
	v_lshl_add_u32 v27, s27, 7, v31
	s_mul_i32 s0, s26, 0xa0
	v_lshl_add_u32 v29, s27, 6, v31
	v_lshl_add_u32 v30, s27, 5, v31
	s_and_b32 s36, s2, s1
	s_and_b32 s43, s3, s1
	;; [unrolled: 1-line block ×8, first 2 shown]
	s_lshl_b32 s1, s26, 7
	v_subrev_nc_u32_e32 v28, s0, v28
	s_mul_i32 s0, s26, 0x60
	v_subrev_nc_u32_e32 v27, s1, v27
	v_subrev_nc_u32_e32 v32, s0, v26
	s_lshl_b32 s0, s26, 6
	s_lshl_b32 s1, s26, 5
	v_subrev_nc_u32_e32 v29, s0, v29
	v_subrev_nc_u32_e32 v30, s1, v30
	v_or_b32_e32 v4, 0x60, v0
	v_or_b32_e32 v5, 0x80, v0
	;; [unrolled: 1-line block ×5, first 2 shown]
	v_mad_u32 v18, s16, v18, v0
	v_mad_u32 v19, s16, v19, v0
	;; [unrolled: 1-line block ×4, first 2 shown]
	v_mul_lo_u32 v25, s16, v25
	v_mul_lo_u32 v26, s16, v28
	;; [unrolled: 1-line block ×7, first 2 shown]
	v_cmp_gt_i32_e64 s10, s16, v3
	v_cmp_gt_i32_e64 s11, s16, v4
	;; [unrolled: 1-line block ×6, first 2 shown]
	s_ashr_i32 s19, s18, 31
	v_dual_cndmask_b32 v32, v9, v8 :: v_dual_cndmask_b32 v33, v2, v17
	s_lshl_b64 s[0:1], s[18:19], 2
	s_and_b32 s37, s2, s10
	s_and_b32 s38, s2, s11
	;; [unrolled: 1-line block ×48, first 2 shown]
	s_add_nc_u64 s[0:1], s[28:29], s[0:1]
	s_branch .LBB12_21
.LBB12_20:                              ;   in Loop: Header=BB12_21 Depth=1
	s_wait_xcnt 0x0
	s_or_b32 exec_lo, exec_lo, s15
	v_dual_add_nc_u32 v24, s16, v24 :: v_dual_add_nc_u32 v25, s16, v25
	v_dual_add_nc_u32 v26, s16, v26 :: v_dual_add_nc_u32 v27, s16, v27
	;; [unrolled: 1-line block ×4, first 2 shown]
	s_add_co_i32 s18, s18, 1
	s_add_co_i32 s34, s34, s33
	s_cmp_ge_i32 s18, s31
	s_add_nc_u64 s[0:1], s[0:1], 4
	s_cbranch_scc1 .LBB12_149
.LBB12_21:                              ; =>This Inner Loop Header: Depth=1
	s_load_b32 s15, s[0:1], 0x0
	s_wait_kmcnt 0x0
	s_sub_co_i32 s15, s15, s30
	s_delay_alu instid0(SALU_CYCLE_1) | instskip(NEXT) | instid1(SALU_CYCLE_1)
	s_mul_i32 s15, s15, s16
	s_add_co_i32 s15, s15, s17
	s_delay_alu instid0(SALU_CYCLE_1)
	v_add_nc_u32_e32 v35, s15, v0
	s_and_saveexec_b32 s19, s35
	s_cbranch_execnz .LBB12_85
; %bb.22:                               ;   in Loop: Header=BB12_21 Depth=1
	s_or_b32 exec_lo, exec_lo, s19
	v_add_nc_u32_e32 v34, s15, v1
	s_and_saveexec_b32 s19, s36
	s_cbranch_execnz .LBB12_86
.LBB12_23:                              ;   in Loop: Header=BB12_21 Depth=1
	s_or_b32 exec_lo, exec_lo, s19
	v_add_nc_u32_e32 v36, s15, v3
	s_and_saveexec_b32 s19, s37
	s_cbranch_execnz .LBB12_87
.LBB12_24:                              ;   in Loop: Header=BB12_21 Depth=1
	s_or_b32 exec_lo, exec_lo, s19
	v_add_nc_u32_e32 v37, s15, v4
	s_and_saveexec_b32 s19, s38
	s_cbranch_execnz .LBB12_88
.LBB12_25:                              ;   in Loop: Header=BB12_21 Depth=1
	s_or_b32 exec_lo, exec_lo, s19
	v_add_nc_u32_e32 v38, s15, v5
	s_and_saveexec_b32 s19, s39
	s_cbranch_execnz .LBB12_89
.LBB12_26:                              ;   in Loop: Header=BB12_21 Depth=1
	s_or_b32 exec_lo, exec_lo, s19
	v_add_nc_u32_e32 v39, s15, v6
	s_and_saveexec_b32 s19, s40
	s_cbranch_execnz .LBB12_90
.LBB12_27:                              ;   in Loop: Header=BB12_21 Depth=1
	s_or_b32 exec_lo, exec_lo, s19
	v_add_nc_u32_e32 v40, s15, v7
	s_and_saveexec_b32 s19, s41
	s_cbranch_execnz .LBB12_91
.LBB12_28:                              ;   in Loop: Header=BB12_21 Depth=1
	s_or_b32 exec_lo, exec_lo, s19
	v_add_nc_u32_e32 v41, s15, v10
	s_and_saveexec_b32 s15, s2
	s_cbranch_execnz .LBB12_92
.LBB12_29:                              ;   in Loop: Header=BB12_21 Depth=1
	s_or_b32 exec_lo, exec_lo, s15
	s_and_saveexec_b32 s15, s42
	s_cbranch_execnz .LBB12_93
.LBB12_30:                              ;   in Loop: Header=BB12_21 Depth=1
	s_or_b32 exec_lo, exec_lo, s15
	s_and_saveexec_b32 s15, s43
	s_cbranch_execnz .LBB12_94
.LBB12_31:                              ;   in Loop: Header=BB12_21 Depth=1
	s_or_b32 exec_lo, exec_lo, s15
	s_and_saveexec_b32 s15, s44
	s_cbranch_execnz .LBB12_95
.LBB12_32:                              ;   in Loop: Header=BB12_21 Depth=1
	s_or_b32 exec_lo, exec_lo, s15
	s_and_saveexec_b32 s15, s45
	s_cbranch_execnz .LBB12_96
.LBB12_33:                              ;   in Loop: Header=BB12_21 Depth=1
	s_or_b32 exec_lo, exec_lo, s15
	s_and_saveexec_b32 s15, s46
	s_cbranch_execnz .LBB12_97
.LBB12_34:                              ;   in Loop: Header=BB12_21 Depth=1
	s_or_b32 exec_lo, exec_lo, s15
	s_and_saveexec_b32 s15, s47
	s_cbranch_execnz .LBB12_98
.LBB12_35:                              ;   in Loop: Header=BB12_21 Depth=1
	s_or_b32 exec_lo, exec_lo, s15
	s_and_saveexec_b32 s15, s48
	s_cbranch_execnz .LBB12_99
.LBB12_36:                              ;   in Loop: Header=BB12_21 Depth=1
	s_or_b32 exec_lo, exec_lo, s15
	s_and_saveexec_b32 s15, s3
	s_cbranch_execnz .LBB12_100
.LBB12_37:                              ;   in Loop: Header=BB12_21 Depth=1
	s_or_b32 exec_lo, exec_lo, s15
	s_and_saveexec_b32 s15, s49
	s_cbranch_execnz .LBB12_101
.LBB12_38:                              ;   in Loop: Header=BB12_21 Depth=1
	s_or_b32 exec_lo, exec_lo, s15
	s_and_saveexec_b32 s15, s50
	s_cbranch_execnz .LBB12_102
.LBB12_39:                              ;   in Loop: Header=BB12_21 Depth=1
	s_or_b32 exec_lo, exec_lo, s15
	s_and_saveexec_b32 s15, s51
	s_cbranch_execnz .LBB12_103
.LBB12_40:                              ;   in Loop: Header=BB12_21 Depth=1
	s_or_b32 exec_lo, exec_lo, s15
	s_and_saveexec_b32 s15, s52
	s_cbranch_execnz .LBB12_104
.LBB12_41:                              ;   in Loop: Header=BB12_21 Depth=1
	s_or_b32 exec_lo, exec_lo, s15
	s_and_saveexec_b32 s15, s53
	s_cbranch_execnz .LBB12_105
.LBB12_42:                              ;   in Loop: Header=BB12_21 Depth=1
	s_or_b32 exec_lo, exec_lo, s15
	s_and_saveexec_b32 s15, s54
	s_cbranch_execnz .LBB12_106
.LBB12_43:                              ;   in Loop: Header=BB12_21 Depth=1
	s_or_b32 exec_lo, exec_lo, s15
	s_and_saveexec_b32 s15, s55
	s_cbranch_execnz .LBB12_107
.LBB12_44:                              ;   in Loop: Header=BB12_21 Depth=1
	s_or_b32 exec_lo, exec_lo, s15
	s_and_saveexec_b32 s15, s5
	s_cbranch_execnz .LBB12_108
.LBB12_45:                              ;   in Loop: Header=BB12_21 Depth=1
	s_or_b32 exec_lo, exec_lo, s15
	s_and_saveexec_b32 s15, s56
	s_cbranch_execnz .LBB12_109
.LBB12_46:                              ;   in Loop: Header=BB12_21 Depth=1
	s_or_b32 exec_lo, exec_lo, s15
	s_and_saveexec_b32 s15, s57
	s_cbranch_execnz .LBB12_110
.LBB12_47:                              ;   in Loop: Header=BB12_21 Depth=1
	s_or_b32 exec_lo, exec_lo, s15
	s_and_saveexec_b32 s15, s58
	s_cbranch_execnz .LBB12_111
.LBB12_48:                              ;   in Loop: Header=BB12_21 Depth=1
	s_or_b32 exec_lo, exec_lo, s15
	s_and_saveexec_b32 s15, s59
	s_cbranch_execnz .LBB12_112
.LBB12_49:                              ;   in Loop: Header=BB12_21 Depth=1
	s_or_b32 exec_lo, exec_lo, s15
	s_and_saveexec_b32 s15, s60
	s_cbranch_execnz .LBB12_113
.LBB12_50:                              ;   in Loop: Header=BB12_21 Depth=1
	s_or_b32 exec_lo, exec_lo, s15
	s_and_saveexec_b32 s15, s61
	s_cbranch_execnz .LBB12_114
.LBB12_51:                              ;   in Loop: Header=BB12_21 Depth=1
	s_or_b32 exec_lo, exec_lo, s15
	s_and_saveexec_b32 s15, s62
	s_cbranch_execnz .LBB12_115
.LBB12_52:                              ;   in Loop: Header=BB12_21 Depth=1
	s_or_b32 exec_lo, exec_lo, s15
	s_and_saveexec_b32 s15, s6
	s_cbranch_execnz .LBB12_116
.LBB12_53:                              ;   in Loop: Header=BB12_21 Depth=1
	s_or_b32 exec_lo, exec_lo, s15
	s_and_saveexec_b32 s15, s63
	s_cbranch_execnz .LBB12_117
.LBB12_54:                              ;   in Loop: Header=BB12_21 Depth=1
	s_or_b32 exec_lo, exec_lo, s15
	s_and_saveexec_b32 s15, s64
	s_cbranch_execnz .LBB12_118
.LBB12_55:                              ;   in Loop: Header=BB12_21 Depth=1
	s_or_b32 exec_lo, exec_lo, s15
	s_and_saveexec_b32 s15, s65
	s_cbranch_execnz .LBB12_119
.LBB12_56:                              ;   in Loop: Header=BB12_21 Depth=1
	s_or_b32 exec_lo, exec_lo, s15
	s_and_saveexec_b32 s15, s66
	s_cbranch_execnz .LBB12_120
.LBB12_57:                              ;   in Loop: Header=BB12_21 Depth=1
	s_or_b32 exec_lo, exec_lo, s15
	s_and_saveexec_b32 s15, s67
	s_cbranch_execnz .LBB12_121
.LBB12_58:                              ;   in Loop: Header=BB12_21 Depth=1
	s_or_b32 exec_lo, exec_lo, s15
	s_and_saveexec_b32 s15, s68
	s_cbranch_execnz .LBB12_122
.LBB12_59:                              ;   in Loop: Header=BB12_21 Depth=1
	s_or_b32 exec_lo, exec_lo, s15
	s_and_saveexec_b32 s15, s69
	s_cbranch_execnz .LBB12_123
.LBB12_60:                              ;   in Loop: Header=BB12_21 Depth=1
	s_or_b32 exec_lo, exec_lo, s15
	s_and_saveexec_b32 s15, s7
	s_cbranch_execnz .LBB12_124
.LBB12_61:                              ;   in Loop: Header=BB12_21 Depth=1
	s_or_b32 exec_lo, exec_lo, s15
	s_and_saveexec_b32 s15, s70
	s_cbranch_execnz .LBB12_125
.LBB12_62:                              ;   in Loop: Header=BB12_21 Depth=1
	s_or_b32 exec_lo, exec_lo, s15
	s_and_saveexec_b32 s15, s71
	s_cbranch_execnz .LBB12_126
.LBB12_63:                              ;   in Loop: Header=BB12_21 Depth=1
	s_or_b32 exec_lo, exec_lo, s15
	s_and_saveexec_b32 s15, s72
	s_cbranch_execnz .LBB12_127
.LBB12_64:                              ;   in Loop: Header=BB12_21 Depth=1
	s_or_b32 exec_lo, exec_lo, s15
	s_and_saveexec_b32 s15, s73
	s_cbranch_execnz .LBB12_128
.LBB12_65:                              ;   in Loop: Header=BB12_21 Depth=1
	s_or_b32 exec_lo, exec_lo, s15
	s_and_saveexec_b32 s15, s74
	s_cbranch_execnz .LBB12_129
.LBB12_66:                              ;   in Loop: Header=BB12_21 Depth=1
	s_or_b32 exec_lo, exec_lo, s15
	s_and_saveexec_b32 s15, s75
	s_cbranch_execnz .LBB12_130
.LBB12_67:                              ;   in Loop: Header=BB12_21 Depth=1
	s_or_b32 exec_lo, exec_lo, s15
	s_and_saveexec_b32 s15, s76
	s_cbranch_execnz .LBB12_131
.LBB12_68:                              ;   in Loop: Header=BB12_21 Depth=1
	s_or_b32 exec_lo, exec_lo, s15
	s_and_saveexec_b32 s15, s8
	s_cbranch_execnz .LBB12_132
.LBB12_69:                              ;   in Loop: Header=BB12_21 Depth=1
	s_or_b32 exec_lo, exec_lo, s15
	s_and_saveexec_b32 s15, s77
	s_cbranch_execnz .LBB12_133
.LBB12_70:                              ;   in Loop: Header=BB12_21 Depth=1
	s_or_b32 exec_lo, exec_lo, s15
	s_and_saveexec_b32 s15, s78
	s_cbranch_execnz .LBB12_134
.LBB12_71:                              ;   in Loop: Header=BB12_21 Depth=1
	s_or_b32 exec_lo, exec_lo, s15
	s_and_saveexec_b32 s15, s79
	s_cbranch_execnz .LBB12_135
.LBB12_72:                              ;   in Loop: Header=BB12_21 Depth=1
	s_or_b32 exec_lo, exec_lo, s15
	s_and_saveexec_b32 s15, s80
	s_cbranch_execnz .LBB12_136
.LBB12_73:                              ;   in Loop: Header=BB12_21 Depth=1
	s_or_b32 exec_lo, exec_lo, s15
	s_and_saveexec_b32 s15, s81
	s_cbranch_execnz .LBB12_137
.LBB12_74:                              ;   in Loop: Header=BB12_21 Depth=1
	s_or_b32 exec_lo, exec_lo, s15
	s_and_saveexec_b32 s15, s82
	s_cbranch_execnz .LBB12_138
.LBB12_75:                              ;   in Loop: Header=BB12_21 Depth=1
	s_or_b32 exec_lo, exec_lo, s15
	s_and_saveexec_b32 s15, s83
	s_cbranch_execnz .LBB12_139
.LBB12_76:                              ;   in Loop: Header=BB12_21 Depth=1
	s_or_b32 exec_lo, exec_lo, s15
	s_and_saveexec_b32 s15, s9
	s_cbranch_execnz .LBB12_140
.LBB12_77:                              ;   in Loop: Header=BB12_21 Depth=1
	s_or_b32 exec_lo, exec_lo, s15
	s_and_saveexec_b32 s15, s84
	s_cbranch_execnz .LBB12_141
.LBB12_78:                              ;   in Loop: Header=BB12_21 Depth=1
	s_or_b32 exec_lo, exec_lo, s15
	s_and_saveexec_b32 s15, s85
	s_cbranch_execnz .LBB12_142
.LBB12_79:                              ;   in Loop: Header=BB12_21 Depth=1
	s_or_b32 exec_lo, exec_lo, s15
	s_and_saveexec_b32 s15, s10
	s_cbranch_execnz .LBB12_143
.LBB12_80:                              ;   in Loop: Header=BB12_21 Depth=1
	s_or_b32 exec_lo, exec_lo, s15
	s_and_saveexec_b32 s15, s11
	s_cbranch_execnz .LBB12_144
.LBB12_81:                              ;   in Loop: Header=BB12_21 Depth=1
	s_or_b32 exec_lo, exec_lo, s15
	s_and_saveexec_b32 s15, s12
	s_cbranch_execnz .LBB12_145
.LBB12_82:                              ;   in Loop: Header=BB12_21 Depth=1
	s_or_b32 exec_lo, exec_lo, s15
	s_and_saveexec_b32 s15, s13
	s_cbranch_execnz .LBB12_146
.LBB12_83:                              ;   in Loop: Header=BB12_21 Depth=1
	s_or_b32 exec_lo, exec_lo, s15
	s_and_saveexec_b32 s15, s14
	s_cbranch_execnz .LBB12_147
.LBB12_84:                              ;   in Loop: Header=BB12_21 Depth=1
	s_or_b32 exec_lo, exec_lo, s15
	s_and_saveexec_b32 s15, s4
	s_cbranch_execz .LBB12_20
	s_branch .LBB12_148
.LBB12_85:                              ;   in Loop: Header=BB12_21 Depth=1
	v_dual_add_nc_u32 v34, s34, v32 :: v_dual_add_nc_u32 v36, v0, v31
	global_load_b32 v34, v34, s[20:21] scale_offset
	global_store_b32 v36, v35, s[24:25] scale_offset
	s_wait_loadcnt 0x0
	global_store_b32 v36, v34, s[22:23] scale_offset
	s_wait_xcnt 0x0
	s_or_b32 exec_lo, exec_lo, s19
	v_add_nc_u32_e32 v34, s15, v1
	s_and_saveexec_b32 s19, s36
	s_cbranch_execz .LBB12_23
.LBB12_86:                              ;   in Loop: Header=BB12_21 Depth=1
	v_add3_u32 v36, v8, s34, 32
	v_add_nc_u32_e32 v37, s34, v2
	s_delay_alu instid0(VALU_DEP_1)
	v_cndmask_b32_e32 v36, v37, v36, vcc_lo
	v_add3_u32 v37, v0, v31, 32
	global_load_b32 v36, v36, s[20:21] scale_offset
	global_store_b32 v37, v34, s[24:25] scale_offset
	s_wait_loadcnt 0x0
	global_store_b32 v37, v36, s[22:23] scale_offset
	s_wait_xcnt 0x0
	s_or_b32 exec_lo, exec_lo, s19
	v_add_nc_u32_e32 v36, s15, v3
	s_and_saveexec_b32 s19, s37
	s_cbranch_execz .LBB12_24
.LBB12_87:                              ;   in Loop: Header=BB12_21 Depth=1
	v_add3_u32 v37, v8, s34, 64
	v_add_nc_u32_e32 v38, s34, v16
	s_delay_alu instid0(VALU_DEP_1)
	v_cndmask_b32_e32 v37, v38, v37, vcc_lo
	v_add3_u32 v38, v0, v31, 64
	global_load_b32 v37, v37, s[20:21] scale_offset
	global_store_b32 v38, v36, s[24:25] scale_offset
	s_wait_loadcnt 0x0
	global_store_b32 v38, v37, s[22:23] scale_offset
	s_wait_xcnt 0x0
	s_or_b32 exec_lo, exec_lo, s19
	v_add_nc_u32_e32 v37, s15, v4
	s_and_saveexec_b32 s19, s38
	s_cbranch_execz .LBB12_25
.LBB12_88:                              ;   in Loop: Header=BB12_21 Depth=1
	v_add3_u32 v38, v8, s34, 0x60
	v_add_nc_u32_e32 v39, s34, v15
	s_delay_alu instid0(VALU_DEP_1)
	v_cndmask_b32_e32 v38, v39, v38, vcc_lo
	v_add3_u32 v39, v0, v31, 0x60
	global_load_b32 v38, v38, s[20:21] scale_offset
	global_store_b32 v39, v37, s[24:25] scale_offset
	s_wait_loadcnt 0x0
	global_store_b32 v39, v38, s[22:23] scale_offset
	s_wait_xcnt 0x0
	s_or_b32 exec_lo, exec_lo, s19
	v_add_nc_u32_e32 v38, s15, v5
	s_and_saveexec_b32 s19, s39
	s_cbranch_execz .LBB12_26
.LBB12_89:                              ;   in Loop: Header=BB12_21 Depth=1
	v_add3_u32 v39, v8, s34, 0x80
	v_add_nc_u32_e32 v40, s34, v14
	s_delay_alu instid0(VALU_DEP_1)
	v_cndmask_b32_e32 v39, v40, v39, vcc_lo
	v_add3_u32 v40, v0, v31, 0x80
	global_load_b32 v39, v39, s[20:21] scale_offset
	global_store_b32 v40, v38, s[24:25] scale_offset
	s_wait_loadcnt 0x0
	global_store_b32 v40, v39, s[22:23] scale_offset
	s_wait_xcnt 0x0
	s_or_b32 exec_lo, exec_lo, s19
	v_add_nc_u32_e32 v39, s15, v6
	s_and_saveexec_b32 s19, s40
	s_cbranch_execz .LBB12_27
.LBB12_90:                              ;   in Loop: Header=BB12_21 Depth=1
	v_add3_u32 v40, v8, s34, 0xa0
	v_add_nc_u32_e32 v41, s34, v13
	s_delay_alu instid0(VALU_DEP_1)
	v_cndmask_b32_e32 v40, v41, v40, vcc_lo
	v_add3_u32 v41, v0, v31, 0xa0
	global_load_b32 v40, v40, s[20:21] scale_offset
	global_store_b32 v41, v39, s[24:25] scale_offset
	s_wait_loadcnt 0x0
	global_store_b32 v41, v40, s[22:23] scale_offset
	s_wait_xcnt 0x0
	s_or_b32 exec_lo, exec_lo, s19
	v_add_nc_u32_e32 v40, s15, v7
	s_and_saveexec_b32 s19, s41
	s_cbranch_execz .LBB12_28
.LBB12_91:                              ;   in Loop: Header=BB12_21 Depth=1
	v_add3_u32 v41, v8, s34, 0xc0
	v_add_nc_u32_e32 v42, s34, v12
	s_delay_alu instid0(VALU_DEP_1)
	v_cndmask_b32_e32 v41, v42, v41, vcc_lo
	v_add3_u32 v42, v0, v31, 0xc0
	global_load_b32 v41, v41, s[20:21] scale_offset
	global_store_b32 v42, v40, s[24:25] scale_offset
	s_wait_loadcnt 0x0
	global_store_b32 v42, v41, s[22:23] scale_offset
	s_wait_xcnt 0x0
	s_or_b32 exec_lo, exec_lo, s19
	v_add_nc_u32_e32 v41, s15, v10
	s_and_saveexec_b32 s15, s2
	s_cbranch_execz .LBB12_29
.LBB12_92:                              ;   in Loop: Header=BB12_21 Depth=1
	v_add3_u32 v42, v8, s34, 0xe0
	v_add_nc_u32_e32 v43, s34, v11
	s_delay_alu instid0(VALU_DEP_1)
	v_cndmask_b32_e32 v42, v43, v42, vcc_lo
	v_add3_u32 v43, v0, v31, 0xe0
	global_load_b32 v42, v42, s[20:21] scale_offset
	global_store_b32 v43, v41, s[24:25] scale_offset
	s_wait_loadcnt 0x0
	global_store_b32 v43, v42, s[22:23] scale_offset
	s_wait_xcnt 0x0
	s_or_b32 exec_lo, exec_lo, s15
	s_and_saveexec_b32 s15, s42
	s_cbranch_execz .LBB12_30
.LBB12_93:                              ;   in Loop: Header=BB12_21 Depth=1
	v_add_nc_u32_e32 v42, s34, v17
	v_add3_u32 v43, v9, s34, 32
	s_delay_alu instid0(VALU_DEP_1)
	v_cndmask_b32_e32 v42, v43, v42, vcc_lo
	v_add_nc_u32_e32 v43, v0, v30
	global_load_b32 v42, v42, s[20:21] scale_offset
	global_store_b32 v43, v35, s[24:25] scale_offset
	s_wait_loadcnt 0x0
	global_store_b32 v43, v42, s[22:23] scale_offset
	s_wait_xcnt 0x0
	s_or_b32 exec_lo, exec_lo, s15
	s_and_saveexec_b32 s15, s43
	s_cbranch_execz .LBB12_31
.LBB12_94:                              ;   in Loop: Header=BB12_21 Depth=1
	v_add3_u32 v42, v33, s34, 32
	v_add3_u32 v43, v0, v30, 32
	global_load_b32 v42, v42, s[20:21] scale_offset
	global_store_b32 v43, v34, s[24:25] scale_offset
	s_wait_loadcnt 0x0
	global_store_b32 v43, v42, s[22:23] scale_offset
	s_wait_xcnt 0x0
	s_or_b32 exec_lo, exec_lo, s15
	s_and_saveexec_b32 s15, s44
	s_cbranch_execz .LBB12_32
.LBB12_95:                              ;   in Loop: Header=BB12_21 Depth=1
	v_add3_u32 v42, v17, s34, 64
	v_add3_u32 v43, v16, s34, 32
	s_delay_alu instid0(VALU_DEP_1)
	v_cndmask_b32_e32 v42, v43, v42, vcc_lo
	v_add3_u32 v43, v0, v30, 64
	global_load_b32 v42, v42, s[20:21] scale_offset
	global_store_b32 v43, v36, s[24:25] scale_offset
	s_wait_loadcnt 0x0
	global_store_b32 v43, v42, s[22:23] scale_offset
	s_wait_xcnt 0x0
	s_or_b32 exec_lo, exec_lo, s15
	s_and_saveexec_b32 s15, s45
	s_cbranch_execz .LBB12_33
.LBB12_96:                              ;   in Loop: Header=BB12_21 Depth=1
	v_add3_u32 v42, v17, s34, 0x60
	v_add3_u32 v43, v15, s34, 32
	s_delay_alu instid0(VALU_DEP_1)
	v_cndmask_b32_e32 v42, v43, v42, vcc_lo
	v_add3_u32 v43, v0, v30, 0x60
	global_load_b32 v42, v42, s[20:21] scale_offset
	global_store_b32 v43, v37, s[24:25] scale_offset
	s_wait_loadcnt 0x0
	global_store_b32 v43, v42, s[22:23] scale_offset
	s_wait_xcnt 0x0
	s_or_b32 exec_lo, exec_lo, s15
	s_and_saveexec_b32 s15, s46
	s_cbranch_execz .LBB12_34
.LBB12_97:                              ;   in Loop: Header=BB12_21 Depth=1
	v_add3_u32 v42, v17, s34, 0x80
	v_add3_u32 v43, v14, s34, 32
	s_delay_alu instid0(VALU_DEP_1)
	v_cndmask_b32_e32 v42, v43, v42, vcc_lo
	v_add3_u32 v43, v0, v30, 0x80
	global_load_b32 v42, v42, s[20:21] scale_offset
	global_store_b32 v43, v38, s[24:25] scale_offset
	s_wait_loadcnt 0x0
	global_store_b32 v43, v42, s[22:23] scale_offset
	s_wait_xcnt 0x0
	s_or_b32 exec_lo, exec_lo, s15
	s_and_saveexec_b32 s15, s47
	s_cbranch_execz .LBB12_35
.LBB12_98:                              ;   in Loop: Header=BB12_21 Depth=1
	v_add3_u32 v42, v17, s34, 0xa0
	v_add3_u32 v43, v13, s34, 32
	s_delay_alu instid0(VALU_DEP_1)
	v_cndmask_b32_e32 v42, v43, v42, vcc_lo
	v_add3_u32 v43, v0, v30, 0xa0
	global_load_b32 v42, v42, s[20:21] scale_offset
	global_store_b32 v43, v39, s[24:25] scale_offset
	s_wait_loadcnt 0x0
	global_store_b32 v43, v42, s[22:23] scale_offset
	s_wait_xcnt 0x0
	s_or_b32 exec_lo, exec_lo, s15
	s_and_saveexec_b32 s15, s48
	s_cbranch_execz .LBB12_36
.LBB12_99:                              ;   in Loop: Header=BB12_21 Depth=1
	v_add3_u32 v42, v17, s34, 0xc0
	v_add3_u32 v43, v12, s34, 32
	s_delay_alu instid0(VALU_DEP_1)
	v_cndmask_b32_e32 v42, v43, v42, vcc_lo
	v_add3_u32 v43, v0, v30, 0xc0
	global_load_b32 v42, v42, s[20:21] scale_offset
	global_store_b32 v43, v40, s[24:25] scale_offset
	s_wait_loadcnt 0x0
	global_store_b32 v43, v42, s[22:23] scale_offset
	s_wait_xcnt 0x0
	s_or_b32 exec_lo, exec_lo, s15
	s_and_saveexec_b32 s15, s3
	s_cbranch_execz .LBB12_37
.LBB12_100:                             ;   in Loop: Header=BB12_21 Depth=1
	v_add3_u32 v42, v17, s34, 0xe0
	v_add3_u32 v43, v11, s34, 32
	s_delay_alu instid0(VALU_DEP_1)
	v_cndmask_b32_e32 v42, v43, v42, vcc_lo
	v_add3_u32 v43, v0, v30, 0xe0
	global_load_b32 v42, v42, s[20:21] scale_offset
	global_store_b32 v43, v41, s[24:25] scale_offset
	s_wait_loadcnt 0x0
	global_store_b32 v43, v42, s[22:23] scale_offset
	s_wait_xcnt 0x0
	s_or_b32 exec_lo, exec_lo, s15
	s_and_saveexec_b32 s15, s49
	s_cbranch_execz .LBB12_38
.LBB12_101:                             ;   in Loop: Header=BB12_21 Depth=1
	v_add_nc_u32_e32 v42, s34, v18
	v_add3_u32 v43, v9, s34, 64
	s_delay_alu instid0(VALU_DEP_1)
	v_dual_cndmask_b32 v42, v43, v42 :: v_dual_add_nc_u32 v43, v0, v29
	global_load_b32 v42, v42, s[20:21] scale_offset
	global_store_b32 v43, v35, s[24:25] scale_offset
	s_wait_loadcnt 0x0
	global_store_b32 v43, v42, s[22:23] scale_offset
	s_wait_xcnt 0x0
	s_or_b32 exec_lo, exec_lo, s15
	s_and_saveexec_b32 s15, s50
	s_cbranch_execz .LBB12_39
.LBB12_102:                             ;   in Loop: Header=BB12_21 Depth=1
	v_add3_u32 v42, v18, s34, 32
	v_add3_u32 v43, v2, s34, 64
	s_delay_alu instid0(VALU_DEP_1)
	v_cndmask_b32_e32 v42, v43, v42, vcc_lo
	v_add3_u32 v43, v0, v29, 32
	global_load_b32 v42, v42, s[20:21] scale_offset
	global_store_b32 v43, v34, s[24:25] scale_offset
	s_wait_loadcnt 0x0
	global_store_b32 v43, v42, s[22:23] scale_offset
	s_wait_xcnt 0x0
	s_or_b32 exec_lo, exec_lo, s15
	s_and_saveexec_b32 s15, s51
	s_cbranch_execz .LBB12_40
.LBB12_103:                             ;   in Loop: Header=BB12_21 Depth=1
	v_cndmask_b32_e32 v42, v16, v18, vcc_lo
	v_add3_u32 v43, v0, v29, 64
	s_delay_alu instid0(VALU_DEP_2)
	v_add3_u32 v42, v42, s34, 64
	global_load_b32 v42, v42, s[20:21] scale_offset
	global_store_b32 v43, v36, s[24:25] scale_offset
	s_wait_loadcnt 0x0
	global_store_b32 v43, v42, s[22:23] scale_offset
	s_wait_xcnt 0x0
	s_or_b32 exec_lo, exec_lo, s15
	s_and_saveexec_b32 s15, s52
	s_cbranch_execz .LBB12_41
.LBB12_104:                             ;   in Loop: Header=BB12_21 Depth=1
	v_add3_u32 v42, v18, s34, 0x60
	v_add3_u32 v43, v15, s34, 64
	s_delay_alu instid0(VALU_DEP_1)
	v_cndmask_b32_e32 v42, v43, v42, vcc_lo
	v_add3_u32 v43, v0, v29, 0x60
	global_load_b32 v42, v42, s[20:21] scale_offset
	global_store_b32 v43, v37, s[24:25] scale_offset
	s_wait_loadcnt 0x0
	global_store_b32 v43, v42, s[22:23] scale_offset
	s_wait_xcnt 0x0
	s_or_b32 exec_lo, exec_lo, s15
	s_and_saveexec_b32 s15, s53
	s_cbranch_execz .LBB12_42
.LBB12_105:                             ;   in Loop: Header=BB12_21 Depth=1
	v_add3_u32 v42, v18, s34, 0x80
	v_add3_u32 v43, v14, s34, 64
	s_delay_alu instid0(VALU_DEP_1)
	v_cndmask_b32_e32 v42, v43, v42, vcc_lo
	v_add3_u32 v43, v0, v29, 0x80
	global_load_b32 v42, v42, s[20:21] scale_offset
	global_store_b32 v43, v38, s[24:25] scale_offset
	s_wait_loadcnt 0x0
	global_store_b32 v43, v42, s[22:23] scale_offset
	s_wait_xcnt 0x0
	s_or_b32 exec_lo, exec_lo, s15
	s_and_saveexec_b32 s15, s54
	s_cbranch_execz .LBB12_43
.LBB12_106:                             ;   in Loop: Header=BB12_21 Depth=1
	v_add3_u32 v42, v18, s34, 0xa0
	v_add3_u32 v43, v13, s34, 64
	s_delay_alu instid0(VALU_DEP_1)
	v_cndmask_b32_e32 v42, v43, v42, vcc_lo
	v_add3_u32 v43, v0, v29, 0xa0
	global_load_b32 v42, v42, s[20:21] scale_offset
	global_store_b32 v43, v39, s[24:25] scale_offset
	s_wait_loadcnt 0x0
	global_store_b32 v43, v42, s[22:23] scale_offset
	s_wait_xcnt 0x0
	s_or_b32 exec_lo, exec_lo, s15
	s_and_saveexec_b32 s15, s55
	s_cbranch_execz .LBB12_44
.LBB12_107:                             ;   in Loop: Header=BB12_21 Depth=1
	v_add3_u32 v42, v18, s34, 0xc0
	v_add3_u32 v43, v12, s34, 64
	s_delay_alu instid0(VALU_DEP_1)
	v_cndmask_b32_e32 v42, v43, v42, vcc_lo
	v_add3_u32 v43, v0, v29, 0xc0
	global_load_b32 v42, v42, s[20:21] scale_offset
	global_store_b32 v43, v40, s[24:25] scale_offset
	s_wait_loadcnt 0x0
	global_store_b32 v43, v42, s[22:23] scale_offset
	s_wait_xcnt 0x0
	s_or_b32 exec_lo, exec_lo, s15
	s_and_saveexec_b32 s15, s5
	s_cbranch_execz .LBB12_45
.LBB12_108:                             ;   in Loop: Header=BB12_21 Depth=1
	v_add3_u32 v42, v18, s34, 0xe0
	v_add3_u32 v43, v11, s34, 64
	s_delay_alu instid0(VALU_DEP_1)
	v_cndmask_b32_e32 v42, v43, v42, vcc_lo
	v_add3_u32 v43, v0, v29, 0xe0
	global_load_b32 v42, v42, s[20:21] scale_offset
	global_store_b32 v43, v41, s[24:25] scale_offset
	s_wait_loadcnt 0x0
	global_store_b32 v43, v42, s[22:23] scale_offset
	s_wait_xcnt 0x0
	s_or_b32 exec_lo, exec_lo, s15
	s_and_saveexec_b32 s15, s56
	s_cbranch_execz .LBB12_46
.LBB12_109:                             ;   in Loop: Header=BB12_21 Depth=1
	v_add_nc_u32_e32 v42, s34, v19
	v_add3_u32 v43, v9, s34, 0x60
	s_delay_alu instid0(VALU_DEP_1)
	v_dual_cndmask_b32 v42, v43, v42 :: v_dual_add_nc_u32 v43, v0, v28
	global_load_b32 v42, v42, s[20:21] scale_offset
	global_store_b32 v43, v35, s[24:25] scale_offset
	s_wait_loadcnt 0x0
	global_store_b32 v43, v42, s[22:23] scale_offset
	s_wait_xcnt 0x0
	s_or_b32 exec_lo, exec_lo, s15
	s_and_saveexec_b32 s15, s57
	s_cbranch_execz .LBB12_47
.LBB12_110:                             ;   in Loop: Header=BB12_21 Depth=1
	v_add3_u32 v42, v19, s34, 32
	v_add3_u32 v43, v2, s34, 0x60
	s_delay_alu instid0(VALU_DEP_1)
	v_cndmask_b32_e32 v42, v43, v42, vcc_lo
	v_add3_u32 v43, v0, v28, 32
	global_load_b32 v42, v42, s[20:21] scale_offset
	global_store_b32 v43, v34, s[24:25] scale_offset
	s_wait_loadcnt 0x0
	global_store_b32 v43, v42, s[22:23] scale_offset
	s_wait_xcnt 0x0
	s_or_b32 exec_lo, exec_lo, s15
	s_and_saveexec_b32 s15, s58
	s_cbranch_execz .LBB12_48
.LBB12_111:                             ;   in Loop: Header=BB12_21 Depth=1
	v_add3_u32 v42, v19, s34, 64
	v_add3_u32 v43, v16, s34, 0x60
	s_delay_alu instid0(VALU_DEP_1)
	v_cndmask_b32_e32 v42, v43, v42, vcc_lo
	v_add3_u32 v43, v0, v28, 64
	global_load_b32 v42, v42, s[20:21] scale_offset
	global_store_b32 v43, v36, s[24:25] scale_offset
	s_wait_loadcnt 0x0
	global_store_b32 v43, v42, s[22:23] scale_offset
	s_wait_xcnt 0x0
	s_or_b32 exec_lo, exec_lo, s15
	s_and_saveexec_b32 s15, s59
	s_cbranch_execz .LBB12_49
.LBB12_112:                             ;   in Loop: Header=BB12_21 Depth=1
	v_cndmask_b32_e32 v42, v15, v19, vcc_lo
	v_add3_u32 v43, v0, v28, 0x60
	s_delay_alu instid0(VALU_DEP_2)
	v_add3_u32 v42, v42, s34, 0x60
	global_load_b32 v42, v42, s[20:21] scale_offset
	global_store_b32 v43, v37, s[24:25] scale_offset
	s_wait_loadcnt 0x0
	global_store_b32 v43, v42, s[22:23] scale_offset
	s_wait_xcnt 0x0
	s_or_b32 exec_lo, exec_lo, s15
	s_and_saveexec_b32 s15, s60
	s_cbranch_execz .LBB12_50
.LBB12_113:                             ;   in Loop: Header=BB12_21 Depth=1
	v_add3_u32 v42, v19, s34, 0x80
	v_add3_u32 v43, v14, s34, 0x60
	s_delay_alu instid0(VALU_DEP_1)
	v_cndmask_b32_e32 v42, v43, v42, vcc_lo
	v_add3_u32 v43, v0, v28, 0x80
	global_load_b32 v42, v42, s[20:21] scale_offset
	global_store_b32 v43, v38, s[24:25] scale_offset
	s_wait_loadcnt 0x0
	global_store_b32 v43, v42, s[22:23] scale_offset
	s_wait_xcnt 0x0
	s_or_b32 exec_lo, exec_lo, s15
	s_and_saveexec_b32 s15, s61
	s_cbranch_execz .LBB12_51
.LBB12_114:                             ;   in Loop: Header=BB12_21 Depth=1
	v_add3_u32 v42, v19, s34, 0xa0
	v_add3_u32 v43, v13, s34, 0x60
	s_delay_alu instid0(VALU_DEP_1)
	v_cndmask_b32_e32 v42, v43, v42, vcc_lo
	v_add3_u32 v43, v0, v28, 0xa0
	global_load_b32 v42, v42, s[20:21] scale_offset
	global_store_b32 v43, v39, s[24:25] scale_offset
	s_wait_loadcnt 0x0
	global_store_b32 v43, v42, s[22:23] scale_offset
	s_wait_xcnt 0x0
	s_or_b32 exec_lo, exec_lo, s15
	s_and_saveexec_b32 s15, s62
	s_cbranch_execz .LBB12_52
.LBB12_115:                             ;   in Loop: Header=BB12_21 Depth=1
	v_add3_u32 v42, v19, s34, 0xc0
	v_add3_u32 v43, v12, s34, 0x60
	s_delay_alu instid0(VALU_DEP_1)
	v_cndmask_b32_e32 v42, v43, v42, vcc_lo
	v_add3_u32 v43, v0, v28, 0xc0
	global_load_b32 v42, v42, s[20:21] scale_offset
	global_store_b32 v43, v40, s[24:25] scale_offset
	s_wait_loadcnt 0x0
	global_store_b32 v43, v42, s[22:23] scale_offset
	s_wait_xcnt 0x0
	s_or_b32 exec_lo, exec_lo, s15
	s_and_saveexec_b32 s15, s6
	s_cbranch_execz .LBB12_53
.LBB12_116:                             ;   in Loop: Header=BB12_21 Depth=1
	v_add3_u32 v42, v19, s34, 0xe0
	v_add3_u32 v43, v11, s34, 0x60
	s_delay_alu instid0(VALU_DEP_1)
	v_cndmask_b32_e32 v42, v43, v42, vcc_lo
	v_add3_u32 v43, v0, v28, 0xe0
	global_load_b32 v42, v42, s[20:21] scale_offset
	global_store_b32 v43, v41, s[24:25] scale_offset
	s_wait_loadcnt 0x0
	global_store_b32 v43, v42, s[22:23] scale_offset
	s_wait_xcnt 0x0
	s_or_b32 exec_lo, exec_lo, s15
	s_and_saveexec_b32 s15, s63
	s_cbranch_execz .LBB12_54
.LBB12_117:                             ;   in Loop: Header=BB12_21 Depth=1
	v_add_nc_u32_e32 v42, s34, v20
	v_add3_u32 v43, v9, s34, 0x80
	s_delay_alu instid0(VALU_DEP_1)
	v_dual_cndmask_b32 v42, v43, v42 :: v_dual_add_nc_u32 v43, v0, v27
	global_load_b32 v42, v42, s[20:21] scale_offset
	global_store_b32 v43, v35, s[24:25] scale_offset
	s_wait_loadcnt 0x0
	global_store_b32 v43, v42, s[22:23] scale_offset
	s_wait_xcnt 0x0
	s_or_b32 exec_lo, exec_lo, s15
	s_and_saveexec_b32 s15, s64
	s_cbranch_execz .LBB12_55
.LBB12_118:                             ;   in Loop: Header=BB12_21 Depth=1
	v_add3_u32 v42, v20, s34, 32
	v_add3_u32 v43, v2, s34, 0x80
	s_delay_alu instid0(VALU_DEP_1)
	v_cndmask_b32_e32 v42, v43, v42, vcc_lo
	v_add3_u32 v43, v0, v27, 32
	global_load_b32 v42, v42, s[20:21] scale_offset
	global_store_b32 v43, v34, s[24:25] scale_offset
	s_wait_loadcnt 0x0
	global_store_b32 v43, v42, s[22:23] scale_offset
	s_wait_xcnt 0x0
	s_or_b32 exec_lo, exec_lo, s15
	s_and_saveexec_b32 s15, s65
	s_cbranch_execz .LBB12_56
.LBB12_119:                             ;   in Loop: Header=BB12_21 Depth=1
	v_add3_u32 v42, v20, s34, 64
	v_add3_u32 v43, v16, s34, 0x80
	s_delay_alu instid0(VALU_DEP_1)
	v_cndmask_b32_e32 v42, v43, v42, vcc_lo
	v_add3_u32 v43, v0, v27, 64
	global_load_b32 v42, v42, s[20:21] scale_offset
	global_store_b32 v43, v36, s[24:25] scale_offset
	s_wait_loadcnt 0x0
	global_store_b32 v43, v42, s[22:23] scale_offset
	s_wait_xcnt 0x0
	s_or_b32 exec_lo, exec_lo, s15
	s_and_saveexec_b32 s15, s66
	s_cbranch_execz .LBB12_57
.LBB12_120:                             ;   in Loop: Header=BB12_21 Depth=1
	v_add3_u32 v42, v20, s34, 0x60
	v_add3_u32 v43, v15, s34, 0x80
	s_delay_alu instid0(VALU_DEP_1)
	v_cndmask_b32_e32 v42, v43, v42, vcc_lo
	v_add3_u32 v43, v0, v27, 0x60
	global_load_b32 v42, v42, s[20:21] scale_offset
	global_store_b32 v43, v37, s[24:25] scale_offset
	s_wait_loadcnt 0x0
	global_store_b32 v43, v42, s[22:23] scale_offset
	s_wait_xcnt 0x0
	s_or_b32 exec_lo, exec_lo, s15
	s_and_saveexec_b32 s15, s67
	s_cbranch_execz .LBB12_58
.LBB12_121:                             ;   in Loop: Header=BB12_21 Depth=1
	v_cndmask_b32_e32 v42, v14, v20, vcc_lo
	v_add3_u32 v43, v0, v27, 0x80
	s_delay_alu instid0(VALU_DEP_2)
	v_add3_u32 v42, v42, s34, 0x80
	global_load_b32 v42, v42, s[20:21] scale_offset
	global_store_b32 v43, v38, s[24:25] scale_offset
	s_wait_loadcnt 0x0
	global_store_b32 v43, v42, s[22:23] scale_offset
	s_wait_xcnt 0x0
	s_or_b32 exec_lo, exec_lo, s15
	s_and_saveexec_b32 s15, s68
	s_cbranch_execz .LBB12_59
.LBB12_122:                             ;   in Loop: Header=BB12_21 Depth=1
	v_add3_u32 v42, v20, s34, 0xa0
	v_add3_u32 v43, v13, s34, 0x80
	s_delay_alu instid0(VALU_DEP_1)
	v_cndmask_b32_e32 v42, v43, v42, vcc_lo
	v_add3_u32 v43, v0, v27, 0xa0
	global_load_b32 v42, v42, s[20:21] scale_offset
	global_store_b32 v43, v39, s[24:25] scale_offset
	s_wait_loadcnt 0x0
	global_store_b32 v43, v42, s[22:23] scale_offset
	s_wait_xcnt 0x0
	s_or_b32 exec_lo, exec_lo, s15
	s_and_saveexec_b32 s15, s69
	s_cbranch_execz .LBB12_60
.LBB12_123:                             ;   in Loop: Header=BB12_21 Depth=1
	v_add3_u32 v42, v20, s34, 0xc0
	v_add3_u32 v43, v12, s34, 0x80
	s_delay_alu instid0(VALU_DEP_1)
	v_cndmask_b32_e32 v42, v43, v42, vcc_lo
	v_add3_u32 v43, v0, v27, 0xc0
	global_load_b32 v42, v42, s[20:21] scale_offset
	global_store_b32 v43, v40, s[24:25] scale_offset
	s_wait_loadcnt 0x0
	global_store_b32 v43, v42, s[22:23] scale_offset
	s_wait_xcnt 0x0
	s_or_b32 exec_lo, exec_lo, s15
	s_and_saveexec_b32 s15, s7
	s_cbranch_execz .LBB12_61
.LBB12_124:                             ;   in Loop: Header=BB12_21 Depth=1
	v_add3_u32 v42, v20, s34, 0xe0
	v_add3_u32 v43, v11, s34, 0x80
	s_delay_alu instid0(VALU_DEP_1)
	v_cndmask_b32_e32 v42, v43, v42, vcc_lo
	v_add3_u32 v43, v0, v27, 0xe0
	global_load_b32 v42, v42, s[20:21] scale_offset
	global_store_b32 v43, v41, s[24:25] scale_offset
	s_wait_loadcnt 0x0
	global_store_b32 v43, v42, s[22:23] scale_offset
	s_wait_xcnt 0x0
	s_or_b32 exec_lo, exec_lo, s15
	s_and_saveexec_b32 s15, s70
	s_cbranch_execz .LBB12_62
.LBB12_125:                             ;   in Loop: Header=BB12_21 Depth=1
	v_add_nc_u32_e32 v42, s34, v21
	v_add3_u32 v43, v9, s34, 0xa0
	s_delay_alu instid0(VALU_DEP_1)
	v_cndmask_b32_e32 v42, v43, v42, vcc_lo
	v_add_nc_u32_e32 v43, v0, v26
	global_load_b32 v42, v42, s[20:21] scale_offset
	global_store_b32 v43, v35, s[24:25] scale_offset
	s_wait_loadcnt 0x0
	global_store_b32 v43, v42, s[22:23] scale_offset
	s_wait_xcnt 0x0
	s_or_b32 exec_lo, exec_lo, s15
	s_and_saveexec_b32 s15, s71
	s_cbranch_execz .LBB12_63
.LBB12_126:                             ;   in Loop: Header=BB12_21 Depth=1
	v_add3_u32 v42, v21, s34, 32
	v_add3_u32 v43, v2, s34, 0xa0
	s_delay_alu instid0(VALU_DEP_1)
	v_cndmask_b32_e32 v42, v43, v42, vcc_lo
	v_add3_u32 v43, v0, v26, 32
	global_load_b32 v42, v42, s[20:21] scale_offset
	global_store_b32 v43, v34, s[24:25] scale_offset
	s_wait_loadcnt 0x0
	global_store_b32 v43, v42, s[22:23] scale_offset
	s_wait_xcnt 0x0
	s_or_b32 exec_lo, exec_lo, s15
	s_and_saveexec_b32 s15, s72
	s_cbranch_execz .LBB12_64
.LBB12_127:                             ;   in Loop: Header=BB12_21 Depth=1
	v_add3_u32 v42, v21, s34, 64
	v_add3_u32 v43, v16, s34, 0xa0
	s_delay_alu instid0(VALU_DEP_1)
	v_cndmask_b32_e32 v42, v43, v42, vcc_lo
	v_add3_u32 v43, v0, v26, 64
	global_load_b32 v42, v42, s[20:21] scale_offset
	global_store_b32 v43, v36, s[24:25] scale_offset
	s_wait_loadcnt 0x0
	global_store_b32 v43, v42, s[22:23] scale_offset
	s_wait_xcnt 0x0
	s_or_b32 exec_lo, exec_lo, s15
	s_and_saveexec_b32 s15, s73
	s_cbranch_execz .LBB12_65
.LBB12_128:                             ;   in Loop: Header=BB12_21 Depth=1
	v_add3_u32 v42, v21, s34, 0x60
	v_add3_u32 v43, v15, s34, 0xa0
	s_delay_alu instid0(VALU_DEP_1)
	v_cndmask_b32_e32 v42, v43, v42, vcc_lo
	v_add3_u32 v43, v0, v26, 0x60
	global_load_b32 v42, v42, s[20:21] scale_offset
	global_store_b32 v43, v37, s[24:25] scale_offset
	s_wait_loadcnt 0x0
	global_store_b32 v43, v42, s[22:23] scale_offset
	s_wait_xcnt 0x0
	s_or_b32 exec_lo, exec_lo, s15
	s_and_saveexec_b32 s15, s74
	s_cbranch_execz .LBB12_66
.LBB12_129:                             ;   in Loop: Header=BB12_21 Depth=1
	v_add3_u32 v42, v21, s34, 0x80
	v_add3_u32 v43, v14, s34, 0xa0
	s_delay_alu instid0(VALU_DEP_1)
	v_cndmask_b32_e32 v42, v43, v42, vcc_lo
	v_add3_u32 v43, v0, v26, 0x80
	global_load_b32 v42, v42, s[20:21] scale_offset
	global_store_b32 v43, v38, s[24:25] scale_offset
	s_wait_loadcnt 0x0
	global_store_b32 v43, v42, s[22:23] scale_offset
	s_wait_xcnt 0x0
	s_or_b32 exec_lo, exec_lo, s15
	s_and_saveexec_b32 s15, s75
	s_cbranch_execz .LBB12_67
.LBB12_130:                             ;   in Loop: Header=BB12_21 Depth=1
	v_cndmask_b32_e32 v42, v13, v21, vcc_lo
	v_add3_u32 v43, v0, v26, 0xa0
	s_delay_alu instid0(VALU_DEP_2)
	v_add3_u32 v42, v42, s34, 0xa0
	global_load_b32 v42, v42, s[20:21] scale_offset
	global_store_b32 v43, v39, s[24:25] scale_offset
	s_wait_loadcnt 0x0
	global_store_b32 v43, v42, s[22:23] scale_offset
	s_wait_xcnt 0x0
	s_or_b32 exec_lo, exec_lo, s15
	s_and_saveexec_b32 s15, s76
	s_cbranch_execz .LBB12_68
.LBB12_131:                             ;   in Loop: Header=BB12_21 Depth=1
	v_add3_u32 v42, v21, s34, 0xc0
	v_add3_u32 v43, v12, s34, 0xa0
	s_delay_alu instid0(VALU_DEP_1)
	v_cndmask_b32_e32 v42, v43, v42, vcc_lo
	v_add3_u32 v43, v0, v26, 0xc0
	global_load_b32 v42, v42, s[20:21] scale_offset
	global_store_b32 v43, v40, s[24:25] scale_offset
	s_wait_loadcnt 0x0
	global_store_b32 v43, v42, s[22:23] scale_offset
	s_wait_xcnt 0x0
	s_or_b32 exec_lo, exec_lo, s15
	s_and_saveexec_b32 s15, s8
	s_cbranch_execz .LBB12_69
.LBB12_132:                             ;   in Loop: Header=BB12_21 Depth=1
	v_add3_u32 v42, v21, s34, 0xe0
	v_add3_u32 v43, v11, s34, 0xa0
	s_delay_alu instid0(VALU_DEP_1)
	v_cndmask_b32_e32 v42, v43, v42, vcc_lo
	v_add3_u32 v43, v0, v26, 0xe0
	global_load_b32 v42, v42, s[20:21] scale_offset
	global_store_b32 v43, v41, s[24:25] scale_offset
	s_wait_loadcnt 0x0
	global_store_b32 v43, v42, s[22:23] scale_offset
	s_wait_xcnt 0x0
	s_or_b32 exec_lo, exec_lo, s15
	s_and_saveexec_b32 s15, s77
	s_cbranch_execz .LBB12_70
.LBB12_133:                             ;   in Loop: Header=BB12_21 Depth=1
	v_add_nc_u32_e32 v42, s34, v22
	v_add3_u32 v43, v9, s34, 0xc0
	s_delay_alu instid0(VALU_DEP_1)
	v_dual_cndmask_b32 v42, v43, v42 :: v_dual_add_nc_u32 v43, v0, v25
	global_load_b32 v42, v42, s[20:21] scale_offset
	global_store_b32 v43, v35, s[24:25] scale_offset
	s_wait_loadcnt 0x0
	global_store_b32 v43, v42, s[22:23] scale_offset
	s_wait_xcnt 0x0
	s_or_b32 exec_lo, exec_lo, s15
	s_and_saveexec_b32 s15, s78
	s_cbranch_execz .LBB12_71
.LBB12_134:                             ;   in Loop: Header=BB12_21 Depth=1
	v_add3_u32 v42, v22, s34, 32
	v_add3_u32 v43, v2, s34, 0xc0
	s_delay_alu instid0(VALU_DEP_1)
	v_cndmask_b32_e32 v42, v43, v42, vcc_lo
	v_add3_u32 v43, v0, v25, 32
	global_load_b32 v42, v42, s[20:21] scale_offset
	global_store_b32 v43, v34, s[24:25] scale_offset
	s_wait_loadcnt 0x0
	global_store_b32 v43, v42, s[22:23] scale_offset
	s_wait_xcnt 0x0
	s_or_b32 exec_lo, exec_lo, s15
	s_and_saveexec_b32 s15, s79
	s_cbranch_execz .LBB12_72
.LBB12_135:                             ;   in Loop: Header=BB12_21 Depth=1
	v_add3_u32 v42, v22, s34, 64
	v_add3_u32 v43, v16, s34, 0xc0
	s_delay_alu instid0(VALU_DEP_1)
	v_cndmask_b32_e32 v42, v43, v42, vcc_lo
	v_add3_u32 v43, v0, v25, 64
	global_load_b32 v42, v42, s[20:21] scale_offset
	global_store_b32 v43, v36, s[24:25] scale_offset
	s_wait_loadcnt 0x0
	global_store_b32 v43, v42, s[22:23] scale_offset
	s_wait_xcnt 0x0
	s_or_b32 exec_lo, exec_lo, s15
	s_and_saveexec_b32 s15, s80
	s_cbranch_execz .LBB12_73
.LBB12_136:                             ;   in Loop: Header=BB12_21 Depth=1
	v_add3_u32 v42, v22, s34, 0x60
	v_add3_u32 v43, v15, s34, 0xc0
	s_delay_alu instid0(VALU_DEP_1)
	v_cndmask_b32_e32 v42, v43, v42, vcc_lo
	v_add3_u32 v43, v0, v25, 0x60
	global_load_b32 v42, v42, s[20:21] scale_offset
	global_store_b32 v43, v37, s[24:25] scale_offset
	s_wait_loadcnt 0x0
	global_store_b32 v43, v42, s[22:23] scale_offset
	s_wait_xcnt 0x0
	s_or_b32 exec_lo, exec_lo, s15
	s_and_saveexec_b32 s15, s81
	s_cbranch_execz .LBB12_74
.LBB12_137:                             ;   in Loop: Header=BB12_21 Depth=1
	v_add3_u32 v42, v22, s34, 0x80
	v_add3_u32 v43, v14, s34, 0xc0
	s_delay_alu instid0(VALU_DEP_1)
	v_cndmask_b32_e32 v42, v43, v42, vcc_lo
	v_add3_u32 v43, v0, v25, 0x80
	global_load_b32 v42, v42, s[20:21] scale_offset
	global_store_b32 v43, v38, s[24:25] scale_offset
	s_wait_loadcnt 0x0
	global_store_b32 v43, v42, s[22:23] scale_offset
	s_wait_xcnt 0x0
	s_or_b32 exec_lo, exec_lo, s15
	s_and_saveexec_b32 s15, s82
	s_cbranch_execz .LBB12_75
.LBB12_138:                             ;   in Loop: Header=BB12_21 Depth=1
	v_add3_u32 v42, v22, s34, 0xa0
	v_add3_u32 v43, v13, s34, 0xc0
	s_delay_alu instid0(VALU_DEP_1)
	v_cndmask_b32_e32 v42, v43, v42, vcc_lo
	v_add3_u32 v43, v0, v25, 0xa0
	global_load_b32 v42, v42, s[20:21] scale_offset
	global_store_b32 v43, v39, s[24:25] scale_offset
	s_wait_loadcnt 0x0
	global_store_b32 v43, v42, s[22:23] scale_offset
	s_wait_xcnt 0x0
	s_or_b32 exec_lo, exec_lo, s15
	s_and_saveexec_b32 s15, s83
	s_cbranch_execz .LBB12_76
.LBB12_139:                             ;   in Loop: Header=BB12_21 Depth=1
	v_cndmask_b32_e32 v42, v12, v22, vcc_lo
	v_add3_u32 v43, v0, v25, 0xc0
	s_delay_alu instid0(VALU_DEP_2)
	v_add3_u32 v42, v42, s34, 0xc0
	global_load_b32 v42, v42, s[20:21] scale_offset
	global_store_b32 v43, v40, s[24:25] scale_offset
	s_wait_loadcnt 0x0
	global_store_b32 v43, v42, s[22:23] scale_offset
	s_wait_xcnt 0x0
	s_or_b32 exec_lo, exec_lo, s15
	s_and_saveexec_b32 s15, s9
	s_cbranch_execz .LBB12_77
.LBB12_140:                             ;   in Loop: Header=BB12_21 Depth=1
	v_add3_u32 v42, v22, s34, 0xe0
	v_add3_u32 v43, v11, s34, 0xc0
	s_delay_alu instid0(VALU_DEP_1)
	v_cndmask_b32_e32 v42, v43, v42, vcc_lo
	v_add3_u32 v43, v0, v25, 0xe0
	global_load_b32 v42, v42, s[20:21] scale_offset
	global_store_b32 v43, v41, s[24:25] scale_offset
	s_wait_loadcnt 0x0
	global_store_b32 v43, v42, s[22:23] scale_offset
	s_wait_xcnt 0x0
	s_or_b32 exec_lo, exec_lo, s15
	s_and_saveexec_b32 s15, s84
	s_cbranch_execz .LBB12_78
.LBB12_141:                             ;   in Loop: Header=BB12_21 Depth=1
	v_add_nc_u32_e32 v42, s34, v23
	v_add3_u32 v43, v9, s34, 0xe0
	s_delay_alu instid0(VALU_DEP_1)
	v_dual_cndmask_b32 v42, v43, v42 :: v_dual_add_nc_u32 v43, v0, v24
	global_load_b32 v42, v42, s[20:21] scale_offset
	global_store_b32 v43, v35, s[24:25] scale_offset
	s_wait_loadcnt 0x0
	global_store_b32 v43, v42, s[22:23] scale_offset
	s_wait_xcnt 0x0
	s_or_b32 exec_lo, exec_lo, s15
	s_and_saveexec_b32 s15, s85
	s_cbranch_execz .LBB12_79
.LBB12_142:                             ;   in Loop: Header=BB12_21 Depth=1
	v_add3_u32 v35, v23, s34, 32
	v_add3_u32 v42, v2, s34, 0xe0
	s_delay_alu instid0(VALU_DEP_1)
	v_cndmask_b32_e32 v35, v42, v35, vcc_lo
	v_add3_u32 v42, v0, v24, 32
	global_load_b32 v35, v35, s[20:21] scale_offset
	global_store_b32 v42, v34, s[24:25] scale_offset
	s_wait_loadcnt 0x0
	global_store_b32 v42, v35, s[22:23] scale_offset
	s_wait_xcnt 0x0
	s_or_b32 exec_lo, exec_lo, s15
	s_and_saveexec_b32 s15, s10
	s_cbranch_execz .LBB12_80
.LBB12_143:                             ;   in Loop: Header=BB12_21 Depth=1
	v_add3_u32 v34, v23, s34, 64
	v_add3_u32 v35, v16, s34, 0xe0
	s_delay_alu instid0(VALU_DEP_1)
	v_cndmask_b32_e32 v34, v35, v34, vcc_lo
	v_add3_u32 v35, v0, v24, 64
	global_load_b32 v34, v34, s[20:21] scale_offset
	global_store_b32 v35, v36, s[24:25] scale_offset
	s_wait_loadcnt 0x0
	global_store_b32 v35, v34, s[22:23] scale_offset
	s_wait_xcnt 0x0
	s_or_b32 exec_lo, exec_lo, s15
	s_and_saveexec_b32 s15, s11
	s_cbranch_execz .LBB12_81
.LBB12_144:                             ;   in Loop: Header=BB12_21 Depth=1
	v_add3_u32 v34, v23, s34, 0x60
	v_add3_u32 v35, v15, s34, 0xe0
	s_delay_alu instid0(VALU_DEP_1)
	v_cndmask_b32_e32 v34, v35, v34, vcc_lo
	v_add3_u32 v35, v0, v24, 0x60
	global_load_b32 v34, v34, s[20:21] scale_offset
	global_store_b32 v35, v37, s[24:25] scale_offset
	s_wait_loadcnt 0x0
	global_store_b32 v35, v34, s[22:23] scale_offset
	s_wait_xcnt 0x0
	s_or_b32 exec_lo, exec_lo, s15
	s_and_saveexec_b32 s15, s12
	s_cbranch_execz .LBB12_82
.LBB12_145:                             ;   in Loop: Header=BB12_21 Depth=1
	v_add3_u32 v34, v23, s34, 0x80
	v_add3_u32 v35, v14, s34, 0xe0
	s_delay_alu instid0(VALU_DEP_1)
	v_cndmask_b32_e32 v34, v35, v34, vcc_lo
	v_add3_u32 v35, v0, v24, 0x80
	global_load_b32 v34, v34, s[20:21] scale_offset
	global_store_b32 v35, v38, s[24:25] scale_offset
	s_wait_loadcnt 0x0
	global_store_b32 v35, v34, s[22:23] scale_offset
	s_wait_xcnt 0x0
	s_or_b32 exec_lo, exec_lo, s15
	s_and_saveexec_b32 s15, s13
	s_cbranch_execz .LBB12_83
.LBB12_146:                             ;   in Loop: Header=BB12_21 Depth=1
	v_add3_u32 v34, v23, s34, 0xa0
	v_add3_u32 v35, v13, s34, 0xe0
	s_delay_alu instid0(VALU_DEP_1)
	v_cndmask_b32_e32 v34, v35, v34, vcc_lo
	v_add3_u32 v35, v0, v24, 0xa0
	global_load_b32 v34, v34, s[20:21] scale_offset
	global_store_b32 v35, v39, s[24:25] scale_offset
	s_wait_loadcnt 0x0
	global_store_b32 v35, v34, s[22:23] scale_offset
	s_wait_xcnt 0x0
	s_or_b32 exec_lo, exec_lo, s15
	s_and_saveexec_b32 s15, s14
	s_cbranch_execz .LBB12_84
.LBB12_147:                             ;   in Loop: Header=BB12_21 Depth=1
	v_add3_u32 v34, v23, s34, 0xc0
	v_add3_u32 v35, v12, s34, 0xe0
	s_delay_alu instid0(VALU_DEP_1)
	v_cndmask_b32_e32 v34, v35, v34, vcc_lo
	v_add3_u32 v35, v0, v24, 0xc0
	global_load_b32 v34, v34, s[20:21] scale_offset
	global_store_b32 v35, v40, s[24:25] scale_offset
	s_wait_loadcnt 0x0
	global_store_b32 v35, v34, s[22:23] scale_offset
	s_wait_xcnt 0x0
	s_or_b32 exec_lo, exec_lo, s15
	s_and_saveexec_b32 s15, s4
	s_cbranch_execz .LBB12_20
.LBB12_148:                             ;   in Loop: Header=BB12_21 Depth=1
	v_cndmask_b32_e32 v34, v11, v23, vcc_lo
	v_add3_u32 v35, v0, v24, 0xe0
	s_delay_alu instid0(VALU_DEP_2)
	v_add3_u32 v34, v34, s34, 0xe0
	global_load_b32 v34, v34, s[20:21] scale_offset
	global_store_b32 v35, v41, s[24:25] scale_offset
	s_wait_loadcnt 0x0
	global_store_b32 v35, v34, s[22:23] scale_offset
	s_branch .LBB12_20
.LBB12_149:
	s_endpgm
	.section	.rodata,"a",@progbits
	.p2align	6, 0x0
	.amdhsa_kernel _ZN9rocsparseL35bsr2csr_block_per_row_33_256_kernelILj1024ELj256ELj32EiiiEEv20rocsparse_direction_T4_S2_21rocsparse_index_base_PKT2_PKT3_PKS2_S2_S3_PS4_PS7_PS2_
		.amdhsa_group_segment_fixed_size 0
		.amdhsa_private_segment_fixed_size 0
		.amdhsa_kernarg_size 72
		.amdhsa_user_sgpr_count 2
		.amdhsa_user_sgpr_dispatch_ptr 0
		.amdhsa_user_sgpr_queue_ptr 0
		.amdhsa_user_sgpr_kernarg_segment_ptr 1
		.amdhsa_user_sgpr_dispatch_id 0
		.amdhsa_user_sgpr_kernarg_preload_length 0
		.amdhsa_user_sgpr_kernarg_preload_offset 0
		.amdhsa_user_sgpr_private_segment_size 0
		.amdhsa_wavefront_size32 1
		.amdhsa_uses_dynamic_stack 0
		.amdhsa_enable_private_segment 0
		.amdhsa_system_sgpr_workgroup_id_x 1
		.amdhsa_system_sgpr_workgroup_id_y 0
		.amdhsa_system_sgpr_workgroup_id_z 0
		.amdhsa_system_sgpr_workgroup_info 0
		.amdhsa_system_vgpr_workitem_id 0
		.amdhsa_next_free_vgpr 44
		.amdhsa_next_free_sgpr 87
		.amdhsa_named_barrier_count 0
		.amdhsa_reserve_vcc 1
		.amdhsa_float_round_mode_32 0
		.amdhsa_float_round_mode_16_64 0
		.amdhsa_float_denorm_mode_32 3
		.amdhsa_float_denorm_mode_16_64 3
		.amdhsa_fp16_overflow 0
		.amdhsa_memory_ordered 1
		.amdhsa_forward_progress 1
		.amdhsa_inst_pref_size 68
		.amdhsa_round_robin_scheduling 0
		.amdhsa_exception_fp_ieee_invalid_op 0
		.amdhsa_exception_fp_denorm_src 0
		.amdhsa_exception_fp_ieee_div_zero 0
		.amdhsa_exception_fp_ieee_overflow 0
		.amdhsa_exception_fp_ieee_underflow 0
		.amdhsa_exception_fp_ieee_inexact 0
		.amdhsa_exception_int_div_zero 0
	.end_amdhsa_kernel
	.section	.text._ZN9rocsparseL35bsr2csr_block_per_row_33_256_kernelILj1024ELj256ELj32EiiiEEv20rocsparse_direction_T4_S2_21rocsparse_index_base_PKT2_PKT3_PKS2_S2_S3_PS4_PS7_PS2_,"axG",@progbits,_ZN9rocsparseL35bsr2csr_block_per_row_33_256_kernelILj1024ELj256ELj32EiiiEEv20rocsparse_direction_T4_S2_21rocsparse_index_base_PKT2_PKT3_PKS2_S2_S3_PS4_PS7_PS2_,comdat
.Lfunc_end12:
	.size	_ZN9rocsparseL35bsr2csr_block_per_row_33_256_kernelILj1024ELj256ELj32EiiiEEv20rocsparse_direction_T4_S2_21rocsparse_index_base_PKT2_PKT3_PKS2_S2_S3_PS4_PS7_PS2_, .Lfunc_end12-_ZN9rocsparseL35bsr2csr_block_per_row_33_256_kernelILj1024ELj256ELj32EiiiEEv20rocsparse_direction_T4_S2_21rocsparse_index_base_PKT2_PKT3_PKS2_S2_S3_PS4_PS7_PS2_
                                        ; -- End function
	.set _ZN9rocsparseL35bsr2csr_block_per_row_33_256_kernelILj1024ELj256ELj32EiiiEEv20rocsparse_direction_T4_S2_21rocsparse_index_base_PKT2_PKT3_PKS2_S2_S3_PS4_PS7_PS2_.num_vgpr, 44
	.set _ZN9rocsparseL35bsr2csr_block_per_row_33_256_kernelILj1024ELj256ELj32EiiiEEv20rocsparse_direction_T4_S2_21rocsparse_index_base_PKT2_PKT3_PKS2_S2_S3_PS4_PS7_PS2_.num_agpr, 0
	.set _ZN9rocsparseL35bsr2csr_block_per_row_33_256_kernelILj1024ELj256ELj32EiiiEEv20rocsparse_direction_T4_S2_21rocsparse_index_base_PKT2_PKT3_PKS2_S2_S3_PS4_PS7_PS2_.numbered_sgpr, 87
	.set _ZN9rocsparseL35bsr2csr_block_per_row_33_256_kernelILj1024ELj256ELj32EiiiEEv20rocsparse_direction_T4_S2_21rocsparse_index_base_PKT2_PKT3_PKS2_S2_S3_PS4_PS7_PS2_.num_named_barrier, 0
	.set _ZN9rocsparseL35bsr2csr_block_per_row_33_256_kernelILj1024ELj256ELj32EiiiEEv20rocsparse_direction_T4_S2_21rocsparse_index_base_PKT2_PKT3_PKS2_S2_S3_PS4_PS7_PS2_.private_seg_size, 0
	.set _ZN9rocsparseL35bsr2csr_block_per_row_33_256_kernelILj1024ELj256ELj32EiiiEEv20rocsparse_direction_T4_S2_21rocsparse_index_base_PKT2_PKT3_PKS2_S2_S3_PS4_PS7_PS2_.uses_vcc, 1
	.set _ZN9rocsparseL35bsr2csr_block_per_row_33_256_kernelILj1024ELj256ELj32EiiiEEv20rocsparse_direction_T4_S2_21rocsparse_index_base_PKT2_PKT3_PKS2_S2_S3_PS4_PS7_PS2_.uses_flat_scratch, 0
	.set _ZN9rocsparseL35bsr2csr_block_per_row_33_256_kernelILj1024ELj256ELj32EiiiEEv20rocsparse_direction_T4_S2_21rocsparse_index_base_PKT2_PKT3_PKS2_S2_S3_PS4_PS7_PS2_.has_dyn_sized_stack, 0
	.set _ZN9rocsparseL35bsr2csr_block_per_row_33_256_kernelILj1024ELj256ELj32EiiiEEv20rocsparse_direction_T4_S2_21rocsparse_index_base_PKT2_PKT3_PKS2_S2_S3_PS4_PS7_PS2_.has_recursion, 0
	.set _ZN9rocsparseL35bsr2csr_block_per_row_33_256_kernelILj1024ELj256ELj32EiiiEEv20rocsparse_direction_T4_S2_21rocsparse_index_base_PKT2_PKT3_PKS2_S2_S3_PS4_PS7_PS2_.has_indirect_call, 0
	.section	.AMDGPU.csdata,"",@progbits
; Kernel info:
; codeLenInByte = 8584
; TotalNumSgprs: 89
; NumVgprs: 44
; ScratchSize: 0
; MemoryBound: 0
; FloatMode: 240
; IeeeMode: 1
; LDSByteSize: 0 bytes/workgroup (compile time only)
; SGPRBlocks: 0
; VGPRBlocks: 2
; NumSGPRsForWavesPerEU: 89
; NumVGPRsForWavesPerEU: 44
; NamedBarCnt: 0
; Occupancy: 16
; WaveLimiterHint : 1
; COMPUTE_PGM_RSRC2:SCRATCH_EN: 0
; COMPUTE_PGM_RSRC2:USER_SGPR: 2
; COMPUTE_PGM_RSRC2:TRAP_HANDLER: 0
; COMPUTE_PGM_RSRC2:TGID_X_EN: 1
; COMPUTE_PGM_RSRC2:TGID_Y_EN: 0
; COMPUTE_PGM_RSRC2:TGID_Z_EN: 0
; COMPUTE_PGM_RSRC2:TIDIG_COMP_CNT: 0
	.section	.text._ZN9rocsparseL35bsr2csr_block_dim_equals_one_kernelILj1024EiliEEvT2_S1_21rocsparse_index_base_PKT0_PKT1_PKS1_S2_PS3_PS6_PS1_,"axG",@progbits,_ZN9rocsparseL35bsr2csr_block_dim_equals_one_kernelILj1024EiliEEvT2_S1_21rocsparse_index_base_PKT0_PKT1_PKS1_S2_PS3_PS6_PS1_,comdat
	.globl	_ZN9rocsparseL35bsr2csr_block_dim_equals_one_kernelILj1024EiliEEvT2_S1_21rocsparse_index_base_PKT0_PKT1_PKS1_S2_PS3_PS6_PS1_ ; -- Begin function _ZN9rocsparseL35bsr2csr_block_dim_equals_one_kernelILj1024EiliEEvT2_S1_21rocsparse_index_base_PKT0_PKT1_PKS1_S2_PS3_PS6_PS1_
	.p2align	8
	.type	_ZN9rocsparseL35bsr2csr_block_dim_equals_one_kernelILj1024EiliEEvT2_S1_21rocsparse_index_base_PKT0_PKT1_PKS1_S2_PS3_PS6_PS1_,@function
_ZN9rocsparseL35bsr2csr_block_dim_equals_one_kernelILj1024EiliEEvT2_S1_21rocsparse_index_base_PKT0_PKT1_PKS1_S2_PS3_PS6_PS1_: ; @_ZN9rocsparseL35bsr2csr_block_dim_equals_one_kernelILj1024EiliEEvT2_S1_21rocsparse_index_base_PKT0_PKT1_PKS1_S2_PS3_PS6_PS1_
; %bb.0:
	s_bfe_u32 s3, ttmp6, 0x4000c
	s_clause 0x1
	s_load_b32 s2, s[0:1], 0x0
	s_load_b64 s[4:5], s[0:1], 0x18
	s_add_co_i32 s3, s3, 1
	s_and_b32 s6, ttmp6, 15
	s_mul_i32 s3, ttmp9, s3
	s_getreg_b32 s7, hwreg(HW_REG_IB_STS2, 6, 4)
	s_add_co_i32 s6, s6, s3
	s_cmp_eq_u32 s7, 0
	s_cselect_b32 s3, ttmp9, s6
	s_delay_alu instid0(SALU_CYCLE_1) | instskip(SKIP_2) | instid1(VALU_DEP_1)
	s_lshl_b32 s18, s3, 10
	s_mov_b32 s3, exec_lo
	v_or_b32_e32 v2, s18, v0
	v_ashrrev_i32_e32 v3, 31, v2
	s_wait_kmcnt 0x0
	v_cmpx_le_i32_e64 s2, v2
	s_xor_b32 s3, exec_lo, s3
	s_delay_alu instid0(SALU_CYCLE_1)
	s_or_saveexec_b32 s3, s3
	s_clause 0x1
	s_load_b32 s6, s[0:1], 0x8
	s_load_b32 s8, s[0:1], 0x28
	s_xor_b32 exec_lo, exec_lo, s3
	s_cbranch_execz .LBB13_6
; %bb.1:
	s_load_b64 s[10:11], s[0:1], 0x38
	s_mov_b32 s7, 0
                                        ; implicit-def: $sgpr12_sgpr13
	s_mov_b32 s9, exec_lo
	v_cmpx_ne_u32_e32 0, v2
	s_xor_b32 s14, exec_lo, s9
	s_cbranch_execz .LBB13_3
; %bb.2:
	s_mov_b32 s9, s7
	s_wait_kmcnt 0x0
	s_sub_nc_u64 s[12:13], s[8:9], s[6:7]
.LBB13_3:
	s_or_saveexec_b32 s14, s14
	v_mov_b64_e32 v[4:5], s[12:13]
	s_xor_b32 exec_lo, exec_lo, s14
	s_cbranch_execz .LBB13_5
; %bb.4:
	s_load_b64 s[12:13], s[4:5], 0x0
	s_mov_b32 s9, 0
	v_mov_b32_e32 v1, 0
	s_mov_b32 s7, s9
	s_wait_kmcnt 0x0
	s_sub_nc_u64 s[16:17], s[8:9], s[6:7]
	s_delay_alu instid0(SALU_CYCLE_1) | instskip(SKIP_1) | instid1(SALU_CYCLE_1)
	v_mov_b64_e32 v[4:5], s[16:17]
	s_add_nc_u64 s[12:13], s[16:17], s[12:13]
	v_mov_b64_e32 v[6:7], s[12:13]
	global_store_b64 v1, v[6:7], s[10:11]
.LBB13_5:
	s_wait_xcnt 0x0
	s_or_b32 exec_lo, exec_lo, s14
	global_load_b64 v[6:7], v2, s[4:5] offset:8 scale_offset
	s_wait_loadcnt 0x0
	v_add_nc_u64_e32 v[4:5], v[4:5], v[6:7]
	s_wait_kmcnt 0x0
	global_store_b64 v2, v[4:5], s[10:11] offset:8 scale_offset
.LBB13_6:
	s_wait_xcnt 0x0
	s_or_b32 exec_lo, exec_lo, s3
	s_ashr_i32 s3, s2, 31
	s_clause 0x3
	s_load_b64 s[10:11], s[0:1], 0x40
	s_load_b64 s[12:13], s[0:1], 0x10
	;; [unrolled: 1-line block ×4, first 2 shown]
	s_lshl_b64 s[2:3], s[2:3], 3
	s_delay_alu instid0(SALU_CYCLE_1)
	s_add_nc_u64 s[2:3], s[4:5], s[2:3]
	s_clause 0x1
	s_load_b64 s[20:21], s[2:3], 0x0
	s_load_b64 s[22:23], s[4:5], 0x0
	s_wait_xcnt 0x0
	s_mov_b32 s4, exec_lo
	s_wait_kmcnt 0x0
	s_sub_nc_u64 s[2:3], s[20:21], s[22:23]
	s_delay_alu instid0(SALU_CYCLE_1)
	v_cmpx_gt_i64_e64 s[2:3], v[2:3]
	s_cbranch_execz .LBB13_9
; %bb.7:
	s_load_b32 s0, s[0:1], 0x48
	s_wait_xcnt 0x0
	s_sub_co_i32 s1, s8, s6
	s_mov_b32 s4, 0
	s_wait_kmcnt 0x0
	s_lshl_b32 s0, s0, 10
	s_delay_alu instid0(SALU_CYCLE_1)
	v_add3_u32 v0, s0, s18, v0
.LBB13_8:                               ; =>This Inner Loop Header: Depth=1
	v_lshlrev_b64_e32 v[2:3], 2, v[2:3]
	s_delay_alu instid0(VALU_DEP_2) | instskip(NEXT) | instid1(VALU_DEP_1)
	v_ashrrev_i32_e32 v1, 31, v0
	v_cmp_le_i64_e32 vcc_lo, s[2:3], v[0:1]
	s_delay_alu instid0(VALU_DEP_3)
	v_add_nc_u64_e32 v[4:5], s[14:15], v[2:3]
	v_add_nc_u64_e32 v[6:7], s[12:13], v[2:3]
	global_load_b32 v8, v[4:5], off
	global_load_b32 v9, v[6:7], off
	s_wait_xcnt 0x1
	v_add_nc_u64_e32 v[4:5], s[16:17], v[2:3]
	s_wait_xcnt 0x0
	v_add_nc_u64_e32 v[6:7], s[10:11], v[2:3]
	v_mov_b64_e32 v[2:3], v[0:1]
	v_add_nc_u32_e32 v0, s0, v0
	s_or_b32 s4, vcc_lo, s4
	s_wait_loadcnt 0x1
	v_add_nc_u32_e32 v1, s1, v8
	s_wait_loadcnt 0x0
	global_store_b32 v[4:5], v9, off
	global_store_b32 v[6:7], v1, off
	s_wait_xcnt 0x0
	s_and_not1_b32 exec_lo, exec_lo, s4
	s_cbranch_execnz .LBB13_8
.LBB13_9:
	s_endpgm
	.section	.rodata,"a",@progbits
	.p2align	6, 0x0
	.amdhsa_kernel _ZN9rocsparseL35bsr2csr_block_dim_equals_one_kernelILj1024EiliEEvT2_S1_21rocsparse_index_base_PKT0_PKT1_PKS1_S2_PS3_PS6_PS1_
		.amdhsa_group_segment_fixed_size 0
		.amdhsa_private_segment_fixed_size 0
		.amdhsa_kernarg_size 328
		.amdhsa_user_sgpr_count 2
		.amdhsa_user_sgpr_dispatch_ptr 0
		.amdhsa_user_sgpr_queue_ptr 0
		.amdhsa_user_sgpr_kernarg_segment_ptr 1
		.amdhsa_user_sgpr_dispatch_id 0
		.amdhsa_user_sgpr_kernarg_preload_length 0
		.amdhsa_user_sgpr_kernarg_preload_offset 0
		.amdhsa_user_sgpr_private_segment_size 0
		.amdhsa_wavefront_size32 1
		.amdhsa_uses_dynamic_stack 0
		.amdhsa_enable_private_segment 0
		.amdhsa_system_sgpr_workgroup_id_x 1
		.amdhsa_system_sgpr_workgroup_id_y 0
		.amdhsa_system_sgpr_workgroup_id_z 0
		.amdhsa_system_sgpr_workgroup_info 0
		.amdhsa_system_vgpr_workitem_id 0
		.amdhsa_next_free_vgpr 10
		.amdhsa_next_free_sgpr 24
		.amdhsa_named_barrier_count 0
		.amdhsa_reserve_vcc 1
		.amdhsa_float_round_mode_32 0
		.amdhsa_float_round_mode_16_64 0
		.amdhsa_float_denorm_mode_32 3
		.amdhsa_float_denorm_mode_16_64 3
		.amdhsa_fp16_overflow 0
		.amdhsa_memory_ordered 1
		.amdhsa_forward_progress 1
		.amdhsa_inst_pref_size 5
		.amdhsa_round_robin_scheduling 0
		.amdhsa_exception_fp_ieee_invalid_op 0
		.amdhsa_exception_fp_denorm_src 0
		.amdhsa_exception_fp_ieee_div_zero 0
		.amdhsa_exception_fp_ieee_overflow 0
		.amdhsa_exception_fp_ieee_underflow 0
		.amdhsa_exception_fp_ieee_inexact 0
		.amdhsa_exception_int_div_zero 0
	.end_amdhsa_kernel
	.section	.text._ZN9rocsparseL35bsr2csr_block_dim_equals_one_kernelILj1024EiliEEvT2_S1_21rocsparse_index_base_PKT0_PKT1_PKS1_S2_PS3_PS6_PS1_,"axG",@progbits,_ZN9rocsparseL35bsr2csr_block_dim_equals_one_kernelILj1024EiliEEvT2_S1_21rocsparse_index_base_PKT0_PKT1_PKS1_S2_PS3_PS6_PS1_,comdat
.Lfunc_end13:
	.size	_ZN9rocsparseL35bsr2csr_block_dim_equals_one_kernelILj1024EiliEEvT2_S1_21rocsparse_index_base_PKT0_PKT1_PKS1_S2_PS3_PS6_PS1_, .Lfunc_end13-_ZN9rocsparseL35bsr2csr_block_dim_equals_one_kernelILj1024EiliEEvT2_S1_21rocsparse_index_base_PKT0_PKT1_PKS1_S2_PS3_PS6_PS1_
                                        ; -- End function
	.set _ZN9rocsparseL35bsr2csr_block_dim_equals_one_kernelILj1024EiliEEvT2_S1_21rocsparse_index_base_PKT0_PKT1_PKS1_S2_PS3_PS6_PS1_.num_vgpr, 10
	.set _ZN9rocsparseL35bsr2csr_block_dim_equals_one_kernelILj1024EiliEEvT2_S1_21rocsparse_index_base_PKT0_PKT1_PKS1_S2_PS3_PS6_PS1_.num_agpr, 0
	.set _ZN9rocsparseL35bsr2csr_block_dim_equals_one_kernelILj1024EiliEEvT2_S1_21rocsparse_index_base_PKT0_PKT1_PKS1_S2_PS3_PS6_PS1_.numbered_sgpr, 24
	.set _ZN9rocsparseL35bsr2csr_block_dim_equals_one_kernelILj1024EiliEEvT2_S1_21rocsparse_index_base_PKT0_PKT1_PKS1_S2_PS3_PS6_PS1_.num_named_barrier, 0
	.set _ZN9rocsparseL35bsr2csr_block_dim_equals_one_kernelILj1024EiliEEvT2_S1_21rocsparse_index_base_PKT0_PKT1_PKS1_S2_PS3_PS6_PS1_.private_seg_size, 0
	.set _ZN9rocsparseL35bsr2csr_block_dim_equals_one_kernelILj1024EiliEEvT2_S1_21rocsparse_index_base_PKT0_PKT1_PKS1_S2_PS3_PS6_PS1_.uses_vcc, 1
	.set _ZN9rocsparseL35bsr2csr_block_dim_equals_one_kernelILj1024EiliEEvT2_S1_21rocsparse_index_base_PKT0_PKT1_PKS1_S2_PS3_PS6_PS1_.uses_flat_scratch, 0
	.set _ZN9rocsparseL35bsr2csr_block_dim_equals_one_kernelILj1024EiliEEvT2_S1_21rocsparse_index_base_PKT0_PKT1_PKS1_S2_PS3_PS6_PS1_.has_dyn_sized_stack, 0
	.set _ZN9rocsparseL35bsr2csr_block_dim_equals_one_kernelILj1024EiliEEvT2_S1_21rocsparse_index_base_PKT0_PKT1_PKS1_S2_PS3_PS6_PS1_.has_recursion, 0
	.set _ZN9rocsparseL35bsr2csr_block_dim_equals_one_kernelILj1024EiliEEvT2_S1_21rocsparse_index_base_PKT0_PKT1_PKS1_S2_PS3_PS6_PS1_.has_indirect_call, 0
	.section	.AMDGPU.csdata,"",@progbits
; Kernel info:
; codeLenInByte = 568
; TotalNumSgprs: 26
; NumVgprs: 10
; ScratchSize: 0
; MemoryBound: 0
; FloatMode: 240
; IeeeMode: 1
; LDSByteSize: 0 bytes/workgroup (compile time only)
; SGPRBlocks: 0
; VGPRBlocks: 0
; NumSGPRsForWavesPerEU: 26
; NumVGPRsForWavesPerEU: 10
; NamedBarCnt: 0
; Occupancy: 16
; WaveLimiterHint : 0
; COMPUTE_PGM_RSRC2:SCRATCH_EN: 0
; COMPUTE_PGM_RSRC2:USER_SGPR: 2
; COMPUTE_PGM_RSRC2:TRAP_HANDLER: 0
; COMPUTE_PGM_RSRC2:TGID_X_EN: 1
; COMPUTE_PGM_RSRC2:TGID_Y_EN: 0
; COMPUTE_PGM_RSRC2:TGID_Z_EN: 0
; COMPUTE_PGM_RSRC2:TIDIG_COMP_CNT: 0
	.section	.text._ZN9rocsparseL32bsr2csr_block_per_row_2_7_kernelILj256ELj2EiliEEv20rocsparse_direction_T3_S2_21rocsparse_index_base_PKT1_PKT2_PKS2_S2_S3_PS4_PS7_PS2_,"axG",@progbits,_ZN9rocsparseL32bsr2csr_block_per_row_2_7_kernelILj256ELj2EiliEEv20rocsparse_direction_T3_S2_21rocsparse_index_base_PKT1_PKT2_PKS2_S2_S3_PS4_PS7_PS2_,comdat
	.globl	_ZN9rocsparseL32bsr2csr_block_per_row_2_7_kernelILj256ELj2EiliEEv20rocsparse_direction_T3_S2_21rocsparse_index_base_PKT1_PKT2_PKS2_S2_S3_PS4_PS7_PS2_ ; -- Begin function _ZN9rocsparseL32bsr2csr_block_per_row_2_7_kernelILj256ELj2EiliEEv20rocsparse_direction_T3_S2_21rocsparse_index_base_PKT1_PKT2_PKS2_S2_S3_PS4_PS7_PS2_
	.p2align	8
	.type	_ZN9rocsparseL32bsr2csr_block_per_row_2_7_kernelILj256ELj2EiliEEv20rocsparse_direction_T3_S2_21rocsparse_index_base_PKT1_PKT2_PKS2_S2_S3_PS4_PS7_PS2_,@function
_ZN9rocsparseL32bsr2csr_block_per_row_2_7_kernelILj256ELj2EiliEEv20rocsparse_direction_T3_S2_21rocsparse_index_base_PKT1_PKT2_PKS2_S2_S3_PS4_PS7_PS2_: ; @_ZN9rocsparseL32bsr2csr_block_per_row_2_7_kernelILj256ELj2EiliEEv20rocsparse_direction_T3_S2_21rocsparse_index_base_PKT1_PKT2_PKS2_S2_S3_PS4_PS7_PS2_
; %bb.0:
	s_load_b64 s[4:5], s[0:1], 0x18
	s_bfe_u32 s2, ttmp6, 0x4000c
	s_and_b32 s3, ttmp6, 15
	s_add_co_i32 s2, s2, 1
	s_getreg_b32 s6, hwreg(HW_REG_IB_STS2, 6, 4)
	s_mul_i32 s2, ttmp9, s2
	s_delay_alu instid0(SALU_CYCLE_1)
	s_add_co_i32 s3, s3, s2
	s_cmp_eq_u32 s6, 0
	s_clause 0x1
	s_load_b32 s2, s[0:1], 0x2c
	s_load_b64 s[14:15], s[0:1], 0x38
	s_cselect_b32 s12, ttmp9, s3
	s_delay_alu instid0(SALU_CYCLE_1)
	s_ashr_i32 s13, s12, 31
	v_or_b32_e32 v1, s12, v0
	s_lshl_b64 s[6:7], s[12:13], 3
	s_wait_kmcnt 0x0
	s_add_nc_u64 s[8:9], s[4:5], s[6:7]
	s_load_b128 s[4:7], s[8:9], 0x0
	s_wait_xcnt 0x0
	s_mov_b32 s9, 0
	s_mov_b32 s8, exec_lo
	s_mov_b32 s3, s9
	v_cmpx_eq_u32_e32 0, v1
	s_cbranch_execz .LBB14_2
; %bb.1:
	v_mov_b64_e32 v[2:3], s[2:3]
	v_mov_b32_e32 v1, 0
	global_store_b64 v1, v[2:3], s[14:15]
.LBB14_2:
	s_wait_xcnt 0x0
	s_or_b32 exec_lo, exec_lo, s8
	s_load_b32 s8, s[0:1], 0xc
	v_dual_mov_b32 v3, 0 :: v_dual_bitop2_b32 v2, 1, v0 bitop3:0x40
	s_delay_alu instid0(VALU_DEP_1) | instskip(SKIP_3) | instid1(VALU_DEP_1)
	v_dual_mov_b32 v5, v3 :: v_dual_lshrrev_b32 v4, 1, v0
	s_wait_kmcnt 0x0
	s_sub_nc_u64 s[10:11], s[4:5], s[8:9]
	s_sub_nc_u64 s[6:7], s[6:7], s[8:9]
	v_add_nc_u64_e32 v[0:1], s[10:11], v[4:5]
	s_sub_nc_u64 s[16:17], s[6:7], s[10:11]
	s_delay_alu instid0(SALU_CYCLE_1) | instskip(NEXT) | instid1(SALU_CYCLE_1)
	s_lshl_b64 s[16:17], s[16:17], 1
	v_mul_u64_e32 v[10:11], s[16:17], v[2:3]
	v_lshl_or_b32 v3, s12, 1, v2
	s_add_nc_u64 s[12:13], s[16:17], s[2:3]
	s_mov_b32 s3, exec_lo
	s_delay_alu instid0(VALU_DEP_1) | instskip(NEXT) | instid1(VALU_DEP_3)
	v_add_nc_u32_e32 v3, 1, v3
	v_lshl_add_u64 v[12:13], s[10:11], 2, v[10:11]
	s_delay_alu instid0(VALU_DEP_1)
	v_add_nc_u64_e32 v[6:7], s[12:13], v[12:13]
	global_store_b64 v3, v[6:7], s[14:15] scale_offset
	s_wait_xcnt 0x0
	v_cmpx_gt_i64_e64 s[6:7], v[0:1]
	s_cbranch_execz .LBB14_10
; %bb.3:
	v_add_nc_u64_e32 v[6:7], s[4:5], v[4:5]
	s_clause 0x2
	s_load_b64 s[12:13], s[0:1], 0x20
	s_load_b64 s[14:15], s[0:1], 0x30
	s_load_b32 s3, s[0:1], 0x0
	s_mov_b32 s20, -1
	v_lshlrev_b32_e32 v8, 2, v2
	v_sub_nc_u64_e64 v[6:7], v[6:7], s[8:9]
	s_delay_alu instid0(VALU_DEP_1) | instskip(NEXT) | instid1(VALU_DEP_1)
	v_add_nc_u64_e32 v[6:7], 0x80, v[6:7]
	v_max_i64 v[6:7], v[6:7], s[6:7]
	s_wait_kmcnt 0x0
	s_cmp_eq_u32 s3, 0
	s_mov_b32 s3, 0
	s_cselect_b32 vcc_lo, -1, 0
	s_not_b64 s[16:17], s[4:5]
	s_delay_alu instid0(SALU_CYCLE_1) | instskip(SKIP_1) | instid1(VALU_DEP_1)
	s_add_nc_u64 s[18:19], s[16:17], s[8:9]
	s_load_b64 s[16:17], s[0:1], 0x10
	v_add_nc_u64_e32 v[6:7], s[18:19], v[6:7]
	s_load_b64 s[18:19], s[0:1], 0x40
	s_wait_xcnt 0x0
	s_mov_b32 s1, exec_lo
	s_delay_alu instid0(VALU_DEP_1) | instskip(SKIP_1) | instid1(VALU_DEP_2)
	v_sub_nc_u64_e32 v[4:5], v[6:7], v[4:5]
	v_lshlrev_b32_e32 v6, 3, v2
	v_cmpx_lt_u64_e32 0x7f, v[4:5]
	s_cbranch_execz .LBB14_7
; %bb.4:
	v_lshrrev_b64 v[2:3], 7, v[4:5]
	v_dual_mov_b32 v7, 0 :: v_dual_mov_b32 v16, v12
	v_lshl_add_u64 v[4:5], v[0:1], 2, s[12:13]
	s_mov_b32 s22, s8
	s_mov_b32 s23, s8
	s_wait_kmcnt 0x0
	v_add_nc_u64_e32 v[20:21], s[16:17], v[6:7]
	v_add_nc_u64_e32 v[14:15], 1, v[2:3]
	;; [unrolled: 1-line block ×3, first 2 shown]
	v_mov_b32_e32 v9, v7
	v_add_nc_u64_e32 v[22:23], 0x200, v[4:5]
	s_mov_b32 s20, s10
	s_mov_b32 s21, s11
	;; [unrolled: 1-line block ×3, first 2 shown]
	v_dual_mov_b32 v19, v15 :: v_dual_bitop2_b32 v18, -2, v14 bitop3:0x40
	v_mov_b32_e32 v17, v13
	v_mov_b64_e32 v[4:5], v[2:3]
	v_add_nc_u64_e32 v[24:25], s[16:17], v[8:9]
	v_mov_b64_e32 v[2:3], v[0:1]
	v_mov_b64_e32 v[26:27], v[18:19]
.LBB14_5:                               ; =>This Inner Loop Header: Depth=1
	s_delay_alu instid0(VALU_DEP_2)
	v_lshlrev_b64_e32 v[28:29], 4, v[2:3]
	v_lshlrev_b64_e32 v[30:31], 4, v[4:5]
	s_clause 0x1
	global_load_b32 v7, v[22:23], off offset:-512
	global_load_b32 v9, v[22:23], off
	v_add_nc_u64_e32 v[26:27], -2, v[26:27]
	s_wait_xcnt 0x0
	v_add_nc_u64_e32 v[22:23], 0x400, v[22:23]
	v_add_nc_u64_e32 v[32:33], v[20:21], v[28:29]
	;; [unrolled: 1-line block ×5, first 2 shown]
	v_cmp_eq_u64_e64 s0, 0, v[26:27]
	v_add_nc_u64_e32 v[36:37], 4, v[32:33]
	v_add_nc_u64_e32 v[38:39], 4, v[34:35]
	;; [unrolled: 1-line block ×4, first 2 shown]
	v_dual_cndmask_b32 v29, v29, v33 :: v_dual_cndmask_b32 v28, v28, v32
	v_dual_cndmask_b32 v31, v31, v35 :: v_dual_cndmask_b32 v30, v30, v34
	s_or_b32 s3, s0, s3
	s_delay_alu instid0(VALU_DEP_3) | instskip(NEXT) | instid1(VALU_DEP_4)
	v_dual_cndmask_b32 v33, v41, v39, vcc_lo :: v_dual_cndmask_b32 v35, v43, v37, vcc_lo
	v_dual_cndmask_b32 v34, v42, v36, vcc_lo :: v_dual_cndmask_b32 v32, v40, v38, vcc_lo
	global_load_b32 v44, v[28:29], off
	global_load_b32 v45, v[30:31], off
	;; [unrolled: 1-line block ×4, first 2 shown]
	s_wait_xcnt 0x3
	v_sub_nc_u64_e64 v[28:29], v[2:3], s[10:11]
	s_wait_xcnt 0x2
	v_sub_nc_u64_e64 v[30:31], v[4:5], s[20:21]
	v_add_nc_u64_e32 v[4:5], 0x100, v[4:5]
	v_add_nc_u64_e32 v[2:3], 0x100, v[2:3]
	s_delay_alu instid0(VALU_DEP_4) | instskip(NEXT) | instid1(VALU_DEP_4)
	v_lshl_add_u64 v[28:29], v[28:29], 1, v[12:13]
	v_lshl_add_u64 v[30:31], v[30:31], 1, v[16:17]
	s_wait_xcnt 0x0
	s_delay_alu instid0(VALU_DEP_2) | instskip(NEXT) | instid1(VALU_DEP_2)
	v_lshlrev_b64_e32 v[32:33], 2, v[28:29]
	v_lshlrev_b64_e32 v[34:35], 2, v[30:31]
	s_delay_alu instid0(VALU_DEP_2) | instskip(NEXT) | instid1(VALU_DEP_2)
	v_add_nc_u64_e32 v[36:37], s[18:19], v[32:33]
	v_add_nc_u64_e32 v[38:39], s[18:19], v[34:35]
	;; [unrolled: 1-line block ×4, first 2 shown]
	s_wait_loadcnt 0x5
	v_subrev_nc_u32_e32 v7, s22, v7
	s_wait_loadcnt 0x4
	v_subrev_nc_u32_e32 v9, s23, v9
	s_delay_alu instid0(VALU_DEP_2) | instskip(SKIP_1) | instid1(VALU_DEP_3)
	v_lshl_add_u32 v7, v7, 1, s2
	v_or_b32_e32 v28, 1, v28
	v_lshl_add_u32 v9, v9, 1, s24
	s_delay_alu instid0(VALU_DEP_3) | instskip(NEXT) | instid1(VALU_DEP_3)
	v_dual_add_nc_u32 v48, 1, v7 :: v_dual_bitop2_b32 v30, 1, v30 bitop3:0x54
	v_lshlrev_b64_e32 v[28:29], 2, v[28:29]
	s_delay_alu instid0(VALU_DEP_3) | instskip(NEXT) | instid1(VALU_DEP_3)
	v_add_nc_u32_e32 v49, 1, v9
	v_lshlrev_b64_e32 v[30:31], 2, v[30:31]
	s_delay_alu instid0(VALU_DEP_3) | instskip(SKIP_1) | instid1(VALU_DEP_3)
	v_add_nc_u64_e32 v[40:41], s[18:19], v[28:29]
	v_add_nc_u64_e32 v[28:29], s[14:15], v[28:29]
	v_add_nc_u64_e32 v[42:43], s[18:19], v[30:31]
	v_add_nc_u64_e32 v[30:31], s[14:15], v[30:31]
	s_clause 0x3
	global_store_b32 v[36:37], v7, off
	global_store_b32 v[38:39], v9, off
	;; [unrolled: 1-line block ×4, first 2 shown]
	s_wait_loadcnt 0x3
	global_store_b32 v[32:33], v44, off
	s_wait_loadcnt 0x2
	global_store_b32 v[34:35], v45, off
	;; [unrolled: 2-line block ×4, first 2 shown]
	s_wait_xcnt 0x0
	s_and_not1_b32 exec_lo, exec_lo, s3
	s_cbranch_execnz .LBB14_5
; %bb.6:
	s_or_b32 exec_lo, exec_lo, s3
	v_lshlrev_b64_e32 v[2:3], 7, v[18:19]
	v_cmp_ne_u64_e64 s0, v[14:15], v[18:19]
	s_delay_alu instid0(VALU_DEP_2)
	v_add_nc_u64_e32 v[0:1], v[0:1], v[2:3]
	s_or_not1_b32 s20, s0, exec_lo
.LBB14_7:
	s_or_b32 exec_lo, exec_lo, s1
	s_delay_alu instid0(SALU_CYCLE_1)
	s_and_b32 exec_lo, exec_lo, s20
	s_cbranch_execz .LBB14_10
; %bb.8:
	s_delay_alu instid0(VALU_DEP_1) | instskip(SKIP_4) | instid1(VALU_DEP_2)
	v_add_nc_u64_e32 v[2:3], s[4:5], v[0:1]
	s_lshl_b64 s[0:1], s[8:9], 1
	v_mov_b32_e32 v9, 0
	s_wait_kmcnt 0x0
	v_lshl_add_u64 v[12:13], v[0:1], 4, s[16:17]
	v_mov_b32_e32 v7, v9
	s_delay_alu instid0(VALU_DEP_4) | instskip(NEXT) | instid1(VALU_DEP_1)
	v_lshl_add_u64 v[2:3], v[2:3], 1, v[10:11]
	v_sub_nc_u64_e64 v[2:3], v[2:3], s[0:1]
	s_mov_b32 s1, 0
	s_delay_alu instid0(VALU_DEP_1) | instskip(SKIP_1) | instid1(VALU_DEP_2)
	v_lshl_add_u64 v[10:11], v[2:3], 2, 4
	v_lshl_add_u64 v[2:3], v[0:1], 2, s[12:13]
	v_add_nc_u64_e32 v[4:5], s[14:15], v[10:11]
	v_add_nc_u64_e32 v[10:11], s[18:19], v[10:11]
.LBB14_9:                               ; =>This Inner Loop Header: Depth=1
	v_add_nc_u64_e32 v[14:15], v[12:13], v[6:7]
	v_add_nc_u64_e32 v[16:17], v[12:13], v[8:9]
	global_load_b32 v22, v[2:3], off
	v_add_nc_u64_e32 v[0:1], 0x80, v[0:1]
	s_wait_xcnt 0x0
	v_add_nc_u64_e32 v[2:3], 0x200, v[2:3]
	v_add_nc_u64_e32 v[12:13], 0x800, v[12:13]
	v_add_nc_u64_e32 v[18:19], 4, v[14:15]
	v_add_nc_u64_e32 v[20:21], 8, v[16:17]
	v_dual_cndmask_b32 v15, v17, v15 :: v_dual_cndmask_b32 v14, v16, v14
	v_cmp_le_i64_e64 s0, s[6:7], v[0:1]
	s_delay_alu instid0(VALU_DEP_3)
	v_dual_cndmask_b32 v17, v21, v19 :: v_dual_cndmask_b32 v16, v20, v18
	global_load_b32 v18, v[14:15], off
	global_load_b32 v19, v[16:17], off
	s_or_b32 s1, s0, s1
	s_wait_loadcnt 0x2
	s_wait_xcnt 0x1
	v_subrev_nc_u32_e32 v14, s8, v22
	s_delay_alu instid0(VALU_DEP_1) | instskip(NEXT) | instid1(VALU_DEP_1)
	v_lshl_add_u32 v14, v14, 1, s2
	v_add_nc_u32_e32 v15, 1, v14
	global_store_b64 v[10:11], v[14:15], off offset:-4
	s_wait_xcnt 0x0
	v_add_nc_u64_e32 v[10:11], 0x400, v[10:11]
	s_wait_loadcnt 0x0
	global_store_b64 v[4:5], v[18:19], off offset:-4
	s_wait_xcnt 0x0
	v_add_nc_u64_e32 v[4:5], 0x400, v[4:5]
	s_and_not1_b32 exec_lo, exec_lo, s1
	s_cbranch_execnz .LBB14_9
.LBB14_10:
	s_endpgm
	.section	.rodata,"a",@progbits
	.p2align	6, 0x0
	.amdhsa_kernel _ZN9rocsparseL32bsr2csr_block_per_row_2_7_kernelILj256ELj2EiliEEv20rocsparse_direction_T3_S2_21rocsparse_index_base_PKT1_PKT2_PKS2_S2_S3_PS4_PS7_PS2_
		.amdhsa_group_segment_fixed_size 0
		.amdhsa_private_segment_fixed_size 0
		.amdhsa_kernarg_size 72
		.amdhsa_user_sgpr_count 2
		.amdhsa_user_sgpr_dispatch_ptr 0
		.amdhsa_user_sgpr_queue_ptr 0
		.amdhsa_user_sgpr_kernarg_segment_ptr 1
		.amdhsa_user_sgpr_dispatch_id 0
		.amdhsa_user_sgpr_kernarg_preload_length 0
		.amdhsa_user_sgpr_kernarg_preload_offset 0
		.amdhsa_user_sgpr_private_segment_size 0
		.amdhsa_wavefront_size32 1
		.amdhsa_uses_dynamic_stack 0
		.amdhsa_enable_private_segment 0
		.amdhsa_system_sgpr_workgroup_id_x 1
		.amdhsa_system_sgpr_workgroup_id_y 0
		.amdhsa_system_sgpr_workgroup_id_z 0
		.amdhsa_system_sgpr_workgroup_info 0
		.amdhsa_system_vgpr_workitem_id 0
		.amdhsa_next_free_vgpr 50
		.amdhsa_next_free_sgpr 25
		.amdhsa_named_barrier_count 0
		.amdhsa_reserve_vcc 1
		.amdhsa_float_round_mode_32 0
		.amdhsa_float_round_mode_16_64 0
		.amdhsa_float_denorm_mode_32 3
		.amdhsa_float_denorm_mode_16_64 3
		.amdhsa_fp16_overflow 0
		.amdhsa_memory_ordered 1
		.amdhsa_forward_progress 1
		.amdhsa_inst_pref_size 11
		.amdhsa_round_robin_scheduling 0
		.amdhsa_exception_fp_ieee_invalid_op 0
		.amdhsa_exception_fp_denorm_src 0
		.amdhsa_exception_fp_ieee_div_zero 0
		.amdhsa_exception_fp_ieee_overflow 0
		.amdhsa_exception_fp_ieee_underflow 0
		.amdhsa_exception_fp_ieee_inexact 0
		.amdhsa_exception_int_div_zero 0
	.end_amdhsa_kernel
	.section	.text._ZN9rocsparseL32bsr2csr_block_per_row_2_7_kernelILj256ELj2EiliEEv20rocsparse_direction_T3_S2_21rocsparse_index_base_PKT1_PKT2_PKS2_S2_S3_PS4_PS7_PS2_,"axG",@progbits,_ZN9rocsparseL32bsr2csr_block_per_row_2_7_kernelILj256ELj2EiliEEv20rocsparse_direction_T3_S2_21rocsparse_index_base_PKT1_PKT2_PKS2_S2_S3_PS4_PS7_PS2_,comdat
.Lfunc_end14:
	.size	_ZN9rocsparseL32bsr2csr_block_per_row_2_7_kernelILj256ELj2EiliEEv20rocsparse_direction_T3_S2_21rocsparse_index_base_PKT1_PKT2_PKS2_S2_S3_PS4_PS7_PS2_, .Lfunc_end14-_ZN9rocsparseL32bsr2csr_block_per_row_2_7_kernelILj256ELj2EiliEEv20rocsparse_direction_T3_S2_21rocsparse_index_base_PKT1_PKT2_PKS2_S2_S3_PS4_PS7_PS2_
                                        ; -- End function
	.set _ZN9rocsparseL32bsr2csr_block_per_row_2_7_kernelILj256ELj2EiliEEv20rocsparse_direction_T3_S2_21rocsparse_index_base_PKT1_PKT2_PKS2_S2_S3_PS4_PS7_PS2_.num_vgpr, 50
	.set _ZN9rocsparseL32bsr2csr_block_per_row_2_7_kernelILj256ELj2EiliEEv20rocsparse_direction_T3_S2_21rocsparse_index_base_PKT1_PKT2_PKS2_S2_S3_PS4_PS7_PS2_.num_agpr, 0
	.set _ZN9rocsparseL32bsr2csr_block_per_row_2_7_kernelILj256ELj2EiliEEv20rocsparse_direction_T3_S2_21rocsparse_index_base_PKT1_PKT2_PKS2_S2_S3_PS4_PS7_PS2_.numbered_sgpr, 25
	.set _ZN9rocsparseL32bsr2csr_block_per_row_2_7_kernelILj256ELj2EiliEEv20rocsparse_direction_T3_S2_21rocsparse_index_base_PKT1_PKT2_PKS2_S2_S3_PS4_PS7_PS2_.num_named_barrier, 0
	.set _ZN9rocsparseL32bsr2csr_block_per_row_2_7_kernelILj256ELj2EiliEEv20rocsparse_direction_T3_S2_21rocsparse_index_base_PKT1_PKT2_PKS2_S2_S3_PS4_PS7_PS2_.private_seg_size, 0
	.set _ZN9rocsparseL32bsr2csr_block_per_row_2_7_kernelILj256ELj2EiliEEv20rocsparse_direction_T3_S2_21rocsparse_index_base_PKT1_PKT2_PKS2_S2_S3_PS4_PS7_PS2_.uses_vcc, 1
	.set _ZN9rocsparseL32bsr2csr_block_per_row_2_7_kernelILj256ELj2EiliEEv20rocsparse_direction_T3_S2_21rocsparse_index_base_PKT1_PKT2_PKS2_S2_S3_PS4_PS7_PS2_.uses_flat_scratch, 0
	.set _ZN9rocsparseL32bsr2csr_block_per_row_2_7_kernelILj256ELj2EiliEEv20rocsparse_direction_T3_S2_21rocsparse_index_base_PKT1_PKT2_PKS2_S2_S3_PS4_PS7_PS2_.has_dyn_sized_stack, 0
	.set _ZN9rocsparseL32bsr2csr_block_per_row_2_7_kernelILj256ELj2EiliEEv20rocsparse_direction_T3_S2_21rocsparse_index_base_PKT1_PKT2_PKS2_S2_S3_PS4_PS7_PS2_.has_recursion, 0
	.set _ZN9rocsparseL32bsr2csr_block_per_row_2_7_kernelILj256ELj2EiliEEv20rocsparse_direction_T3_S2_21rocsparse_index_base_PKT1_PKT2_PKS2_S2_S3_PS4_PS7_PS2_.has_indirect_call, 0
	.section	.AMDGPU.csdata,"",@progbits
; Kernel info:
; codeLenInByte = 1380
; TotalNumSgprs: 27
; NumVgprs: 50
; ScratchSize: 0
; MemoryBound: 0
; FloatMode: 240
; IeeeMode: 1
; LDSByteSize: 0 bytes/workgroup (compile time only)
; SGPRBlocks: 0
; VGPRBlocks: 3
; NumSGPRsForWavesPerEU: 27
; NumVGPRsForWavesPerEU: 50
; NamedBarCnt: 0
; Occupancy: 16
; WaveLimiterHint : 1
; COMPUTE_PGM_RSRC2:SCRATCH_EN: 0
; COMPUTE_PGM_RSRC2:USER_SGPR: 2
; COMPUTE_PGM_RSRC2:TRAP_HANDLER: 0
; COMPUTE_PGM_RSRC2:TGID_X_EN: 1
; COMPUTE_PGM_RSRC2:TGID_Y_EN: 0
; COMPUTE_PGM_RSRC2:TGID_Z_EN: 0
; COMPUTE_PGM_RSRC2:TIDIG_COMP_CNT: 0
	.section	.text._ZN9rocsparseL32bsr2csr_block_per_row_2_7_kernelILj256ELj3EiliEEv20rocsparse_direction_T3_S2_21rocsparse_index_base_PKT1_PKT2_PKS2_S2_S3_PS4_PS7_PS2_,"axG",@progbits,_ZN9rocsparseL32bsr2csr_block_per_row_2_7_kernelILj256ELj3EiliEEv20rocsparse_direction_T3_S2_21rocsparse_index_base_PKT1_PKT2_PKS2_S2_S3_PS4_PS7_PS2_,comdat
	.globl	_ZN9rocsparseL32bsr2csr_block_per_row_2_7_kernelILj256ELj3EiliEEv20rocsparse_direction_T3_S2_21rocsparse_index_base_PKT1_PKT2_PKS2_S2_S3_PS4_PS7_PS2_ ; -- Begin function _ZN9rocsparseL32bsr2csr_block_per_row_2_7_kernelILj256ELj3EiliEEv20rocsparse_direction_T3_S2_21rocsparse_index_base_PKT1_PKT2_PKS2_S2_S3_PS4_PS7_PS2_
	.p2align	8
	.type	_ZN9rocsparseL32bsr2csr_block_per_row_2_7_kernelILj256ELj3EiliEEv20rocsparse_direction_T3_S2_21rocsparse_index_base_PKT1_PKT2_PKS2_S2_S3_PS4_PS7_PS2_,@function
_ZN9rocsparseL32bsr2csr_block_per_row_2_7_kernelILj256ELj3EiliEEv20rocsparse_direction_T3_S2_21rocsparse_index_base_PKT1_PKT2_PKS2_S2_S3_PS4_PS7_PS2_: ; @_ZN9rocsparseL32bsr2csr_block_per_row_2_7_kernelILj256ELj3EiliEEv20rocsparse_direction_T3_S2_21rocsparse_index_base_PKT1_PKT2_PKS2_S2_S3_PS4_PS7_PS2_
; %bb.0:
	s_clause 0x1
	s_load_b32 s2, s[0:1], 0x2c
	s_load_b64 s[12:13], s[0:1], 0x38
	s_bfe_u32 s3, ttmp6, 0x4000c
	s_and_b32 s4, ttmp6, 15
	s_add_co_i32 s3, s3, 1
	s_getreg_b32 s5, hwreg(HW_REG_IB_STS2, 6, 4)
	s_mul_i32 s3, ttmp9, s3
	s_delay_alu instid0(SALU_CYCLE_1) | instskip(SKIP_3) | instid1(SALU_CYCLE_1)
	s_add_co_i32 s4, s4, s3
	s_cmp_eq_u32 s5, 0
	s_mov_b32 s3, exec_lo
	s_cselect_b32 s14, ttmp9, s4
	v_or_b32_e32 v1, s14, v0
	s_delay_alu instid0(VALU_DEP_1)
	v_cmpx_eq_u32_e32 0, v1
	s_cbranch_execz .LBB15_2
; %bb.1:
	s_wait_kmcnt 0x0
	v_dual_mov_b32 v2, s2 :: v_dual_mov_b32 v3, 0
	global_store_b64 v3, v[2:3], s[12:13]
.LBB15_2:
	s_wait_xcnt 0x0
	s_or_b32 exec_lo, exec_lo, s3
	v_and_b32_e32 v2, 3, v0
	s_mov_b32 s3, exec_lo
	s_delay_alu instid0(VALU_DEP_1)
	v_cmpx_ne_u32_e32 3, v2
	s_cbranch_execz .LBB15_11
; %bb.3:
	s_clause 0x1
	s_load_b64 s[4:5], s[0:1], 0x18
	s_load_b32 s8, s[0:1], 0xc
	s_ashr_i32 s15, s14, 31
	s_mov_b32 s9, 0
	s_lshl_b64 s[6:7], s[14:15], 3
	v_dual_mov_b32 v3, 0 :: v_dual_lshrrev_b32 v4, 2, v0
	s_mov_b32 s3, s9
	s_delay_alu instid0(VALU_DEP_1)
	v_mov_b32_e32 v5, v3
	s_wait_kmcnt 0x0
	s_add_nc_u64 s[10:11], s[4:5], s[6:7]
	s_load_b128 s[4:7], s[10:11], 0x0
	s_wait_kmcnt 0x0
	s_sub_nc_u64 s[10:11], s[4:5], s[8:9]
	s_sub_nc_u64 s[6:7], s[6:7], s[8:9]
	s_mul_u64 s[18:19], s[10:11], 9
	s_sub_nc_u64 s[16:17], s[6:7], s[10:11]
	v_add_nc_u64_e32 v[0:1], s[10:11], v[4:5]
	s_mul_u64 s[16:17], s[16:17], 3
	s_delay_alu instid0(SALU_CYCLE_1) | instskip(SKIP_2) | instid1(VALU_DEP_2)
	v_mul_u64_e32 v[10:11], s[16:17], v[2:3]
	s_add_nc_u64 s[16:17], s[16:17], s[2:3]
	s_mul_i32 s3, s14, 3
	v_cmp_gt_i64_e32 vcc_lo, s[6:7], v[0:1]
	v_add3_u32 v3, v2, s3, 1
	s_delay_alu instid0(VALU_DEP_3) | instskip(NEXT) | instid1(VALU_DEP_1)
	v_add_nc_u64_e32 v[12:13], s[18:19], v[10:11]
	v_add_nc_u64_e32 v[6:7], s[16:17], v[12:13]
	global_store_b64 v3, v[6:7], s[12:13] scale_offset
	s_wait_xcnt 0x0
	s_and_b32 exec_lo, exec_lo, vcc_lo
	s_cbranch_execz .LBB15_11
; %bb.4:
	v_add_nc_u64_e32 v[6:7], s[4:5], v[4:5]
	s_clause 0x3
	s_load_b64 s[12:13], s[0:1], 0x20
	s_load_b64 s[14:15], s[0:1], 0x30
	s_load_b32 s3, s[0:1], 0x0
	s_load_b64 s[18:19], s[0:1], 0x10
	v_mul_u32_u24_e32 v3, 3, v2
	v_sub_nc_u64_e64 v[6:7], v[6:7], s[8:9]
	s_delay_alu instid0(VALU_DEP_2) | instskip(NEXT) | instid1(VALU_DEP_2)
	v_lshlrev_b32_e32 v8, 2, v3
	v_add_nc_u64_e32 v[6:7], 64, v[6:7]
	s_delay_alu instid0(VALU_DEP_1)
	v_max_i64 v[6:7], v[6:7], s[6:7]
	s_wait_kmcnt 0x0
	s_cmp_eq_u32 s3, 0
	s_mov_b32 s3, -1
	s_cselect_b32 vcc_lo, -1, 0
	s_not_b64 s[16:17], s[4:5]
	s_delay_alu instid0(SALU_CYCLE_1)
	s_add_nc_u64 s[16:17], s[16:17], s[8:9]
	s_delay_alu instid0(VALU_DEP_1) | instid1(SALU_CYCLE_1)
	v_add_nc_u64_e32 v[6:7], s[16:17], v[6:7]
	s_load_b64 s[16:17], s[0:1], 0x40
	s_wait_xcnt 0x0
	s_mov_b32 s1, exec_lo
	s_delay_alu instid0(VALU_DEP_1) | instskip(SKIP_1) | instid1(VALU_DEP_2)
	v_sub_nc_u64_e32 v[4:5], v[6:7], v[4:5]
	v_lshlrev_b32_e32 v6, 2, v2
	v_cmpx_lt_u64_e32 63, v[4:5]
	s_cbranch_execz .LBB15_8
; %bb.5:
	v_lshrrev_b64 v[2:3], 6, v[4:5]
	v_dual_mov_b32 v7, 0 :: v_dual_mov_b32 v16, v12
	v_lshl_add_u64 v[4:5], v[0:1], 2, s[12:13]
	s_mov_b32 s3, s8
	s_mov_b32 s22, s8
	s_delay_alu instid0(VALU_DEP_2) | instskip(NEXT) | instid1(VALU_DEP_4)
	v_add_nc_u64_e32 v[20:21], s[18:19], v[6:7]
	v_add_nc_u64_e32 v[14:15], 1, v[2:3]
	;; [unrolled: 1-line block ×3, first 2 shown]
	v_mov_b32_e32 v9, v7
	v_add_nc_u64_e32 v[22:23], 0x100, v[4:5]
	s_mov_b32 s20, s10
	s_mov_b32 s21, s11
	;; [unrolled: 1-line block ×3, first 2 shown]
	v_dual_mov_b32 v19, v15 :: v_dual_bitop2_b32 v18, -2, v14 bitop3:0x40
	v_mov_b32_e32 v17, v13
	v_mov_b64_e32 v[4:5], v[2:3]
	v_add_nc_u64_e32 v[24:25], s[18:19], v[8:9]
	v_mov_b64_e32 v[2:3], v[0:1]
	v_mov_b64_e32 v[26:27], v[18:19]
	s_mov_b32 s23, 0
.LBB15_6:                               ; =>This Inner Loop Header: Depth=1
	s_delay_alu instid0(VALU_DEP_4) | instskip(SKIP_1) | instid1(VALU_DEP_4)
	v_mad_nc_u64_u32 v[28:29], v4, 36, v[20:21]
	v_mul_lo_u32 v7, v5, 36
	v_mad_nc_u64_u32 v[30:31], v2, 36, v[20:21]
	v_mul_lo_u32 v9, v3, 36
	v_mad_nc_u64_u32 v[32:33], v4, 36, v[24:25]
	v_mad_nc_u64_u32 v[34:35], v2, 36, v[24:25]
	s_clause 0x1
	global_load_b32 v52, v[22:23], off offset:-256
	global_load_b32 v53, v[22:23], off
	v_add_nc_u64_e32 v[26:27], -2, v[26:27]
	s_wait_xcnt 0x0
	v_add_nc_u64_e32 v[22:23], 0x200, v[22:23]
	v_dual_add_nc_u32 v29, v7, v29 :: v_dual_add_nc_u32 v31, v9, v31
	v_dual_add_nc_u32 v33, v7, v33 :: v_dual_add_nc_u32 v35, v9, v35
	s_delay_alu instid0(VALU_DEP_2) | instskip(SKIP_1) | instid1(VALU_DEP_4)
	v_add_nc_u64_e32 v[44:45], 12, v[28:29]
	v_dual_cndmask_b32 v36, v28, v32, vcc_lo :: v_dual_cndmask_b32 v38, v30, v34, vcc_lo
	v_add_nc_u64_e32 v[46:47], 12, v[30:31]
	s_delay_alu instid0(VALU_DEP_4)
	v_add_nc_u64_e32 v[40:41], 4, v[34:35]
	v_add_nc_u64_e32 v[42:43], 4, v[32:33]
	v_dual_cndmask_b32 v37, v29, v33, vcc_lo :: v_dual_cndmask_b32 v39, v31, v35, vcc_lo
	v_add_nc_u64_e32 v[34:35], 8, v[34:35]
	v_add_nc_u64_e32 v[30:31], 24, v[30:31]
	;; [unrolled: 1-line block ×4, first 2 shown]
	v_dual_cndmask_b32 v41, v47, v41 :: v_dual_cndmask_b32 v40, v46, v40
	global_load_b32 v7, v[38:39], off
	s_wait_xcnt 0x0
	v_dual_cndmask_b32 v39, v45, v43 :: v_dual_cndmask_b32 v38, v44, v42
	v_dual_cndmask_b32 v31, v31, v35 :: v_dual_cndmask_b32 v30, v30, v34
	v_dual_cndmask_b32 v29, v29, v33 :: v_dual_cndmask_b32 v28, v28, v32
	global_load_b32 v9, v[36:37], off
	global_load_b32 v54, v[40:41], off
	;; [unrolled: 1-line block ×5, first 2 shown]
	s_wait_xcnt 0x0
	v_sub_nc_u64_e64 v[28:29], v[2:3], s[10:11]
	v_sub_nc_u64_e64 v[30:31], v[4:5], s[20:21]
	v_cmp_eq_u64_e64 s0, 0, v[26:27]
	v_add_nc_u64_e32 v[4:5], 0x80, v[4:5]
	v_add_nc_u64_e32 v[2:3], 0x80, v[2:3]
	v_mad_nc_u64_u32 v[32:33], v28, 3, v[12:13]
	v_mad_nc_u64_u32 v[34:35], v30, 3, v[16:17]
	s_or_b32 s23, s0, s23
	s_delay_alu instid0(VALU_DEP_2) | instskip(NEXT) | instid1(VALU_DEP_2)
	v_mad_u32 v33, v29, 3, v33
	v_mad_u32 v35, v31, 3, v35
	s_delay_alu instid0(VALU_DEP_2) | instskip(NEXT) | instid1(VALU_DEP_2)
	v_lshlrev_b64_e32 v[28:29], 2, v[32:33]
	v_lshlrev_b64_e32 v[30:31], 2, v[34:35]
	s_delay_alu instid0(VALU_DEP_2) | instskip(NEXT) | instid1(VALU_DEP_2)
	v_add_nc_u64_e32 v[34:35], 4, v[28:29]
	v_add_nc_u64_e32 v[36:37], 4, v[30:31]
	s_wait_kmcnt 0x0
	v_add_nc_u64_e32 v[32:33], s[16:17], v[28:29]
	v_add_nc_u64_e32 v[40:41], s[14:15], v[28:29]
	v_add_nc_u64_e32 v[28:29], 8, v[28:29]
	v_add_nc_u64_e32 v[38:39], s[16:17], v[30:31]
	v_add_nc_u64_e32 v[42:43], 8, v[30:31]
	v_add_nc_u64_e32 v[30:31], s[14:15], v[30:31]
	v_add_nc_u64_e32 v[44:45], s[16:17], v[34:35]
	v_add_nc_u64_e32 v[46:47], s[16:17], v[36:37]
	v_add_nc_u64_e32 v[34:35], s[14:15], v[34:35]
	v_add_nc_u64_e32 v[48:49], s[16:17], v[28:29]
	v_add_nc_u64_e32 v[36:37], s[14:15], v[36:37]
	v_add_nc_u64_e32 v[50:51], s[16:17], v[42:43]
	v_add_nc_u64_e32 v[28:29], s[14:15], v[28:29]
	v_add_nc_u64_e32 v[42:43], s[14:15], v[42:43]
	s_wait_loadcnt 0x7
	v_subrev_nc_u32_e32 v52, s3, v52
	s_wait_loadcnt 0x6
	v_subrev_nc_u32_e32 v53, s22, v53
	s_delay_alu instid0(VALU_DEP_2) | instskip(NEXT) | instid1(VALU_DEP_2)
	v_mad_u32 v52, v52, 3, s2
	v_mad_u32 v53, v53, 3, s24
	s_clause 0x1
	global_store_b32 v[32:33], v52, off
	global_store_b32 v[38:39], v53, off
	s_wait_xcnt 0x1
	v_dual_add_nc_u32 v32, 1, v53 :: v_dual_add_nc_u32 v33, 1, v52
	s_wait_xcnt 0x0
	v_dual_add_nc_u32 v38, 2, v53 :: v_dual_add_nc_u32 v39, 2, v52
	s_wait_loadcnt 0x5
	global_store_b32 v[40:41], v7, off
	s_wait_loadcnt 0x4
	global_store_b32 v[30:31], v9, off
	s_clause 0x3
	global_store_b32 v[44:45], v33, off
	global_store_b32 v[46:47], v32, off
	;; [unrolled: 1-line block ×4, first 2 shown]
	s_wait_loadcnt 0x3
	global_store_b32 v[34:35], v54, off
	s_wait_loadcnt 0x2
	global_store_b32 v[36:37], v55, off
	;; [unrolled: 2-line block ×4, first 2 shown]
	s_wait_xcnt 0x0
	s_and_not1_b32 exec_lo, exec_lo, s23
	s_cbranch_execnz .LBB15_6
; %bb.7:
	s_or_b32 exec_lo, exec_lo, s23
	v_lshlrev_b64_e32 v[2:3], 6, v[18:19]
	v_cmp_ne_u64_e64 s0, v[14:15], v[18:19]
	s_delay_alu instid0(VALU_DEP_2)
	v_add_nc_u64_e32 v[0:1], v[0:1], v[2:3]
	s_or_not1_b32 s3, s0, exec_lo
.LBB15_8:
	s_or_b32 exec_lo, exec_lo, s1
	s_delay_alu instid0(SALU_CYCLE_1)
	s_and_b32 exec_lo, exec_lo, s3
	s_cbranch_execz .LBB15_11
; %bb.9:
	v_mad_nc_u64_u32 v[2:3], s4, 6, v[10:11]
	s_mul_u64 s[0:1], s[8:9], 6
	v_mov_b32_e32 v9, 0
	v_lshl_add_u64 v[12:13], v[0:1], 2, s[12:13]
	s_delay_alu instid0(VALU_DEP_2) | instskip(NEXT) | instid1(VALU_DEP_4)
	v_mov_b32_e32 v7, v9
	v_mad_u32 v3, s5, 6, v3
	s_delay_alu instid0(VALU_DEP_1) | instskip(SKIP_1) | instid1(VALU_DEP_2)
	v_mad_nc_u64_u32 v[4:5], v0, 3, v[2:3]
	v_mad_nc_u64_u32 v[2:3], v0, 36, s[18:19]
	v_mad_u32 v5, v1, 3, v5
	s_delay_alu instid0(VALU_DEP_2) | instskip(NEXT) | instid1(VALU_DEP_2)
	v_mad_u32 v3, v1, 36, v3
	v_sub_nc_u64_e64 v[4:5], v[4:5], s[0:1]
	s_mov_b32 s1, 0
	s_delay_alu instid0(VALU_DEP_1) | instskip(NEXT) | instid1(VALU_DEP_1)
	v_lshl_add_u64 v[10:11], v[4:5], 2, 4
	v_add_nc_u64_e32 v[4:5], s[14:15], v[10:11]
	s_wait_kmcnt 0x0
	v_add_nc_u64_e32 v[10:11], s[16:17], v[10:11]
.LBB15_10:                              ; =>This Inner Loop Header: Depth=1
	global_load_b32 v26, v[12:13], off
	v_add_nc_u64_e32 v[14:15], v[2:3], v[6:7]
	v_add_nc_u64_e32 v[16:17], v[2:3], v[8:9]
	v_add_nc_u64_e32 v[0:1], 64, v[0:1]
	v_add_nc_u64_e32 v[2:3], 0x900, v[2:3]
	s_wait_xcnt 0x0
	v_add_nc_u64_e32 v[12:13], 0x100, v[12:13]
	v_add_nc_u64_e32 v[22:23], 12, v[14:15]
	;; [unrolled: 1-line block ×3, first 2 shown]
	v_dual_cndmask_b32 v19, v15, v17 :: v_dual_cndmask_b32 v18, v14, v16
	v_add_nc_u64_e32 v[16:17], 8, v[16:17]
	v_add_nc_u64_e32 v[24:25], 24, v[14:15]
	v_cmp_le_i64_e64 s0, s[6:7], v[0:1]
	global_load_b32 v14, v[18:19], off
	s_wait_xcnt 0x0
	v_dual_cndmask_b32 v19, v23, v21 :: v_dual_cndmask_b32 v18, v22, v20
	v_dual_cndmask_b32 v21, v25, v17 :: v_dual_cndmask_b32 v20, v24, v16
	global_load_b32 v15, v[18:19], off
	global_load_b32 v16, v[20:21], off
	s_or_b32 s1, s0, s1
	s_wait_loadcnt 0x3
	v_subrev_nc_u32_e32 v17, s8, v26
	s_wait_xcnt 0x1
	s_delay_alu instid0(VALU_DEP_1) | instskip(SKIP_1) | instid1(VALU_DEP_1)
	v_mad_u32 v18, v17, 3, s2
	s_wait_xcnt 0x0
	v_dual_add_nc_u32 v20, 2, v18 :: v_dual_add_nc_u32 v19, 1, v18
	global_store_b96 v[10:11], v[18:20], off offset:-4
	s_wait_xcnt 0x0
	v_add_nc_u64_e32 v[10:11], 0x300, v[10:11]
	s_wait_loadcnt 0x0
	global_store_b96 v[4:5], v[14:16], off offset:-4
	s_wait_xcnt 0x0
	v_add_nc_u64_e32 v[4:5], 0x300, v[4:5]
	s_and_not1_b32 exec_lo, exec_lo, s1
	s_cbranch_execnz .LBB15_10
.LBB15_11:
	s_endpgm
	.section	.rodata,"a",@progbits
	.p2align	6, 0x0
	.amdhsa_kernel _ZN9rocsparseL32bsr2csr_block_per_row_2_7_kernelILj256ELj3EiliEEv20rocsparse_direction_T3_S2_21rocsparse_index_base_PKT1_PKT2_PKS2_S2_S3_PS4_PS7_PS2_
		.amdhsa_group_segment_fixed_size 0
		.amdhsa_private_segment_fixed_size 0
		.amdhsa_kernarg_size 72
		.amdhsa_user_sgpr_count 2
		.amdhsa_user_sgpr_dispatch_ptr 0
		.amdhsa_user_sgpr_queue_ptr 0
		.amdhsa_user_sgpr_kernarg_segment_ptr 1
		.amdhsa_user_sgpr_dispatch_id 0
		.amdhsa_user_sgpr_kernarg_preload_length 0
		.amdhsa_user_sgpr_kernarg_preload_offset 0
		.amdhsa_user_sgpr_private_segment_size 0
		.amdhsa_wavefront_size32 1
		.amdhsa_uses_dynamic_stack 0
		.amdhsa_enable_private_segment 0
		.amdhsa_system_sgpr_workgroup_id_x 1
		.amdhsa_system_sgpr_workgroup_id_y 0
		.amdhsa_system_sgpr_workgroup_id_z 0
		.amdhsa_system_sgpr_workgroup_info 0
		.amdhsa_system_vgpr_workitem_id 0
		.amdhsa_next_free_vgpr 58
		.amdhsa_next_free_sgpr 25
		.amdhsa_named_barrier_count 0
		.amdhsa_reserve_vcc 1
		.amdhsa_float_round_mode_32 0
		.amdhsa_float_round_mode_16_64 0
		.amdhsa_float_denorm_mode_32 3
		.amdhsa_float_denorm_mode_16_64 3
		.amdhsa_fp16_overflow 0
		.amdhsa_memory_ordered 1
		.amdhsa_forward_progress 1
		.amdhsa_inst_pref_size 13
		.amdhsa_round_robin_scheduling 0
		.amdhsa_exception_fp_ieee_invalid_op 0
		.amdhsa_exception_fp_denorm_src 0
		.amdhsa_exception_fp_ieee_div_zero 0
		.amdhsa_exception_fp_ieee_overflow 0
		.amdhsa_exception_fp_ieee_underflow 0
		.amdhsa_exception_fp_ieee_inexact 0
		.amdhsa_exception_int_div_zero 0
	.end_amdhsa_kernel
	.section	.text._ZN9rocsparseL32bsr2csr_block_per_row_2_7_kernelILj256ELj3EiliEEv20rocsparse_direction_T3_S2_21rocsparse_index_base_PKT1_PKT2_PKS2_S2_S3_PS4_PS7_PS2_,"axG",@progbits,_ZN9rocsparseL32bsr2csr_block_per_row_2_7_kernelILj256ELj3EiliEEv20rocsparse_direction_T3_S2_21rocsparse_index_base_PKT1_PKT2_PKS2_S2_S3_PS4_PS7_PS2_,comdat
.Lfunc_end15:
	.size	_ZN9rocsparseL32bsr2csr_block_per_row_2_7_kernelILj256ELj3EiliEEv20rocsparse_direction_T3_S2_21rocsparse_index_base_PKT1_PKT2_PKS2_S2_S3_PS4_PS7_PS2_, .Lfunc_end15-_ZN9rocsparseL32bsr2csr_block_per_row_2_7_kernelILj256ELj3EiliEEv20rocsparse_direction_T3_S2_21rocsparse_index_base_PKT1_PKT2_PKS2_S2_S3_PS4_PS7_PS2_
                                        ; -- End function
	.set _ZN9rocsparseL32bsr2csr_block_per_row_2_7_kernelILj256ELj3EiliEEv20rocsparse_direction_T3_S2_21rocsparse_index_base_PKT1_PKT2_PKS2_S2_S3_PS4_PS7_PS2_.num_vgpr, 58
	.set _ZN9rocsparseL32bsr2csr_block_per_row_2_7_kernelILj256ELj3EiliEEv20rocsparse_direction_T3_S2_21rocsparse_index_base_PKT1_PKT2_PKS2_S2_S3_PS4_PS7_PS2_.num_agpr, 0
	.set _ZN9rocsparseL32bsr2csr_block_per_row_2_7_kernelILj256ELj3EiliEEv20rocsparse_direction_T3_S2_21rocsparse_index_base_PKT1_PKT2_PKS2_S2_S3_PS4_PS7_PS2_.numbered_sgpr, 25
	.set _ZN9rocsparseL32bsr2csr_block_per_row_2_7_kernelILj256ELj3EiliEEv20rocsparse_direction_T3_S2_21rocsparse_index_base_PKT1_PKT2_PKS2_S2_S3_PS4_PS7_PS2_.num_named_barrier, 0
	.set _ZN9rocsparseL32bsr2csr_block_per_row_2_7_kernelILj256ELj3EiliEEv20rocsparse_direction_T3_S2_21rocsparse_index_base_PKT1_PKT2_PKS2_S2_S3_PS4_PS7_PS2_.private_seg_size, 0
	.set _ZN9rocsparseL32bsr2csr_block_per_row_2_7_kernelILj256ELj3EiliEEv20rocsparse_direction_T3_S2_21rocsparse_index_base_PKT1_PKT2_PKS2_S2_S3_PS4_PS7_PS2_.uses_vcc, 1
	.set _ZN9rocsparseL32bsr2csr_block_per_row_2_7_kernelILj256ELj3EiliEEv20rocsparse_direction_T3_S2_21rocsparse_index_base_PKT1_PKT2_PKS2_S2_S3_PS4_PS7_PS2_.uses_flat_scratch, 0
	.set _ZN9rocsparseL32bsr2csr_block_per_row_2_7_kernelILj256ELj3EiliEEv20rocsparse_direction_T3_S2_21rocsparse_index_base_PKT1_PKT2_PKS2_S2_S3_PS4_PS7_PS2_.has_dyn_sized_stack, 0
	.set _ZN9rocsparseL32bsr2csr_block_per_row_2_7_kernelILj256ELj3EiliEEv20rocsparse_direction_T3_S2_21rocsparse_index_base_PKT1_PKT2_PKS2_S2_S3_PS4_PS7_PS2_.has_recursion, 0
	.set _ZN9rocsparseL32bsr2csr_block_per_row_2_7_kernelILj256ELj3EiliEEv20rocsparse_direction_T3_S2_21rocsparse_index_base_PKT1_PKT2_PKS2_S2_S3_PS4_PS7_PS2_.has_indirect_call, 0
	.section	.AMDGPU.csdata,"",@progbits
; Kernel info:
; codeLenInByte = 1664
; TotalNumSgprs: 27
; NumVgprs: 58
; ScratchSize: 0
; MemoryBound: 0
; FloatMode: 240
; IeeeMode: 1
; LDSByteSize: 0 bytes/workgroup (compile time only)
; SGPRBlocks: 0
; VGPRBlocks: 3
; NumSGPRsForWavesPerEU: 27
; NumVGPRsForWavesPerEU: 58
; NamedBarCnt: 0
; Occupancy: 16
; WaveLimiterHint : 1
; COMPUTE_PGM_RSRC2:SCRATCH_EN: 0
; COMPUTE_PGM_RSRC2:USER_SGPR: 2
; COMPUTE_PGM_RSRC2:TRAP_HANDLER: 0
; COMPUTE_PGM_RSRC2:TGID_X_EN: 1
; COMPUTE_PGM_RSRC2:TGID_Y_EN: 0
; COMPUTE_PGM_RSRC2:TGID_Z_EN: 0
; COMPUTE_PGM_RSRC2:TIDIG_COMP_CNT: 0
	.section	.text._ZN9rocsparseL32bsr2csr_block_per_row_2_7_kernelILj256ELj4EiliEEv20rocsparse_direction_T3_S2_21rocsparse_index_base_PKT1_PKT2_PKS2_S2_S3_PS4_PS7_PS2_,"axG",@progbits,_ZN9rocsparseL32bsr2csr_block_per_row_2_7_kernelILj256ELj4EiliEEv20rocsparse_direction_T3_S2_21rocsparse_index_base_PKT1_PKT2_PKS2_S2_S3_PS4_PS7_PS2_,comdat
	.globl	_ZN9rocsparseL32bsr2csr_block_per_row_2_7_kernelILj256ELj4EiliEEv20rocsparse_direction_T3_S2_21rocsparse_index_base_PKT1_PKT2_PKS2_S2_S3_PS4_PS7_PS2_ ; -- Begin function _ZN9rocsparseL32bsr2csr_block_per_row_2_7_kernelILj256ELj4EiliEEv20rocsparse_direction_T3_S2_21rocsparse_index_base_PKT1_PKT2_PKS2_S2_S3_PS4_PS7_PS2_
	.p2align	8
	.type	_ZN9rocsparseL32bsr2csr_block_per_row_2_7_kernelILj256ELj4EiliEEv20rocsparse_direction_T3_S2_21rocsparse_index_base_PKT1_PKT2_PKS2_S2_S3_PS4_PS7_PS2_,@function
_ZN9rocsparseL32bsr2csr_block_per_row_2_7_kernelILj256ELj4EiliEEv20rocsparse_direction_T3_S2_21rocsparse_index_base_PKT1_PKT2_PKS2_S2_S3_PS4_PS7_PS2_: ; @_ZN9rocsparseL32bsr2csr_block_per_row_2_7_kernelILj256ELj4EiliEEv20rocsparse_direction_T3_S2_21rocsparse_index_base_PKT1_PKT2_PKS2_S2_S3_PS4_PS7_PS2_
; %bb.0:
	s_load_b64 s[4:5], s[0:1], 0x18
	s_bfe_u32 s2, ttmp6, 0x4000c
	s_and_b32 s3, ttmp6, 15
	s_add_co_i32 s2, s2, 1
	s_getreg_b32 s6, hwreg(HW_REG_IB_STS2, 6, 4)
	s_mul_i32 s2, ttmp9, s2
	s_delay_alu instid0(SALU_CYCLE_1)
	s_add_co_i32 s3, s3, s2
	s_cmp_eq_u32 s6, 0
	s_clause 0x1
	s_load_b32 s2, s[0:1], 0x2c
	s_load_b64 s[14:15], s[0:1], 0x38
	s_cselect_b32 s12, ttmp9, s3
	s_delay_alu instid0(SALU_CYCLE_1)
	s_ashr_i32 s13, s12, 31
	v_or_b32_e32 v1, s12, v0
	s_lshl_b64 s[6:7], s[12:13], 3
	s_wait_kmcnt 0x0
	s_add_nc_u64 s[8:9], s[4:5], s[6:7]
	s_load_b128 s[4:7], s[8:9], 0x0
	s_wait_xcnt 0x0
	s_mov_b32 s9, 0
	s_mov_b32 s8, exec_lo
	s_mov_b32 s3, s9
	v_cmpx_eq_u32_e32 0, v1
	s_cbranch_execz .LBB16_2
; %bb.1:
	v_mov_b64_e32 v[2:3], s[2:3]
	v_mov_b32_e32 v1, 0
	global_store_b64 v1, v[2:3], s[14:15]
.LBB16_2:
	s_wait_xcnt 0x0
	s_or_b32 exec_lo, exec_lo, s8
	s_load_b32 s8, s[0:1], 0xc
	v_dual_mov_b32 v9, 0 :: v_dual_bitop2_b32 v8, 3, v0 bitop3:0x40
	v_lshrrev_b32_e32 v2, 2, v0
	s_delay_alu instid0(VALU_DEP_2) | instskip(NEXT) | instid1(VALU_DEP_1)
	v_lshl_or_b32 v6, s12, 2, v8
	v_dual_mov_b32 v3, v9 :: v_dual_add_nc_u32 v6, 1, v6
	s_wait_kmcnt 0x0
	s_sub_nc_u64 s[10:11], s[4:5], s[8:9]
	s_sub_nc_u64 s[6:7], s[6:7], s[8:9]
	s_delay_alu instid0(VALU_DEP_1) | instskip(SKIP_1) | instid1(SALU_CYCLE_1)
	v_add_nc_u64_e32 v[0:1], s[10:11], v[2:3]
	s_sub_nc_u64 s[16:17], s[6:7], s[10:11]
	s_lshl_b64 s[16:17], s[16:17], 2
	s_delay_alu instid0(SALU_CYCLE_1) | instskip(SKIP_2) | instid1(VALU_DEP_1)
	v_mul_u64_e32 v[10:11], s[16:17], v[8:9]
	s_add_nc_u64 s[12:13], s[16:17], s[2:3]
	s_mov_b32 s3, exec_lo
	v_lshl_add_u64 v[12:13], s[10:11], 4, v[10:11]
	s_delay_alu instid0(VALU_DEP_1)
	v_add_nc_u64_e32 v[4:5], s[12:13], v[12:13]
	global_store_b64 v6, v[4:5], s[14:15] scale_offset
	s_wait_xcnt 0x0
	v_cmpx_gt_i64_e64 s[6:7], v[0:1]
	s_cbranch_execz .LBB16_10
; %bb.3:
	v_add_nc_u64_e32 v[4:5], s[4:5], v[2:3]
	s_clause 0x2
	s_load_b64 s[14:15], s[0:1], 0x20
	s_load_b64 s[12:13], s[0:1], 0x30
	s_load_b32 s3, s[0:1], 0x0
	v_dual_mov_b32 v7, v9 :: v_dual_lshlrev_b32 v6, 2, v8
	s_mov_b32 s20, -1
	v_sub_nc_u64_e64 v[4:5], v[4:5], s[8:9]
	s_delay_alu instid0(VALU_DEP_1) | instskip(SKIP_2) | instid1(VALU_DEP_1)
	v_add_nc_u64_e32 v[4:5], 64, v[4:5]
	s_wait_kmcnt 0x0
	s_cmp_eq_u32 s3, 0
	v_max_i64 v[4:5], v[4:5], s[6:7]
	s_cselect_b32 vcc_lo, -1, 0
	s_not_b64 s[16:17], s[4:5]
	s_mov_b32 s3, 0
	s_add_nc_u64 s[18:19], s[16:17], s[8:9]
	s_load_b64 s[16:17], s[0:1], 0x10
	s_delay_alu instid0(VALU_DEP_1) | instskip(SKIP_3) | instid1(VALU_DEP_1)
	v_add_nc_u64_e32 v[4:5], s[18:19], v[4:5]
	s_load_b64 s[18:19], s[0:1], 0x40
	s_wait_xcnt 0x0
	s_mov_b32 s1, exec_lo
	v_sub_nc_u64_e32 v[2:3], v[4:5], v[2:3]
	s_delay_alu instid0(VALU_DEP_1)
	v_cmpx_lt_u64_e32 63, v[2:3]
	s_cbranch_execz .LBB16_7
; %bb.4:
	v_lshrrev_b64 v[2:3], 6, v[2:3]
	v_dual_mov_b32 v5, 0 :: v_dual_lshlrev_b32 v4, 2, v6
	v_lshl_add_u64 v[22:23], v[0:1], 2, s[14:15]
	v_mov_b32_e32 v21, v13
	s_mov_b32 s22, s8
	s_mov_b32 s23, s8
	s_delay_alu instid0(VALU_DEP_4)
	v_add_nc_u64_e32 v[14:15], 1, v[2:3]
	v_add_nc_u64_e32 v[2:3], 64, v[0:1]
	s_wait_kmcnt 0x0
	v_add_nc_u64_e32 v[18:19], s[16:17], v[4:5]
	v_mov_b32_e32 v4, v6
	v_add_nc_u64_e32 v[22:23], 0x100, v[22:23]
	s_mov_b32 s20, s10
	s_mov_b32 s21, s11
	v_dual_mov_b32 v17, v15 :: v_dual_bitop2_b32 v16, -2, v14 bitop3:0x40
	v_mov_b32_e32 v20, v12
	v_add_nc_u64_e32 v[24:25], s[16:17], v[4:5]
	v_mov_b64_e32 v[4:5], v[2:3]
	v_mov_b64_e32 v[2:3], v[0:1]
	;; [unrolled: 1-line block ×3, first 2 shown]
	s_mov_b32 s24, s2
.LBB16_5:                               ; =>This Inner Loop Header: Depth=1
	s_delay_alu instid0(VALU_DEP_2) | instskip(NEXT) | instid1(VALU_DEP_4)
	v_lshlrev_b64_e32 v[30:31], 6, v[2:3]
	v_lshlrev_b64_e32 v[28:29], 6, v[4:5]
	s_clause 0x1
	global_load_b32 v9, v[22:23], off offset:-256
	global_load_b32 v60, v[22:23], off
	v_add_nc_u64_e32 v[26:27], -2, v[26:27]
	s_wait_xcnt 0x0
	v_add_nc_u64_e32 v[22:23], 0x200, v[22:23]
	v_add_nc_u64_e32 v[34:35], v[24:25], v[30:31]
	;; [unrolled: 1-line block ×5, first 2 shown]
	v_cmp_eq_u64_e64 s0, 0, v[26:27]
	v_add_nc_u64_e32 v[44:45], 16, v[34:35]
	v_add_nc_u64_e32 v[40:41], 4, v[30:31]
	;; [unrolled: 1-line block ×4, first 2 shown]
	v_dual_cndmask_b32 v39, v35, v31 :: v_dual_cndmask_b32 v38, v34, v30
	v_add_nc_u64_e32 v[48:49], 8, v[30:31]
	v_add_nc_u64_e32 v[52:53], 32, v[34:35]
	v_dual_cndmask_b32 v37, v33, v29 :: v_dual_cndmask_b32 v36, v32, v28
	v_add_nc_u64_e32 v[50:51], 8, v[28:29]
	v_add_nc_u64_e32 v[54:55], 32, v[32:33]
	;; [unrolled: 1-line block ×6, first 2 shown]
	global_load_b32 v61, v[38:39], off
	global_load_b32 v62, v[36:37], off
	s_wait_xcnt 0x1
	v_dual_cndmask_b32 v39, v45, v41 :: v_dual_cndmask_b32 v38, v44, v40
	s_wait_xcnt 0x0
	v_dual_cndmask_b32 v37, v47, v43 :: v_dual_cndmask_b32 v36, v46, v42
	v_dual_cndmask_b32 v43, v53, v49 :: v_dual_cndmask_b32 v42, v52, v48
	v_dual_cndmask_b32 v41, v55, v51 :: v_dual_cndmask_b32 v40, v54, v50
	v_dual_cndmask_b32 v31, v35, v31 :: v_dual_cndmask_b32 v30, v34, v30
	v_dual_cndmask_b32 v29, v33, v29 :: v_dual_cndmask_b32 v28, v32, v28
	global_load_b32 v63, v[38:39], off
	global_load_b32 v64, v[36:37], off
	;; [unrolled: 1-line block ×6, first 2 shown]
	s_wait_xcnt 0x0
	v_sub_nc_u64_e64 v[28:29], v[2:3], s[10:11]
	v_sub_nc_u64_e64 v[30:31], v[4:5], s[20:21]
	v_add_nc_u64_e32 v[4:5], 0x80, v[4:5]
	v_add_nc_u64_e32 v[2:3], 0x80, v[2:3]
	s_or_b32 s3, s0, s3
	s_delay_alu instid0(VALU_DEP_4) | instskip(NEXT) | instid1(VALU_DEP_4)
	v_lshl_add_u64 v[28:29], v[28:29], 2, v[12:13]
	v_lshl_add_u64 v[30:31], v[30:31], 2, v[20:21]
	s_delay_alu instid0(VALU_DEP_2) | instskip(NEXT) | instid1(VALU_DEP_2)
	v_lshlrev_b64_e32 v[32:33], 2, v[28:29]
	v_lshlrev_b64_e32 v[34:35], 2, v[30:31]
	v_dual_mov_b32 v39, v29 :: v_dual_bitop2_b32 v38, 1, v28 bitop3:0x54
	v_dual_mov_b32 v37, v31 :: v_dual_bitop2_b32 v36, 1, v30 bitop3:0x54
	;; [unrolled: 1-line block ×3, first 2 shown]
	v_add_nc_u64_e32 v[44:45], s[18:19], v[32:33]
	v_dual_mov_b32 v41, v31 :: v_dual_bitop2_b32 v40, 2, v30 bitop3:0x54
	v_add_nc_u64_e32 v[46:47], s[18:19], v[34:35]
	v_lshlrev_b64_e32 v[38:39], 2, v[38:39]
	v_lshlrev_b64_e32 v[36:37], 2, v[36:37]
	;; [unrolled: 1-line block ×4, first 2 shown]
	v_add_nc_u64_e32 v[32:33], s[12:13], v[32:33]
	v_add_nc_u64_e32 v[34:35], s[12:13], v[34:35]
	;; [unrolled: 1-line block ×10, first 2 shown]
	s_wait_loadcnt 0x9
	v_subrev_nc_u32_e32 v9, s22, v9
	s_wait_loadcnt 0x8
	v_subrev_nc_u32_e32 v60, s23, v60
	s_delay_alu instid0(VALU_DEP_2) | instskip(SKIP_2) | instid1(VALU_DEP_4)
	v_lshl_add_u32 v9, v9, 2, s2
	v_or_b32_e32 v28, 3, v28
	v_or_b32_e32 v30, 3, v30
	v_lshl_add_u32 v60, v60, 2, s24
	s_clause 0x1
	global_store_b32 v[44:45], v9, off
	global_store_b32 v[46:47], v60, off
	s_wait_xcnt 0x0
	v_add_nc_u32_e32 v46, 2, v9
	v_lshlrev_b64_e32 v[28:29], 2, v[28:29]
	v_add_nc_u32_e32 v44, 1, v9
	v_lshlrev_b64_e32 v[30:31], 2, v[30:31]
	v_dual_add_nc_u32 v45, 1, v60 :: v_dual_add_nc_u32 v47, 2, v60
	v_dual_add_nc_u32 v9, 3, v9 :: v_dual_add_nc_u32 v60, 3, v60
	v_add_nc_u64_e32 v[56:57], s[18:19], v[28:29]
	v_add_nc_u64_e32 v[28:29], s[12:13], v[28:29]
	;; [unrolled: 1-line block ×4, first 2 shown]
	s_clause 0x5
	global_store_b32 v[48:49], v44, off
	global_store_b32 v[50:51], v45, off
	;; [unrolled: 1-line block ×6, first 2 shown]
	s_wait_loadcnt 0x7
	global_store_b32 v[32:33], v61, off
	s_wait_loadcnt 0x6
	global_store_b32 v[34:35], v62, off
	;; [unrolled: 2-line block ×8, first 2 shown]
	s_wait_xcnt 0x0
	s_and_not1_b32 exec_lo, exec_lo, s3
	s_cbranch_execnz .LBB16_5
; %bb.6:
	s_or_b32 exec_lo, exec_lo, s3
	v_lshlrev_b64_e32 v[2:3], 6, v[16:17]
	v_cmp_ne_u64_e64 s0, v[14:15], v[16:17]
	s_delay_alu instid0(VALU_DEP_2)
	v_add_nc_u64_e32 v[0:1], v[0:1], v[2:3]
	s_or_not1_b32 s20, s0, exec_lo
.LBB16_7:
	s_or_b32 exec_lo, exec_lo, s1
	s_delay_alu instid0(SALU_CYCLE_1)
	s_and_b32 exec_lo, exec_lo, s20
	s_cbranch_execz .LBB16_10
; %bb.8:
	v_mad_nc_u64_u32 v[2:3], s4, 12, v[10:11]
	s_delay_alu instid0(VALU_DEP_2) | instskip(SKIP_3) | instid1(VALU_DEP_4)
	v_lshlrev_b64_e32 v[4:5], 2, v[0:1]
	s_mul_u64 s[0:1], s[8:9], 12
	v_lshlrev_b64_e32 v[10:11], 6, v[0:1]
	v_dual_mov_b32 v9, 0 :: v_dual_lshlrev_b32 v8, 4, v8
	v_mad_u32 v3, s5, 12, v3
	s_delay_alu instid0(VALU_DEP_1) | instskip(NEXT) | instid1(VALU_DEP_1)
	v_add_nc_u64_e32 v[2:3], v[2:3], v[4:5]
	v_sub_nc_u64_e64 v[2:3], v[2:3], s[0:1]
	s_mov_b32 s1, 0
	s_delay_alu instid0(VALU_DEP_1) | instskip(SKIP_3) | instid1(VALU_DEP_3)
	v_lshlrev_b64_e32 v[12:13], 2, v[2:3]
	v_add_nc_u64_e32 v[2:3], s[14:15], v[4:5]
	s_wait_kmcnt 0x0
	v_add_nc_u64_e32 v[4:5], s[16:17], v[10:11]
	v_add_nc_u64_e32 v[10:11], s[12:13], v[12:13]
	;; [unrolled: 1-line block ×3, first 2 shown]
.LBB16_9:                               ; =>This Inner Loop Header: Depth=1
	s_delay_alu instid0(VALU_DEP_3)
	v_add_nc_u64_e32 v[14:15], v[4:5], v[8:9]
	v_add_nc_u64_e32 v[16:17], v[4:5], v[6:7]
	global_load_b32 v32, v[2:3], off
	v_add_nc_u64_e32 v[0:1], 64, v[0:1]
	s_wait_xcnt 0x0
	v_add_nc_u64_e32 v[2:3], 0x100, v[2:3]
	v_add_nc_u64_e32 v[4:5], 0x1000, v[4:5]
	;; [unrolled: 1-line block ×8, first 2 shown]
	v_dual_cndmask_b32 v31, v17, v15 :: v_dual_cndmask_b32 v30, v16, v14
	v_dual_cndmask_b32 v19, v21, v19 :: v_dual_cndmask_b32 v18, v20, v18
	;; [unrolled: 1-line block ×3, first 2 shown]
	s_delay_alu instid0(VALU_DEP_4)
	v_dual_cndmask_b32 v23, v29, v27 :: v_dual_cndmask_b32 v22, v28, v26
	global_load_b32 v14, v[30:31], off
	global_load_b32 v15, v[18:19], off
	;; [unrolled: 1-line block ×4, first 2 shown]
	v_cmp_le_i64_e64 s0, s[6:7], v[0:1]
	s_or_b32 s1, s0, s1
	s_wait_loadcnt 0x4
	s_wait_xcnt 0x2
	v_subrev_nc_u32_e32 v18, s8, v32
	s_delay_alu instid0(VALU_DEP_1) | instskip(SKIP_1) | instid1(VALU_DEP_1)
	v_lshl_add_u32 v18, v18, 2, s2
	s_wait_xcnt 0x1
	v_dual_add_nc_u32 v20, 2, v18 :: v_dual_add_nc_u32 v19, 1, v18
	v_add_nc_u32_e32 v21, 3, v18
	global_store_b128 v[12:13], v[18:21], off
	s_wait_xcnt 0x0
	v_add_nc_u64_e32 v[12:13], 0x400, v[12:13]
	s_wait_loadcnt 0x0
	global_store_b128 v[10:11], v[14:17], off
	s_wait_xcnt 0x0
	v_add_nc_u64_e32 v[10:11], 0x400, v[10:11]
	s_and_not1_b32 exec_lo, exec_lo, s1
	s_cbranch_execnz .LBB16_9
.LBB16_10:
	s_sendmsg sendmsg(MSG_DEALLOC_VGPRS)
	s_endpgm
	.section	.rodata,"a",@progbits
	.p2align	6, 0x0
	.amdhsa_kernel _ZN9rocsparseL32bsr2csr_block_per_row_2_7_kernelILj256ELj4EiliEEv20rocsparse_direction_T3_S2_21rocsparse_index_base_PKT1_PKT2_PKS2_S2_S3_PS4_PS7_PS2_
		.amdhsa_group_segment_fixed_size 0
		.amdhsa_private_segment_fixed_size 0
		.amdhsa_kernarg_size 72
		.amdhsa_user_sgpr_count 2
		.amdhsa_user_sgpr_dispatch_ptr 0
		.amdhsa_user_sgpr_queue_ptr 0
		.amdhsa_user_sgpr_kernarg_segment_ptr 1
		.amdhsa_user_sgpr_dispatch_id 0
		.amdhsa_user_sgpr_kernarg_preload_length 0
		.amdhsa_user_sgpr_kernarg_preload_offset 0
		.amdhsa_user_sgpr_private_segment_size 0
		.amdhsa_wavefront_size32 1
		.amdhsa_uses_dynamic_stack 0
		.amdhsa_enable_private_segment 0
		.amdhsa_system_sgpr_workgroup_id_x 1
		.amdhsa_system_sgpr_workgroup_id_y 0
		.amdhsa_system_sgpr_workgroup_id_z 0
		.amdhsa_system_sgpr_workgroup_info 0
		.amdhsa_system_vgpr_workitem_id 0
		.amdhsa_next_free_vgpr 69
		.amdhsa_next_free_sgpr 25
		.amdhsa_named_barrier_count 0
		.amdhsa_reserve_vcc 1
		.amdhsa_float_round_mode_32 0
		.amdhsa_float_round_mode_16_64 0
		.amdhsa_float_denorm_mode_32 3
		.amdhsa_float_denorm_mode_16_64 3
		.amdhsa_fp16_overflow 0
		.amdhsa_memory_ordered 1
		.amdhsa_forward_progress 1
		.amdhsa_inst_pref_size 14
		.amdhsa_round_robin_scheduling 0
		.amdhsa_exception_fp_ieee_invalid_op 0
		.amdhsa_exception_fp_denorm_src 0
		.amdhsa_exception_fp_ieee_div_zero 0
		.amdhsa_exception_fp_ieee_overflow 0
		.amdhsa_exception_fp_ieee_underflow 0
		.amdhsa_exception_fp_ieee_inexact 0
		.amdhsa_exception_int_div_zero 0
	.end_amdhsa_kernel
	.section	.text._ZN9rocsparseL32bsr2csr_block_per_row_2_7_kernelILj256ELj4EiliEEv20rocsparse_direction_T3_S2_21rocsparse_index_base_PKT1_PKT2_PKS2_S2_S3_PS4_PS7_PS2_,"axG",@progbits,_ZN9rocsparseL32bsr2csr_block_per_row_2_7_kernelILj256ELj4EiliEEv20rocsparse_direction_T3_S2_21rocsparse_index_base_PKT1_PKT2_PKS2_S2_S3_PS4_PS7_PS2_,comdat
.Lfunc_end16:
	.size	_ZN9rocsparseL32bsr2csr_block_per_row_2_7_kernelILj256ELj4EiliEEv20rocsparse_direction_T3_S2_21rocsparse_index_base_PKT1_PKT2_PKS2_S2_S3_PS4_PS7_PS2_, .Lfunc_end16-_ZN9rocsparseL32bsr2csr_block_per_row_2_7_kernelILj256ELj4EiliEEv20rocsparse_direction_T3_S2_21rocsparse_index_base_PKT1_PKT2_PKS2_S2_S3_PS4_PS7_PS2_
                                        ; -- End function
	.set _ZN9rocsparseL32bsr2csr_block_per_row_2_7_kernelILj256ELj4EiliEEv20rocsparse_direction_T3_S2_21rocsparse_index_base_PKT1_PKT2_PKS2_S2_S3_PS4_PS7_PS2_.num_vgpr, 69
	.set _ZN9rocsparseL32bsr2csr_block_per_row_2_7_kernelILj256ELj4EiliEEv20rocsparse_direction_T3_S2_21rocsparse_index_base_PKT1_PKT2_PKS2_S2_S3_PS4_PS7_PS2_.num_agpr, 0
	.set _ZN9rocsparseL32bsr2csr_block_per_row_2_7_kernelILj256ELj4EiliEEv20rocsparse_direction_T3_S2_21rocsparse_index_base_PKT1_PKT2_PKS2_S2_S3_PS4_PS7_PS2_.numbered_sgpr, 25
	.set _ZN9rocsparseL32bsr2csr_block_per_row_2_7_kernelILj256ELj4EiliEEv20rocsparse_direction_T3_S2_21rocsparse_index_base_PKT1_PKT2_PKS2_S2_S3_PS4_PS7_PS2_.num_named_barrier, 0
	.set _ZN9rocsparseL32bsr2csr_block_per_row_2_7_kernelILj256ELj4EiliEEv20rocsparse_direction_T3_S2_21rocsparse_index_base_PKT1_PKT2_PKS2_S2_S3_PS4_PS7_PS2_.private_seg_size, 0
	.set _ZN9rocsparseL32bsr2csr_block_per_row_2_7_kernelILj256ELj4EiliEEv20rocsparse_direction_T3_S2_21rocsparse_index_base_PKT1_PKT2_PKS2_S2_S3_PS4_PS7_PS2_.uses_vcc, 1
	.set _ZN9rocsparseL32bsr2csr_block_per_row_2_7_kernelILj256ELj4EiliEEv20rocsparse_direction_T3_S2_21rocsparse_index_base_PKT1_PKT2_PKS2_S2_S3_PS4_PS7_PS2_.uses_flat_scratch, 0
	.set _ZN9rocsparseL32bsr2csr_block_per_row_2_7_kernelILj256ELj4EiliEEv20rocsparse_direction_T3_S2_21rocsparse_index_base_PKT1_PKT2_PKS2_S2_S3_PS4_PS7_PS2_.has_dyn_sized_stack, 0
	.set _ZN9rocsparseL32bsr2csr_block_per_row_2_7_kernelILj256ELj4EiliEEv20rocsparse_direction_T3_S2_21rocsparse_index_base_PKT1_PKT2_PKS2_S2_S3_PS4_PS7_PS2_.has_recursion, 0
	.set _ZN9rocsparseL32bsr2csr_block_per_row_2_7_kernelILj256ELj4EiliEEv20rocsparse_direction_T3_S2_21rocsparse_index_base_PKT1_PKT2_PKS2_S2_S3_PS4_PS7_PS2_.has_indirect_call, 0
	.section	.AMDGPU.csdata,"",@progbits
; Kernel info:
; codeLenInByte = 1776
; TotalNumSgprs: 27
; NumVgprs: 69
; ScratchSize: 0
; MemoryBound: 0
; FloatMode: 240
; IeeeMode: 1
; LDSByteSize: 0 bytes/workgroup (compile time only)
; SGPRBlocks: 0
; VGPRBlocks: 4
; NumSGPRsForWavesPerEU: 27
; NumVGPRsForWavesPerEU: 69
; NamedBarCnt: 0
; Occupancy: 12
; WaveLimiterHint : 1
; COMPUTE_PGM_RSRC2:SCRATCH_EN: 0
; COMPUTE_PGM_RSRC2:USER_SGPR: 2
; COMPUTE_PGM_RSRC2:TRAP_HANDLER: 0
; COMPUTE_PGM_RSRC2:TGID_X_EN: 1
; COMPUTE_PGM_RSRC2:TGID_Y_EN: 0
; COMPUTE_PGM_RSRC2:TGID_Z_EN: 0
; COMPUTE_PGM_RSRC2:TIDIG_COMP_CNT: 0
	.section	.text._ZN9rocsparseL32bsr2csr_block_per_row_2_7_kernelILj256ELj5EiliEEv20rocsparse_direction_T3_S2_21rocsparse_index_base_PKT1_PKT2_PKS2_S2_S3_PS4_PS7_PS2_,"axG",@progbits,_ZN9rocsparseL32bsr2csr_block_per_row_2_7_kernelILj256ELj5EiliEEv20rocsparse_direction_T3_S2_21rocsparse_index_base_PKT1_PKT2_PKS2_S2_S3_PS4_PS7_PS2_,comdat
	.globl	_ZN9rocsparseL32bsr2csr_block_per_row_2_7_kernelILj256ELj5EiliEEv20rocsparse_direction_T3_S2_21rocsparse_index_base_PKT1_PKT2_PKS2_S2_S3_PS4_PS7_PS2_ ; -- Begin function _ZN9rocsparseL32bsr2csr_block_per_row_2_7_kernelILj256ELj5EiliEEv20rocsparse_direction_T3_S2_21rocsparse_index_base_PKT1_PKT2_PKS2_S2_S3_PS4_PS7_PS2_
	.p2align	8
	.type	_ZN9rocsparseL32bsr2csr_block_per_row_2_7_kernelILj256ELj5EiliEEv20rocsparse_direction_T3_S2_21rocsparse_index_base_PKT1_PKT2_PKS2_S2_S3_PS4_PS7_PS2_,@function
_ZN9rocsparseL32bsr2csr_block_per_row_2_7_kernelILj256ELj5EiliEEv20rocsparse_direction_T3_S2_21rocsparse_index_base_PKT1_PKT2_PKS2_S2_S3_PS4_PS7_PS2_: ; @_ZN9rocsparseL32bsr2csr_block_per_row_2_7_kernelILj256ELj5EiliEEv20rocsparse_direction_T3_S2_21rocsparse_index_base_PKT1_PKT2_PKS2_S2_S3_PS4_PS7_PS2_
; %bb.0:
	s_clause 0x1
	s_load_b32 s2, s[0:1], 0x2c
	s_load_b64 s[14:15], s[0:1], 0x38
	s_bfe_u32 s3, ttmp6, 0x4000c
	s_and_b32 s4, ttmp6, 15
	s_add_co_i32 s3, s3, 1
	s_getreg_b32 s5, hwreg(HW_REG_IB_STS2, 6, 4)
	s_mul_i32 s3, ttmp9, s3
	s_delay_alu instid0(SALU_CYCLE_1) | instskip(SKIP_3) | instid1(SALU_CYCLE_1)
	s_add_co_i32 s4, s4, s3
	s_cmp_eq_u32 s5, 0
	s_mov_b32 s3, exec_lo
	s_cselect_b32 s16, ttmp9, s4
	v_or_b32_e32 v1, s16, v0
	s_delay_alu instid0(VALU_DEP_1)
	v_cmpx_eq_u32_e32 0, v1
	s_cbranch_execz .LBB17_2
; %bb.1:
	s_wait_kmcnt 0x0
	v_dual_mov_b32 v2, s2 :: v_dual_mov_b32 v3, 0
	global_store_b64 v3, v[2:3], s[14:15]
.LBB17_2:
	s_wait_xcnt 0x0
	s_or_b32 exec_lo, exec_lo, s3
	v_and_b32_e32 v10, 7, v0
	s_mov_b32 s3, exec_lo
	s_delay_alu instid0(VALU_DEP_1)
	v_cmpx_gt_u32_e32 5, v10
	s_cbranch_execz .LBB17_11
; %bb.3:
	s_clause 0x1
	s_load_b64 s[4:5], s[0:1], 0x18
	s_load_b32 s8, s[0:1], 0xc
	s_ashr_i32 s17, s16, 31
	s_mov_b32 s9, 0
	s_lshl_b64 s[6:7], s[16:17], 3
	v_dual_mov_b32 v3, 0 :: v_dual_lshrrev_b32 v2, 3, v0
	s_mov_b32 s3, s9
	s_wait_kmcnt 0x0
	s_add_nc_u64 s[10:11], s[4:5], s[6:7]
	s_load_b128 s[4:7], s[10:11], 0x0
	s_wait_kmcnt 0x0
	s_sub_nc_u64 s[12:13], s[4:5], s[8:9]
	s_sub_nc_u64 s[6:7], s[6:7], s[8:9]
	s_mul_u64 s[18:19], s[12:13], 25
	s_sub_nc_u64 s[10:11], s[6:7], s[12:13]
	v_add_nc_u64_e32 v[0:1], s[12:13], v[2:3]
	s_mul_u64 s[20:21], s[10:11], 5
	s_delay_alu instid0(SALU_CYCLE_1) | instskip(SKIP_2) | instid1(VALU_DEP_2)
	v_mad_nc_u64_u32 v[12:13], s20, v10, s[18:19]
	s_add_nc_u64 s[18:19], s[20:21], s[2:3]
	s_mul_i32 s3, s16, 5
	v_cmp_gt_i64_e32 vcc_lo, s[6:7], v[0:1]
	v_add3_u32 v6, v10, s3, 1
	s_delay_alu instid0(VALU_DEP_3) | instskip(NEXT) | instid1(VALU_DEP_1)
	v_mad_u32 v13, s21, v10, v13
	v_add_nc_u64_e32 v[4:5], s[18:19], v[12:13]
	global_store_b64 v6, v[4:5], s[14:15] scale_offset
	s_wait_xcnt 0x0
	s_and_b32 exec_lo, exec_lo, vcc_lo
	s_cbranch_execz .LBB17_11
; %bb.4:
	v_add_nc_u64_e32 v[4:5], s[4:5], v[2:3]
	s_clause 0x3
	s_load_b64 s[14:15], s[0:1], 0x20
	s_load_b64 s[16:17], s[0:1], 0x30
	s_load_b32 s3, s[0:1], 0x0
	s_load_b64 s[20:21], s[0:1], 0x10
	v_dual_mov_b32 v11, v3 :: v_dual_lshlrev_b32 v6, 2, v10
	v_sub_nc_u64_e64 v[4:5], v[4:5], s[8:9]
	s_delay_alu instid0(VALU_DEP_1) | instskip(SKIP_2) | instid1(VALU_DEP_1)
	v_add_nc_u64_e32 v[4:5], 32, v[4:5]
	s_wait_kmcnt 0x0
	s_cmp_eq_u32 s3, 0
	v_max_i64 v[4:5], v[4:5], s[6:7]
	s_cselect_b32 vcc_lo, -1, 0
	s_not_b64 s[18:19], s[4:5]
	s_mov_b32 s3, -1
	s_add_nc_u64 s[18:19], s[18:19], s[8:9]
	s_delay_alu instid0(VALU_DEP_1) | instid1(SALU_CYCLE_1)
	v_add_nc_u64_e32 v[4:5], s[18:19], v[4:5]
	s_load_b64 s[18:19], s[0:1], 0x40
	s_wait_xcnt 0x0
	s_mov_b32 s1, exec_lo
	s_delay_alu instid0(VALU_DEP_1) | instskip(SKIP_1) | instid1(VALU_DEP_1)
	v_sub_nc_u64_e32 v[4:5], v[4:5], v[2:3]
	v_mul_u32_u24_e32 v2, 5, v10
	v_lshlrev_b32_e32 v8, 2, v2
	s_delay_alu instid0(VALU_DEP_3)
	v_cmpx_lt_u64_e32 31, v[4:5]
	s_cbranch_execz .LBB17_8
; %bb.5:
	v_lshrrev_b64 v[2:3], 5, v[4:5]
	v_dual_mov_b32 v7, 0 :: v_dual_mov_b32 v16, v12
	v_lshl_add_u64 v[4:5], v[0:1], 2, s[14:15]
	s_mov_b32 s3, s8
	s_mov_b32 s24, s8
	s_delay_alu instid0(VALU_DEP_2) | instskip(NEXT) | instid1(VALU_DEP_4)
	v_add_nc_u64_e32 v[20:21], s[20:21], v[6:7]
	v_add_nc_u64_e32 v[14:15], 1, v[2:3]
	;; [unrolled: 1-line block ×3, first 2 shown]
	v_mov_b32_e32 v9, v7
	v_add_nc_u64_e32 v[22:23], 0x80, v[4:5]
	s_mov_b32 s22, s12
	s_mov_b32 s23, s13
	;; [unrolled: 1-line block ×3, first 2 shown]
	v_dual_mov_b32 v19, v15 :: v_dual_bitop2_b32 v18, -2, v14 bitop3:0x40
	v_mov_b32_e32 v17, v13
	v_mov_b64_e32 v[4:5], v[2:3]
	v_add_nc_u64_e32 v[24:25], s[20:21], v[8:9]
	v_mov_b64_e32 v[2:3], v[0:1]
	v_mov_b64_e32 v[26:27], v[18:19]
	s_mov_b32 s25, 0
.LBB17_6:                               ; =>This Inner Loop Header: Depth=1
	s_delay_alu instid0(VALU_DEP_4) | instskip(SKIP_1) | instid1(VALU_DEP_4)
	v_mad_nc_u64_u32 v[28:29], 0x64, v4, v[20:21]
	v_mul_lo_u32 v7, 0x64, v5
	v_mad_nc_u64_u32 v[30:31], 0x64, v2, v[20:21]
	v_mul_lo_u32 v9, 0x64, v3
	v_mad_nc_u64_u32 v[32:33], 0x64, v4, v[24:25]
	v_mad_nc_u64_u32 v[34:35], 0x64, v2, v[24:25]
	s_clause 0x1
	global_load_b32 v68, v[22:23], off offset:-128
	global_load_b32 v69, v[22:23], off
	v_add_nc_u64_e32 v[26:27], -2, v[26:27]
	s_wait_xcnt 0x0
	v_add_nc_u64_e32 v[22:23], 0x100, v[22:23]
	v_dual_add_nc_u32 v29, v7, v29 :: v_dual_add_nc_u32 v31, v9, v31
	v_dual_add_nc_u32 v33, v7, v33 :: v_dual_add_nc_u32 v35, v9, v35
	s_delay_alu instid0(VALU_DEP_2) | instskip(SKIP_1) | instid1(VALU_DEP_4)
	v_add_nc_u64_e32 v[46:47], 20, v[28:29]
	v_dual_cndmask_b32 v36, v28, v32, vcc_lo :: v_dual_cndmask_b32 v38, v30, v34, vcc_lo
	v_add_nc_u64_e32 v[44:45], 20, v[30:31]
	s_delay_alu instid0(VALU_DEP_4)
	v_add_nc_u64_e32 v[40:41], 4, v[34:35]
	v_add_nc_u64_e32 v[42:43], 4, v[32:33]
	v_dual_cndmask_b32 v37, v29, v33, vcc_lo :: v_dual_cndmask_b32 v39, v31, v35, vcc_lo
	v_add_nc_u64_e32 v[48:49], 8, v[34:35]
	v_add_nc_u64_e32 v[52:53], 40, v[30:31]
	;; [unrolled: 1-line block ×12, first 2 shown]
	global_load_b32 v7, v[38:39], off
	global_load_b32 v9, v[36:37], off
	s_wait_xcnt 0x1
	v_dual_cndmask_b32 v39, v45, v41 :: v_dual_cndmask_b32 v38, v44, v40
	s_wait_xcnt 0x0
	v_dual_cndmask_b32 v37, v47, v43 :: v_dual_cndmask_b32 v36, v46, v42
	v_dual_cndmask_b32 v43, v53, v49 :: v_dual_cndmask_b32 v42, v52, v48
	;; [unrolled: 1-line block ×7, first 2 shown]
	global_load_b32 v70, v[38:39], off
	global_load_b32 v71, v[36:37], off
	;; [unrolled: 1-line block ×8, first 2 shown]
	s_wait_xcnt 0x0
	v_sub_nc_u64_e64 v[28:29], v[2:3], s[12:13]
	v_sub_nc_u64_e64 v[30:31], v[4:5], s[22:23]
	v_cmp_eq_u64_e64 s0, 0, v[26:27]
	v_add_nc_u64_e32 v[4:5], 64, v[4:5]
	v_add_nc_u64_e32 v[2:3], 64, v[2:3]
	v_mad_nc_u64_u32 v[32:33], v28, 5, v[12:13]
	v_mad_nc_u64_u32 v[34:35], v30, 5, v[16:17]
	s_or_b32 s25, s0, s25
	s_delay_alu instid0(VALU_DEP_2) | instskip(NEXT) | instid1(VALU_DEP_2)
	v_mad_u32 v33, v29, 5, v33
	v_mad_u32 v35, v31, 5, v35
	s_delay_alu instid0(VALU_DEP_2) | instskip(NEXT) | instid1(VALU_DEP_2)
	v_lshlrev_b64_e32 v[28:29], 2, v[32:33]
	v_lshlrev_b64_e32 v[30:31], 2, v[34:35]
	s_delay_alu instid0(VALU_DEP_2) | instskip(NEXT) | instid1(VALU_DEP_2)
	v_add_nc_u64_e32 v[40:41], 4, v[28:29]
	v_add_nc_u64_e32 v[42:43], 4, v[30:31]
	s_wait_kmcnt 0x0
	v_add_nc_u64_e32 v[32:33], s[18:19], v[28:29]
	v_add_nc_u64_e32 v[44:45], 8, v[28:29]
	;; [unrolled: 1-line block ×26, first 2 shown]
	s_wait_loadcnt 0xb
	v_subrev_nc_u32_e32 v68, s3, v68
	s_wait_loadcnt 0xa
	v_subrev_nc_u32_e32 v69, s24, v69
	s_delay_alu instid0(VALU_DEP_2) | instskip(NEXT) | instid1(VALU_DEP_2)
	v_mad_u32 v68, v68, 5, s2
	v_mad_u32 v69, v69, 5, s26
	s_clause 0x1
	global_store_b32 v[32:33], v68, off
	global_store_b32 v[34:35], v69, off
	s_wait_xcnt 0x1
	v_dual_add_nc_u32 v32, 1, v68 :: v_dual_add_nc_u32 v33, 1, v69
	s_wait_xcnt 0x0
	v_dual_add_nc_u32 v34, 2, v68 :: v_dual_add_nc_u32 v35, 2, v69
	v_dual_add_nc_u32 v78, 3, v68 :: v_dual_add_nc_u32 v79, 3, v69
	;; [unrolled: 1-line block ×3, first 2 shown]
	s_wait_loadcnt 0x9
	global_store_b32 v[36:37], v7, off
	s_wait_loadcnt 0x8
	global_store_b32 v[38:39], v9, off
	s_clause 0x7
	global_store_b32 v[52:53], v32, off
	global_store_b32 v[54:55], v33, off
	;; [unrolled: 1-line block ×8, first 2 shown]
	s_wait_loadcnt 0x7
	global_store_b32 v[40:41], v70, off
	s_wait_loadcnt 0x6
	global_store_b32 v[42:43], v71, off
	;; [unrolled: 2-line block ×8, first 2 shown]
	s_wait_xcnt 0x0
	s_and_not1_b32 exec_lo, exec_lo, s25
	s_cbranch_execnz .LBB17_6
; %bb.7:
	s_or_b32 exec_lo, exec_lo, s25
	v_lshlrev_b64_e32 v[2:3], 5, v[18:19]
	v_cmp_ne_u64_e64 s0, v[14:15], v[18:19]
	s_delay_alu instid0(VALU_DEP_2)
	v_add_nc_u64_e32 v[0:1], v[0:1], v[2:3]
	s_or_not1_b32 s3, s0, exec_lo
.LBB17_8:
	s_or_b32 exec_lo, exec_lo, s1
	s_delay_alu instid0(SALU_CYCLE_1)
	s_and_b32 exec_lo, exec_lo, s3
	s_cbranch_execz .LBB17_11
; %bb.9:
	v_mul_u64_e32 v[2:3], s[10:11], v[10:11]
	s_mul_u64 s[0:1], s[4:5], 0x50
	v_mov_b32_e32 v9, 0
	v_lshl_add_u64 v[12:13], v[0:1], 2, s[14:15]
	s_mov_b64 s[4:5], 0
	s_delay_alu instid0(VALU_DEP_2) | instskip(NEXT) | instid1(VALU_DEP_4)
	v_mov_b32_e32 v7, v9
	v_mad_nc_u64_u32 v[4:5], v2, 20, s[0:1]
	s_mul_u64 s[0:1], s[8:9], 0x50
	s_delay_alu instid0(VALU_DEP_1) | instskip(SKIP_1) | instid1(VALU_DEP_2)
	v_mad_u32 v5, v3, 20, v5
	v_mad_nc_u64_u32 v[2:3], 0x64, v0, s[20:21]
	v_mad_nc_u64_u32 v[4:5], v0, 20, v[4:5]
	s_delay_alu instid0(VALU_DEP_2) | instskip(NEXT) | instid1(VALU_DEP_2)
	v_mad_u32 v3, 0x64, v1, v3
	v_mad_u32 v5, v1, 20, v5
	s_delay_alu instid0(VALU_DEP_1) | instskip(SKIP_1) | instid1(VALU_DEP_1)
	v_sub_nc_u64_e64 v[10:11], v[4:5], s[0:1]
	s_mov_b32 s1, 0
	v_add_nc_u64_e32 v[4:5], s[16:17], v[10:11]
	s_wait_kmcnt 0x0
	v_add_nc_u64_e32 v[10:11], s[18:19], v[10:11]
.LBB17_10:                              ; =>This Inner Loop Header: Depth=1
	v_add_nc_u64_e32 v[14:15], v[2:3], v[6:7]
	v_add_nc_u64_e32 v[16:17], v[2:3], v[8:9]
	global_load_b32 v34, v[12:13], off
	v_add_nc_u64_e32 v[0:1], 32, v[0:1]
	v_add_nc_u64_e32 v[2:3], 0xc80, v[2:3]
	s_wait_xcnt 0x0
	v_add_nc_u64_e32 v[12:13], 0x80, v[12:13]
	v_add_nc_u64_e32 v[22:23], 20, v[14:15]
	;; [unrolled: 1-line block ×5, first 2 shown]
	v_dual_cndmask_b32 v19, v15, v17 :: v_dual_cndmask_b32 v18, v14, v16
	v_add_nc_u64_e32 v[28:29], 12, v[16:17]
	v_add_nc_u64_e32 v[30:31], 60, v[14:15]
	;; [unrolled: 1-line block ×4, first 2 shown]
	global_load_b32 v14, v[18:19], off
	s_wait_xcnt 0x0
	v_dual_cndmask_b32 v19, v23, v21 :: v_dual_cndmask_b32 v18, v22, v20
	v_dual_cndmask_b32 v21, v27, v25 :: v_dual_cndmask_b32 v20, v26, v24
	;; [unrolled: 1-line block ×4, first 2 shown]
	global_load_b32 v15, v[18:19], off
	global_load_b32 v16, v[20:21], off
	;; [unrolled: 1-line block ×4, first 2 shown]
	v_cmp_le_i64_e64 s0, s[6:7], v[0:1]
	s_wait_xcnt 0x0
	v_add_nc_u64_e32 v[24:25], s[4:5], v[4:5]
	v_add_nc_u64_e32 v[22:23], s[4:5], v[10:11]
	s_add_nc_u64 s[4:5], s[4:5], 0x280
	s_or_b32 s1, s0, s1
	s_wait_loadcnt 0x5
	v_subrev_nc_u32_e32 v17, s8, v34
	s_delay_alu instid0(VALU_DEP_1) | instskip(NEXT) | instid1(VALU_DEP_1)
	v_mad_u32 v18, v17, 5, s2
	v_dual_add_nc_u32 v20, 2, v18 :: v_dual_add_nc_u32 v19, 1, v18
	v_dual_add_nc_u32 v29, 4, v18 :: v_dual_add_nc_u32 v28, 3, v18
	s_wait_loadcnt 0x2
	global_store_b96 v[24:25], v[14:16], off
	s_wait_loadcnt 0x0
	global_store_b64 v[24:25], v[26:27], off offset:12
	s_clause 0x1
	global_store_b96 v[22:23], v[18:20], off
	global_store_b64 v[22:23], v[28:29], off offset:12
	s_wait_xcnt 0x0
	s_and_not1_b32 exec_lo, exec_lo, s1
	s_cbranch_execnz .LBB17_10
.LBB17_11:
	s_sendmsg sendmsg(MSG_DEALLOC_VGPRS)
	s_endpgm
	.section	.rodata,"a",@progbits
	.p2align	6, 0x0
	.amdhsa_kernel _ZN9rocsparseL32bsr2csr_block_per_row_2_7_kernelILj256ELj5EiliEEv20rocsparse_direction_T3_S2_21rocsparse_index_base_PKT1_PKT2_PKS2_S2_S3_PS4_PS7_PS2_
		.amdhsa_group_segment_fixed_size 0
		.amdhsa_private_segment_fixed_size 0
		.amdhsa_kernarg_size 72
		.amdhsa_user_sgpr_count 2
		.amdhsa_user_sgpr_dispatch_ptr 0
		.amdhsa_user_sgpr_queue_ptr 0
		.amdhsa_user_sgpr_kernarg_segment_ptr 1
		.amdhsa_user_sgpr_dispatch_id 0
		.amdhsa_user_sgpr_kernarg_preload_length 0
		.amdhsa_user_sgpr_kernarg_preload_offset 0
		.amdhsa_user_sgpr_private_segment_size 0
		.amdhsa_wavefront_size32 1
		.amdhsa_uses_dynamic_stack 0
		.amdhsa_enable_private_segment 0
		.amdhsa_system_sgpr_workgroup_id_x 1
		.amdhsa_system_sgpr_workgroup_id_y 0
		.amdhsa_system_sgpr_workgroup_id_z 0
		.amdhsa_system_sgpr_workgroup_info 0
		.amdhsa_system_vgpr_workitem_id 0
		.amdhsa_next_free_vgpr 80
		.amdhsa_next_free_sgpr 27
		.amdhsa_named_barrier_count 0
		.amdhsa_reserve_vcc 1
		.amdhsa_float_round_mode_32 0
		.amdhsa_float_round_mode_16_64 0
		.amdhsa_float_denorm_mode_32 3
		.amdhsa_float_denorm_mode_16_64 3
		.amdhsa_fp16_overflow 0
		.amdhsa_memory_ordered 1
		.amdhsa_forward_progress 1
		.amdhsa_inst_pref_size 17
		.amdhsa_round_robin_scheduling 0
		.amdhsa_exception_fp_ieee_invalid_op 0
		.amdhsa_exception_fp_denorm_src 0
		.amdhsa_exception_fp_ieee_div_zero 0
		.amdhsa_exception_fp_ieee_overflow 0
		.amdhsa_exception_fp_ieee_underflow 0
		.amdhsa_exception_fp_ieee_inexact 0
		.amdhsa_exception_int_div_zero 0
	.end_amdhsa_kernel
	.section	.text._ZN9rocsparseL32bsr2csr_block_per_row_2_7_kernelILj256ELj5EiliEEv20rocsparse_direction_T3_S2_21rocsparse_index_base_PKT1_PKT2_PKS2_S2_S3_PS4_PS7_PS2_,"axG",@progbits,_ZN9rocsparseL32bsr2csr_block_per_row_2_7_kernelILj256ELj5EiliEEv20rocsparse_direction_T3_S2_21rocsparse_index_base_PKT1_PKT2_PKS2_S2_S3_PS4_PS7_PS2_,comdat
.Lfunc_end17:
	.size	_ZN9rocsparseL32bsr2csr_block_per_row_2_7_kernelILj256ELj5EiliEEv20rocsparse_direction_T3_S2_21rocsparse_index_base_PKT1_PKT2_PKS2_S2_S3_PS4_PS7_PS2_, .Lfunc_end17-_ZN9rocsparseL32bsr2csr_block_per_row_2_7_kernelILj256ELj5EiliEEv20rocsparse_direction_T3_S2_21rocsparse_index_base_PKT1_PKT2_PKS2_S2_S3_PS4_PS7_PS2_
                                        ; -- End function
	.set _ZN9rocsparseL32bsr2csr_block_per_row_2_7_kernelILj256ELj5EiliEEv20rocsparse_direction_T3_S2_21rocsparse_index_base_PKT1_PKT2_PKS2_S2_S3_PS4_PS7_PS2_.num_vgpr, 80
	.set _ZN9rocsparseL32bsr2csr_block_per_row_2_7_kernelILj256ELj5EiliEEv20rocsparse_direction_T3_S2_21rocsparse_index_base_PKT1_PKT2_PKS2_S2_S3_PS4_PS7_PS2_.num_agpr, 0
	.set _ZN9rocsparseL32bsr2csr_block_per_row_2_7_kernelILj256ELj5EiliEEv20rocsparse_direction_T3_S2_21rocsparse_index_base_PKT1_PKT2_PKS2_S2_S3_PS4_PS7_PS2_.numbered_sgpr, 27
	.set _ZN9rocsparseL32bsr2csr_block_per_row_2_7_kernelILj256ELj5EiliEEv20rocsparse_direction_T3_S2_21rocsparse_index_base_PKT1_PKT2_PKS2_S2_S3_PS4_PS7_PS2_.num_named_barrier, 0
	.set _ZN9rocsparseL32bsr2csr_block_per_row_2_7_kernelILj256ELj5EiliEEv20rocsparse_direction_T3_S2_21rocsparse_index_base_PKT1_PKT2_PKS2_S2_S3_PS4_PS7_PS2_.private_seg_size, 0
	.set _ZN9rocsparseL32bsr2csr_block_per_row_2_7_kernelILj256ELj5EiliEEv20rocsparse_direction_T3_S2_21rocsparse_index_base_PKT1_PKT2_PKS2_S2_S3_PS4_PS7_PS2_.uses_vcc, 1
	.set _ZN9rocsparseL32bsr2csr_block_per_row_2_7_kernelILj256ELj5EiliEEv20rocsparse_direction_T3_S2_21rocsparse_index_base_PKT1_PKT2_PKS2_S2_S3_PS4_PS7_PS2_.uses_flat_scratch, 0
	.set _ZN9rocsparseL32bsr2csr_block_per_row_2_7_kernelILj256ELj5EiliEEv20rocsparse_direction_T3_S2_21rocsparse_index_base_PKT1_PKT2_PKS2_S2_S3_PS4_PS7_PS2_.has_dyn_sized_stack, 0
	.set _ZN9rocsparseL32bsr2csr_block_per_row_2_7_kernelILj256ELj5EiliEEv20rocsparse_direction_T3_S2_21rocsparse_index_base_PKT1_PKT2_PKS2_S2_S3_PS4_PS7_PS2_.has_recursion, 0
	.set _ZN9rocsparseL32bsr2csr_block_per_row_2_7_kernelILj256ELj5EiliEEv20rocsparse_direction_T3_S2_21rocsparse_index_base_PKT1_PKT2_PKS2_S2_S3_PS4_PS7_PS2_.has_indirect_call, 0
	.section	.AMDGPU.csdata,"",@progbits
; Kernel info:
; codeLenInByte = 2108
; TotalNumSgprs: 29
; NumVgprs: 80
; ScratchSize: 0
; MemoryBound: 0
; FloatMode: 240
; IeeeMode: 1
; LDSByteSize: 0 bytes/workgroup (compile time only)
; SGPRBlocks: 0
; VGPRBlocks: 4
; NumSGPRsForWavesPerEU: 29
; NumVGPRsForWavesPerEU: 80
; NamedBarCnt: 0
; Occupancy: 12
; WaveLimiterHint : 1
; COMPUTE_PGM_RSRC2:SCRATCH_EN: 0
; COMPUTE_PGM_RSRC2:USER_SGPR: 2
; COMPUTE_PGM_RSRC2:TRAP_HANDLER: 0
; COMPUTE_PGM_RSRC2:TGID_X_EN: 1
; COMPUTE_PGM_RSRC2:TGID_Y_EN: 0
; COMPUTE_PGM_RSRC2:TGID_Z_EN: 0
; COMPUTE_PGM_RSRC2:TIDIG_COMP_CNT: 0
	.section	.text._ZN9rocsparseL32bsr2csr_block_per_row_2_7_kernelILj256ELj6EiliEEv20rocsparse_direction_T3_S2_21rocsparse_index_base_PKT1_PKT2_PKS2_S2_S3_PS4_PS7_PS2_,"axG",@progbits,_ZN9rocsparseL32bsr2csr_block_per_row_2_7_kernelILj256ELj6EiliEEv20rocsparse_direction_T3_S2_21rocsparse_index_base_PKT1_PKT2_PKS2_S2_S3_PS4_PS7_PS2_,comdat
	.globl	_ZN9rocsparseL32bsr2csr_block_per_row_2_7_kernelILj256ELj6EiliEEv20rocsparse_direction_T3_S2_21rocsparse_index_base_PKT1_PKT2_PKS2_S2_S3_PS4_PS7_PS2_ ; -- Begin function _ZN9rocsparseL32bsr2csr_block_per_row_2_7_kernelILj256ELj6EiliEEv20rocsparse_direction_T3_S2_21rocsparse_index_base_PKT1_PKT2_PKS2_S2_S3_PS4_PS7_PS2_
	.p2align	8
	.type	_ZN9rocsparseL32bsr2csr_block_per_row_2_7_kernelILj256ELj6EiliEEv20rocsparse_direction_T3_S2_21rocsparse_index_base_PKT1_PKT2_PKS2_S2_S3_PS4_PS7_PS2_,@function
_ZN9rocsparseL32bsr2csr_block_per_row_2_7_kernelILj256ELj6EiliEEv20rocsparse_direction_T3_S2_21rocsparse_index_base_PKT1_PKT2_PKS2_S2_S3_PS4_PS7_PS2_: ; @_ZN9rocsparseL32bsr2csr_block_per_row_2_7_kernelILj256ELj6EiliEEv20rocsparse_direction_T3_S2_21rocsparse_index_base_PKT1_PKT2_PKS2_S2_S3_PS4_PS7_PS2_
; %bb.0:
	s_clause 0x1
	s_load_b32 s2, s[0:1], 0x2c
	s_load_b64 s[14:15], s[0:1], 0x38
	s_bfe_u32 s3, ttmp6, 0x4000c
	s_and_b32 s4, ttmp6, 15
	s_add_co_i32 s3, s3, 1
	s_getreg_b32 s5, hwreg(HW_REG_IB_STS2, 6, 4)
	s_mul_i32 s3, ttmp9, s3
	s_delay_alu instid0(SALU_CYCLE_1) | instskip(SKIP_3) | instid1(SALU_CYCLE_1)
	s_add_co_i32 s4, s4, s3
	s_cmp_eq_u32 s5, 0
	s_mov_b32 s3, exec_lo
	s_cselect_b32 s16, ttmp9, s4
	v_or_b32_e32 v1, s16, v0
	s_delay_alu instid0(VALU_DEP_1)
	v_cmpx_eq_u32_e32 0, v1
	s_cbranch_execz .LBB18_2
; %bb.1:
	s_wait_kmcnt 0x0
	v_dual_mov_b32 v2, s2 :: v_dual_mov_b32 v3, 0
	global_store_b64 v3, v[2:3], s[14:15]
.LBB18_2:
	s_wait_xcnt 0x0
	s_or_b32 exec_lo, exec_lo, s3
	v_and_b32_e32 v10, 7, v0
	s_mov_b32 s3, exec_lo
	s_delay_alu instid0(VALU_DEP_1)
	v_cmpx_gt_u32_e32 6, v10
	s_cbranch_execz .LBB18_11
; %bb.3:
	s_clause 0x1
	s_load_b64 s[4:5], s[0:1], 0x18
	s_load_b32 s8, s[0:1], 0xc
	s_ashr_i32 s17, s16, 31
	s_mov_b32 s9, 0
	s_lshl_b64 s[6:7], s[16:17], 3
	v_dual_mov_b32 v3, 0 :: v_dual_lshrrev_b32 v2, 3, v0
	s_mov_b32 s3, s9
	s_wait_kmcnt 0x0
	s_add_nc_u64 s[10:11], s[4:5], s[6:7]
	s_load_b128 s[4:7], s[10:11], 0x0
	s_wait_kmcnt 0x0
	s_sub_nc_u64 s[12:13], s[4:5], s[8:9]
	s_sub_nc_u64 s[6:7], s[6:7], s[8:9]
	s_mul_u64 s[18:19], s[12:13], 36
	s_sub_nc_u64 s[10:11], s[6:7], s[12:13]
	v_add_nc_u64_e32 v[0:1], s[12:13], v[2:3]
	s_mul_u64 s[20:21], s[10:11], 6
	s_delay_alu instid0(SALU_CYCLE_1) | instskip(SKIP_2) | instid1(VALU_DEP_2)
	v_mad_nc_u64_u32 v[12:13], s20, v10, s[18:19]
	s_add_nc_u64 s[18:19], s[20:21], s[2:3]
	s_mul_i32 s3, s16, 6
	v_cmp_gt_i64_e32 vcc_lo, s[6:7], v[0:1]
	v_add3_u32 v6, v10, s3, 1
	s_delay_alu instid0(VALU_DEP_3) | instskip(NEXT) | instid1(VALU_DEP_1)
	v_mad_u32 v13, s21, v10, v13
	v_add_nc_u64_e32 v[4:5], s[18:19], v[12:13]
	global_store_b64 v6, v[4:5], s[14:15] scale_offset
	s_wait_xcnt 0x0
	s_and_b32 exec_lo, exec_lo, vcc_lo
	s_cbranch_execz .LBB18_11
; %bb.4:
	v_add_nc_u64_e32 v[4:5], s[4:5], v[2:3]
	s_clause 0x3
	s_load_b64 s[14:15], s[0:1], 0x20
	s_load_b64 s[16:17], s[0:1], 0x30
	s_load_b32 s3, s[0:1], 0x0
	s_load_b64 s[20:21], s[0:1], 0x10
	v_dual_mov_b32 v11, v3 :: v_dual_lshlrev_b32 v6, 2, v10
	v_sub_nc_u64_e64 v[4:5], v[4:5], s[8:9]
	s_delay_alu instid0(VALU_DEP_1) | instskip(SKIP_2) | instid1(VALU_DEP_1)
	v_add_nc_u64_e32 v[4:5], 32, v[4:5]
	s_wait_kmcnt 0x0
	s_cmp_eq_u32 s3, 0
	v_max_i64 v[4:5], v[4:5], s[6:7]
	s_cselect_b32 vcc_lo, -1, 0
	s_not_b64 s[18:19], s[4:5]
	s_mov_b32 s3, -1
	s_add_nc_u64 s[18:19], s[18:19], s[8:9]
	s_delay_alu instid0(VALU_DEP_1) | instid1(SALU_CYCLE_1)
	v_add_nc_u64_e32 v[4:5], s[18:19], v[4:5]
	s_load_b64 s[18:19], s[0:1], 0x40
	s_wait_xcnt 0x0
	s_mov_b32 s1, exec_lo
	s_delay_alu instid0(VALU_DEP_1) | instskip(SKIP_1) | instid1(VALU_DEP_1)
	v_sub_nc_u64_e32 v[4:5], v[4:5], v[2:3]
	v_mul_u32_u24_e32 v2, 6, v10
	v_lshlrev_b32_e32 v8, 2, v2
	s_delay_alu instid0(VALU_DEP_3)
	v_cmpx_lt_u64_e32 31, v[4:5]
	s_cbranch_execz .LBB18_8
; %bb.5:
	v_lshrrev_b64 v[2:3], 5, v[4:5]
	v_dual_mov_b32 v7, 0 :: v_dual_mov_b32 v16, v12
	v_lshl_add_u64 v[4:5], v[0:1], 2, s[14:15]
	s_mov_b32 s3, s8
	s_mov_b32 s24, s8
	s_delay_alu instid0(VALU_DEP_2) | instskip(NEXT) | instid1(VALU_DEP_4)
	v_add_nc_u64_e32 v[20:21], s[20:21], v[6:7]
	v_add_nc_u64_e32 v[14:15], 1, v[2:3]
	;; [unrolled: 1-line block ×3, first 2 shown]
	v_mov_b32_e32 v9, v7
	v_add_nc_u64_e32 v[22:23], 0x80, v[4:5]
	s_mov_b32 s22, s12
	s_mov_b32 s23, s13
	;; [unrolled: 1-line block ×3, first 2 shown]
	v_dual_mov_b32 v19, v15 :: v_dual_bitop2_b32 v18, -2, v14 bitop3:0x40
	v_mov_b32_e32 v17, v13
	v_mov_b64_e32 v[4:5], v[2:3]
	v_add_nc_u64_e32 v[24:25], s[20:21], v[8:9]
	v_mov_b64_e32 v[2:3], v[0:1]
	v_mov_b64_e32 v[26:27], v[18:19]
	s_mov_b32 s25, 0
.LBB18_6:                               ; =>This Inner Loop Header: Depth=1
	s_clause 0x1
	global_load_b32 v74, v[22:23], off offset:-128
	global_load_b32 v75, v[22:23], off
	v_mad_nc_u64_u32 v[28:29], 0x90, v4, v[20:21]
	v_mul_lo_u32 v7, 0x90, v5
	v_mad_nc_u64_u32 v[30:31], 0x90, v2, v[20:21]
	v_mul_lo_u32 v9, 0x90, v3
	v_mad_nc_u64_u32 v[32:33], 0x90, v4, v[24:25]
	v_mad_nc_u64_u32 v[34:35], 0x90, v2, v[24:25]
	v_add_nc_u64_e32 v[26:27], -2, v[26:27]
	s_wait_xcnt 0x0
	v_add_nc_u64_e32 v[22:23], 0x100, v[22:23]
	v_add_nc_u32_e32 v29, v7, v29
	s_delay_alu instid0(VALU_DEP_3) | instskip(SKIP_2) | instid1(VALU_DEP_4)
	v_cmp_eq_u64_e64 s0, 0, v[26:27]
	v_dual_add_nc_u32 v31, v9, v31 :: v_dual_add_nc_u32 v33, v7, v33
	v_add_nc_u32_e32 v35, v9, v35
	v_add_nc_u64_e32 v[46:47], 24, v[28:29]
	v_dual_cndmask_b32 v36, v28, v32, vcc_lo :: v_dual_cndmask_b32 v38, v30, v34, vcc_lo
	s_delay_alu instid0(VALU_DEP_4) | instskip(NEXT) | instid1(VALU_DEP_4)
	v_add_nc_u64_e32 v[44:45], 24, v[30:31]
	v_add_nc_u64_e32 v[40:41], 4, v[34:35]
	;; [unrolled: 1-line block ×3, first 2 shown]
	v_dual_cndmask_b32 v37, v29, v33, vcc_lo :: v_dual_cndmask_b32 v39, v31, v35, vcc_lo
	v_add_nc_u64_e32 v[48:49], 8, v[34:35]
	v_add_nc_u64_e32 v[52:53], 48, v[30:31]
	;; [unrolled: 1-line block ×16, first 2 shown]
	global_load_b32 v7, v[38:39], off
	global_load_b32 v9, v[36:37], off
	s_wait_xcnt 0x1
	v_dual_cndmask_b32 v39, v45, v41 :: v_dual_cndmask_b32 v38, v44, v40
	s_wait_xcnt 0x0
	v_dual_cndmask_b32 v37, v47, v43 :: v_dual_cndmask_b32 v36, v46, v42
	v_dual_cndmask_b32 v43, v53, v49 :: v_dual_cndmask_b32 v42, v52, v48
	;; [unrolled: 1-line block ×9, first 2 shown]
	global_load_b32 v76, v[38:39], off
	global_load_b32 v77, v[36:37], off
	global_load_b32 v78, v[42:43], off
	global_load_b32 v79, v[40:41], off
	global_load_b32 v80, v[46:47], off
	global_load_b32 v81, v[44:45], off
	global_load_b32 v82, v[50:51], off
	global_load_b32 v83, v[48:49], off
	global_load_b32 v84, v[30:31], off
	global_load_b32 v85, v[28:29], off
	s_wait_xcnt 0x0
	v_sub_nc_u64_e64 v[28:29], v[2:3], s[12:13]
	v_sub_nc_u64_e64 v[30:31], v[4:5], s[22:23]
	v_add_nc_u64_e32 v[4:5], 64, v[4:5]
	v_add_nc_u64_e32 v[2:3], 64, v[2:3]
	s_or_b32 s25, s0, s25
	s_delay_alu instid0(VALU_DEP_4) | instskip(NEXT) | instid1(VALU_DEP_4)
	v_mad_nc_u64_u32 v[32:33], v28, 6, v[12:13]
	v_mad_nc_u64_u32 v[34:35], v30, 6, v[16:17]
	s_delay_alu instid0(VALU_DEP_2) | instskip(NEXT) | instid1(VALU_DEP_2)
	v_mad_u32 v33, v29, 6, v33
	v_mad_u32 v35, v31, 6, v35
	s_delay_alu instid0(VALU_DEP_2) | instskip(NEXT) | instid1(VALU_DEP_2)
	v_lshlrev_b64_e32 v[28:29], 2, v[32:33]
	v_lshlrev_b64_e32 v[30:31], 2, v[34:35]
	s_wait_kmcnt 0x0
	s_delay_alu instid0(VALU_DEP_2) | instskip(NEXT) | instid1(VALU_DEP_2)
	v_add_nc_u64_e32 v[38:39], s[18:19], v[28:29]
	v_add_nc_u64_e32 v[40:41], s[18:19], v[30:31]
	;; [unrolled: 1-line block ×26, first 2 shown]
	s_wait_loadcnt 0xd
	v_subrev_nc_u32_e32 v74, s3, v74
	s_wait_loadcnt 0xc
	v_subrev_nc_u32_e32 v75, s24, v75
	s_delay_alu instid0(VALU_DEP_2) | instskip(NEXT) | instid1(VALU_DEP_2)
	v_mad_u32 v74, v74, 6, s2
	v_mad_u32 v75, v75, 6, s26
	v_or_b32_e32 v32, 1, v32
	v_or_b32_e32 v34, 1, v34
	s_clause 0x1
	global_store_b32 v[38:39], v74, off
	global_store_b32 v[40:41], v75, off
	s_wait_xcnt 0x0
	v_add_nc_u32_e32 v40, 1, v74
	v_lshlrev_b64_e32 v[32:33], 2, v[32:33]
	v_add_nc_u32_e32 v41, 1, v75
	v_lshlrev_b64_e32 v[34:35], 2, v[34:35]
	v_add_nc_u64_e32 v[38:39], s[18:19], v[30:31]
	v_add_nc_u64_e32 v[30:31], s[16:17], v[30:31]
	;; [unrolled: 1-line block ×6, first 2 shown]
	s_wait_loadcnt 0xb
	global_store_b32 v[36:37], v7, off
	s_wait_xcnt 0x0
	v_dual_add_nc_u32 v7, 2, v74 :: v_dual_add_nc_u32 v36, 2, v75
	v_add_nc_u32_e32 v37, 3, v74
	s_wait_loadcnt 0xa
	global_store_b32 v[42:43], v9, off
	s_wait_xcnt 0x0
	v_dual_add_nc_u32 v9, 3, v75 :: v_dual_add_nc_u32 v42, 4, v74
	v_dual_add_nc_u32 v43, 4, v75 :: v_dual_add_nc_u32 v74, 5, v74
	v_add_nc_u32_e32 v75, 5, v75
	s_clause 0x9
	global_store_b32 v[56:57], v40, off
	global_store_b32 v[58:59], v41, off
	;; [unrolled: 1-line block ×10, first 2 shown]
	s_wait_loadcnt 0x9
	global_store_b32 v[32:33], v76, off
	s_wait_loadcnt 0x8
	global_store_b32 v[34:35], v77, off
	;; [unrolled: 2-line block ×10, first 2 shown]
	s_wait_xcnt 0x0
	s_and_not1_b32 exec_lo, exec_lo, s25
	s_cbranch_execnz .LBB18_6
; %bb.7:
	s_or_b32 exec_lo, exec_lo, s25
	v_lshlrev_b64_e32 v[2:3], 5, v[18:19]
	v_cmp_ne_u64_e64 s0, v[14:15], v[18:19]
	s_delay_alu instid0(VALU_DEP_2)
	v_add_nc_u64_e32 v[0:1], v[0:1], v[2:3]
	s_or_not1_b32 s3, s0, exec_lo
.LBB18_8:
	s_or_b32 exec_lo, exec_lo, s1
	s_delay_alu instid0(SALU_CYCLE_1)
	s_and_b32 exec_lo, exec_lo, s3
	s_cbranch_execz .LBB18_11
; %bb.9:
	v_mul_u64_e32 v[2:3], s[10:11], v[10:11]
	s_mul_u64 s[0:1], s[4:5], 0x78
	v_mov_b32_e32 v7, 0
	v_lshl_add_u64 v[12:13], v[0:1], 2, s[14:15]
	s_mov_b64 s[4:5], 0
	s_delay_alu instid0(VALU_DEP_2) | instskip(NEXT) | instid1(VALU_DEP_4)
	v_mov_b32_e32 v9, v7
	v_mad_nc_u64_u32 v[4:5], v2, 24, s[0:1]
	s_mul_u64 s[0:1], s[8:9], 0x78
	s_delay_alu instid0(VALU_DEP_1) | instskip(SKIP_1) | instid1(VALU_DEP_2)
	v_mad_u32 v5, v3, 24, v5
	v_mad_nc_u64_u32 v[2:3], 0x90, v0, s[20:21]
	v_mad_nc_u64_u32 v[4:5], v0, 24, v[4:5]
	s_delay_alu instid0(VALU_DEP_2) | instskip(NEXT) | instid1(VALU_DEP_2)
	v_mad_u32 v3, 0x90, v1, v3
	v_mad_u32 v5, v1, 24, v5
	s_delay_alu instid0(VALU_DEP_1) | instskip(SKIP_1) | instid1(VALU_DEP_1)
	v_sub_nc_u64_e64 v[10:11], v[4:5], s[0:1]
	s_mov_b32 s1, 0
	v_add_nc_u64_e32 v[4:5], s[16:17], v[10:11]
	s_wait_kmcnt 0x0
	v_add_nc_u64_e32 v[10:11], s[18:19], v[10:11]
.LBB18_10:                              ; =>This Inner Loop Header: Depth=1
	v_add_nc_u64_e32 v[14:15], v[2:3], v[6:7]
	v_add_nc_u64_e32 v[16:17], v[2:3], v[8:9]
	global_load_b32 v38, v[12:13], off
	v_add_nc_u64_e32 v[0:1], 32, v[0:1]
	s_wait_xcnt 0x0
	v_add_nc_u64_e32 v[12:13], 0x80, v[12:13]
	v_add_nc_u64_e32 v[2:3], 0x1200, v[2:3]
	;; [unrolled: 1-line block ×10, first 2 shown]
	v_dual_cndmask_b32 v19, v15, v17 :: v_dual_cndmask_b32 v18, v14, v16
	v_add_nc_u64_e32 v[16:17], 20, v[16:17]
	v_add_nc_u64_e32 v[36:37], 0x78, v[14:15]
	v_dual_cndmask_b32 v23, v23, v21 :: v_dual_cndmask_b32 v22, v22, v20
	v_dual_cndmask_b32 v25, v27, v25 :: v_dual_cndmask_b32 v24, v26, v24
	;; [unrolled: 1-line block ×5, first 2 shown]
	global_load_b32 v14, v[18:19], off
	global_load_b32 v15, v[22:23], off
	;; [unrolled: 1-line block ×6, first 2 shown]
	v_cmp_le_i64_e64 s0, s[6:7], v[0:1]
	v_add_nc_u64_e32 v[32:33], s[4:5], v[4:5]
	s_wait_xcnt 0x0
	v_add_nc_u64_e32 v[30:31], s[4:5], v[10:11]
	s_add_nc_u64 s[4:5], s[4:5], 0x300
	s_or_b32 s1, s0, s1
	s_wait_loadcnt 0x6
	v_subrev_nc_u32_e32 v17, s8, v38
	s_delay_alu instid0(VALU_DEP_1) | instskip(NEXT) | instid1(VALU_DEP_1)
	v_mad_u32 v22, v17, 6, s2
	v_dual_add_nc_u32 v24, 2, v22 :: v_dual_add_nc_u32 v23, 1, v22
	v_dual_add_nc_u32 v27, 4, v22 :: v_dual_add_nc_u32 v26, 3, v22
	v_add_nc_u32_e32 v28, 5, v22
	s_wait_loadcnt 0x3
	global_store_b96 v[32:33], v[14:16], off
	s_wait_loadcnt 0x0
	global_store_b96 v[32:33], v[18:20], off offset:12
	s_clause 0x1
	global_store_b96 v[30:31], v[22:24], off
	global_store_b96 v[30:31], v[26:28], off offset:12
	s_wait_xcnt 0x0
	s_and_not1_b32 exec_lo, exec_lo, s1
	s_cbranch_execnz .LBB18_10
.LBB18_11:
	s_sendmsg sendmsg(MSG_DEALLOC_VGPRS)
	s_endpgm
	.section	.rodata,"a",@progbits
	.p2align	6, 0x0
	.amdhsa_kernel _ZN9rocsparseL32bsr2csr_block_per_row_2_7_kernelILj256ELj6EiliEEv20rocsparse_direction_T3_S2_21rocsparse_index_base_PKT1_PKT2_PKS2_S2_S3_PS4_PS7_PS2_
		.amdhsa_group_segment_fixed_size 0
		.amdhsa_private_segment_fixed_size 0
		.amdhsa_kernarg_size 72
		.amdhsa_user_sgpr_count 2
		.amdhsa_user_sgpr_dispatch_ptr 0
		.amdhsa_user_sgpr_queue_ptr 0
		.amdhsa_user_sgpr_kernarg_segment_ptr 1
		.amdhsa_user_sgpr_dispatch_id 0
		.amdhsa_user_sgpr_kernarg_preload_length 0
		.amdhsa_user_sgpr_kernarg_preload_offset 0
		.amdhsa_user_sgpr_private_segment_size 0
		.amdhsa_wavefront_size32 1
		.amdhsa_uses_dynamic_stack 0
		.amdhsa_enable_private_segment 0
		.amdhsa_system_sgpr_workgroup_id_x 1
		.amdhsa_system_sgpr_workgroup_id_y 0
		.amdhsa_system_sgpr_workgroup_id_z 0
		.amdhsa_system_sgpr_workgroup_info 0
		.amdhsa_system_vgpr_workitem_id 0
		.amdhsa_next_free_vgpr 86
		.amdhsa_next_free_sgpr 27
		.amdhsa_named_barrier_count 0
		.amdhsa_reserve_vcc 1
		.amdhsa_float_round_mode_32 0
		.amdhsa_float_round_mode_16_64 0
		.amdhsa_float_denorm_mode_32 3
		.amdhsa_float_denorm_mode_16_64 3
		.amdhsa_fp16_overflow 0
		.amdhsa_memory_ordered 1
		.amdhsa_forward_progress 1
		.amdhsa_inst_pref_size 19
		.amdhsa_round_robin_scheduling 0
		.amdhsa_exception_fp_ieee_invalid_op 0
		.amdhsa_exception_fp_denorm_src 0
		.amdhsa_exception_fp_ieee_div_zero 0
		.amdhsa_exception_fp_ieee_overflow 0
		.amdhsa_exception_fp_ieee_underflow 0
		.amdhsa_exception_fp_ieee_inexact 0
		.amdhsa_exception_int_div_zero 0
	.end_amdhsa_kernel
	.section	.text._ZN9rocsparseL32bsr2csr_block_per_row_2_7_kernelILj256ELj6EiliEEv20rocsparse_direction_T3_S2_21rocsparse_index_base_PKT1_PKT2_PKS2_S2_S3_PS4_PS7_PS2_,"axG",@progbits,_ZN9rocsparseL32bsr2csr_block_per_row_2_7_kernelILj256ELj6EiliEEv20rocsparse_direction_T3_S2_21rocsparse_index_base_PKT1_PKT2_PKS2_S2_S3_PS4_PS7_PS2_,comdat
.Lfunc_end18:
	.size	_ZN9rocsparseL32bsr2csr_block_per_row_2_7_kernelILj256ELj6EiliEEv20rocsparse_direction_T3_S2_21rocsparse_index_base_PKT1_PKT2_PKS2_S2_S3_PS4_PS7_PS2_, .Lfunc_end18-_ZN9rocsparseL32bsr2csr_block_per_row_2_7_kernelILj256ELj6EiliEEv20rocsparse_direction_T3_S2_21rocsparse_index_base_PKT1_PKT2_PKS2_S2_S3_PS4_PS7_PS2_
                                        ; -- End function
	.set _ZN9rocsparseL32bsr2csr_block_per_row_2_7_kernelILj256ELj6EiliEEv20rocsparse_direction_T3_S2_21rocsparse_index_base_PKT1_PKT2_PKS2_S2_S3_PS4_PS7_PS2_.num_vgpr, 86
	.set _ZN9rocsparseL32bsr2csr_block_per_row_2_7_kernelILj256ELj6EiliEEv20rocsparse_direction_T3_S2_21rocsparse_index_base_PKT1_PKT2_PKS2_S2_S3_PS4_PS7_PS2_.num_agpr, 0
	.set _ZN9rocsparseL32bsr2csr_block_per_row_2_7_kernelILj256ELj6EiliEEv20rocsparse_direction_T3_S2_21rocsparse_index_base_PKT1_PKT2_PKS2_S2_S3_PS4_PS7_PS2_.numbered_sgpr, 27
	.set _ZN9rocsparseL32bsr2csr_block_per_row_2_7_kernelILj256ELj6EiliEEv20rocsparse_direction_T3_S2_21rocsparse_index_base_PKT1_PKT2_PKS2_S2_S3_PS4_PS7_PS2_.num_named_barrier, 0
	.set _ZN9rocsparseL32bsr2csr_block_per_row_2_7_kernelILj256ELj6EiliEEv20rocsparse_direction_T3_S2_21rocsparse_index_base_PKT1_PKT2_PKS2_S2_S3_PS4_PS7_PS2_.private_seg_size, 0
	.set _ZN9rocsparseL32bsr2csr_block_per_row_2_7_kernelILj256ELj6EiliEEv20rocsparse_direction_T3_S2_21rocsparse_index_base_PKT1_PKT2_PKS2_S2_S3_PS4_PS7_PS2_.uses_vcc, 1
	.set _ZN9rocsparseL32bsr2csr_block_per_row_2_7_kernelILj256ELj6EiliEEv20rocsparse_direction_T3_S2_21rocsparse_index_base_PKT1_PKT2_PKS2_S2_S3_PS4_PS7_PS2_.uses_flat_scratch, 0
	.set _ZN9rocsparseL32bsr2csr_block_per_row_2_7_kernelILj256ELj6EiliEEv20rocsparse_direction_T3_S2_21rocsparse_index_base_PKT1_PKT2_PKS2_S2_S3_PS4_PS7_PS2_.has_dyn_sized_stack, 0
	.set _ZN9rocsparseL32bsr2csr_block_per_row_2_7_kernelILj256ELj6EiliEEv20rocsparse_direction_T3_S2_21rocsparse_index_base_PKT1_PKT2_PKS2_S2_S3_PS4_PS7_PS2_.has_recursion, 0
	.set _ZN9rocsparseL32bsr2csr_block_per_row_2_7_kernelILj256ELj6EiliEEv20rocsparse_direction_T3_S2_21rocsparse_index_base_PKT1_PKT2_PKS2_S2_S3_PS4_PS7_PS2_.has_indirect_call, 0
	.section	.AMDGPU.csdata,"",@progbits
; Kernel info:
; codeLenInByte = 2308
; TotalNumSgprs: 29
; NumVgprs: 86
; ScratchSize: 0
; MemoryBound: 0
; FloatMode: 240
; IeeeMode: 1
; LDSByteSize: 0 bytes/workgroup (compile time only)
; SGPRBlocks: 0
; VGPRBlocks: 5
; NumSGPRsForWavesPerEU: 29
; NumVGPRsForWavesPerEU: 86
; NamedBarCnt: 0
; Occupancy: 10
; WaveLimiterHint : 1
; COMPUTE_PGM_RSRC2:SCRATCH_EN: 0
; COMPUTE_PGM_RSRC2:USER_SGPR: 2
; COMPUTE_PGM_RSRC2:TRAP_HANDLER: 0
; COMPUTE_PGM_RSRC2:TGID_X_EN: 1
; COMPUTE_PGM_RSRC2:TGID_Y_EN: 0
; COMPUTE_PGM_RSRC2:TGID_Z_EN: 0
; COMPUTE_PGM_RSRC2:TIDIG_COMP_CNT: 0
	.section	.text._ZN9rocsparseL32bsr2csr_block_per_row_2_7_kernelILj256ELj7EiliEEv20rocsparse_direction_T3_S2_21rocsparse_index_base_PKT1_PKT2_PKS2_S2_S3_PS4_PS7_PS2_,"axG",@progbits,_ZN9rocsparseL32bsr2csr_block_per_row_2_7_kernelILj256ELj7EiliEEv20rocsparse_direction_T3_S2_21rocsparse_index_base_PKT1_PKT2_PKS2_S2_S3_PS4_PS7_PS2_,comdat
	.globl	_ZN9rocsparseL32bsr2csr_block_per_row_2_7_kernelILj256ELj7EiliEEv20rocsparse_direction_T3_S2_21rocsparse_index_base_PKT1_PKT2_PKS2_S2_S3_PS4_PS7_PS2_ ; -- Begin function _ZN9rocsparseL32bsr2csr_block_per_row_2_7_kernelILj256ELj7EiliEEv20rocsparse_direction_T3_S2_21rocsparse_index_base_PKT1_PKT2_PKS2_S2_S3_PS4_PS7_PS2_
	.p2align	8
	.type	_ZN9rocsparseL32bsr2csr_block_per_row_2_7_kernelILj256ELj7EiliEEv20rocsparse_direction_T3_S2_21rocsparse_index_base_PKT1_PKT2_PKS2_S2_S3_PS4_PS7_PS2_,@function
_ZN9rocsparseL32bsr2csr_block_per_row_2_7_kernelILj256ELj7EiliEEv20rocsparse_direction_T3_S2_21rocsparse_index_base_PKT1_PKT2_PKS2_S2_S3_PS4_PS7_PS2_: ; @_ZN9rocsparseL32bsr2csr_block_per_row_2_7_kernelILj256ELj7EiliEEv20rocsparse_direction_T3_S2_21rocsparse_index_base_PKT1_PKT2_PKS2_S2_S3_PS4_PS7_PS2_
; %bb.0:
	s_clause 0x1
	s_load_b32 s2, s[0:1], 0x2c
	s_load_b64 s[14:15], s[0:1], 0x38
	s_bfe_u32 s3, ttmp6, 0x4000c
	s_and_b32 s4, ttmp6, 15
	s_add_co_i32 s3, s3, 1
	s_getreg_b32 s5, hwreg(HW_REG_IB_STS2, 6, 4)
	s_mul_i32 s3, ttmp9, s3
	s_delay_alu instid0(SALU_CYCLE_1) | instskip(SKIP_3) | instid1(SALU_CYCLE_1)
	s_add_co_i32 s4, s4, s3
	s_cmp_eq_u32 s5, 0
	s_mov_b32 s3, exec_lo
	s_cselect_b32 s16, ttmp9, s4
	v_or_b32_e32 v1, s16, v0
	s_delay_alu instid0(VALU_DEP_1)
	v_cmpx_eq_u32_e32 0, v1
	s_cbranch_execz .LBB19_2
; %bb.1:
	s_wait_kmcnt 0x0
	v_dual_mov_b32 v2, s2 :: v_dual_mov_b32 v3, 0
	global_store_b64 v3, v[2:3], s[14:15]
.LBB19_2:
	s_wait_xcnt 0x0
	s_or_b32 exec_lo, exec_lo, s3
	v_and_b32_e32 v10, 7, v0
	s_mov_b32 s3, exec_lo
	s_delay_alu instid0(VALU_DEP_1)
	v_cmpx_ne_u32_e32 7, v10
	s_cbranch_execz .LBB19_11
; %bb.3:
	s_clause 0x1
	s_load_b64 s[4:5], s[0:1], 0x18
	s_load_b32 s8, s[0:1], 0xc
	s_ashr_i32 s17, s16, 31
	s_mov_b32 s9, 0
	s_lshl_b64 s[6:7], s[16:17], 3
	v_dual_mov_b32 v3, 0 :: v_dual_lshrrev_b32 v2, 3, v0
	s_mov_b32 s3, s9
	s_wait_kmcnt 0x0
	s_add_nc_u64 s[10:11], s[4:5], s[6:7]
	s_load_b128 s[4:7], s[10:11], 0x0
	s_wait_kmcnt 0x0
	s_sub_nc_u64 s[12:13], s[4:5], s[8:9]
	s_sub_nc_u64 s[6:7], s[6:7], s[8:9]
	s_mul_u64 s[18:19], s[12:13], 49
	s_sub_nc_u64 s[10:11], s[6:7], s[12:13]
	v_add_nc_u64_e32 v[0:1], s[12:13], v[2:3]
	s_mul_u64 s[20:21], s[10:11], 7
	s_delay_alu instid0(SALU_CYCLE_1) | instskip(SKIP_2) | instid1(VALU_DEP_2)
	v_mad_nc_u64_u32 v[12:13], s20, v10, s[18:19]
	s_add_nc_u64 s[18:19], s[20:21], s[2:3]
	s_mul_i32 s3, s16, 7
	v_cmp_gt_i64_e32 vcc_lo, s[6:7], v[0:1]
	v_add3_u32 v6, v10, s3, 1
	s_delay_alu instid0(VALU_DEP_3) | instskip(NEXT) | instid1(VALU_DEP_1)
	v_mad_u32 v13, s21, v10, v13
	v_add_nc_u64_e32 v[4:5], s[18:19], v[12:13]
	global_store_b64 v6, v[4:5], s[14:15] scale_offset
	s_wait_xcnt 0x0
	s_and_b32 exec_lo, exec_lo, vcc_lo
	s_cbranch_execz .LBB19_11
; %bb.4:
	v_add_nc_u64_e32 v[4:5], s[4:5], v[2:3]
	s_clause 0x3
	s_load_b64 s[14:15], s[0:1], 0x20
	s_load_b64 s[16:17], s[0:1], 0x30
	s_load_b32 s3, s[0:1], 0x0
	s_load_b64 s[20:21], s[0:1], 0x10
	v_dual_mov_b32 v11, v3 :: v_dual_lshlrev_b32 v6, 2, v10
	v_sub_nc_u64_e64 v[4:5], v[4:5], s[8:9]
	s_delay_alu instid0(VALU_DEP_1) | instskip(SKIP_2) | instid1(VALU_DEP_1)
	v_add_nc_u64_e32 v[4:5], 32, v[4:5]
	s_wait_kmcnt 0x0
	s_cmp_eq_u32 s3, 0
	v_max_i64 v[4:5], v[4:5], s[6:7]
	s_cselect_b32 vcc_lo, -1, 0
	s_not_b64 s[18:19], s[4:5]
	s_mov_b32 s3, -1
	s_add_nc_u64 s[18:19], s[18:19], s[8:9]
	s_delay_alu instid0(VALU_DEP_1) | instid1(SALU_CYCLE_1)
	v_add_nc_u64_e32 v[4:5], s[18:19], v[4:5]
	s_load_b64 s[18:19], s[0:1], 0x40
	s_wait_xcnt 0x0
	s_mov_b32 s1, exec_lo
	s_delay_alu instid0(VALU_DEP_1) | instskip(SKIP_1) | instid1(VALU_DEP_1)
	v_sub_nc_u64_e32 v[4:5], v[4:5], v[2:3]
	v_mul_u32_u24_e32 v2, 7, v10
	v_lshlrev_b32_e32 v8, 2, v2
	s_delay_alu instid0(VALU_DEP_3)
	v_cmpx_lt_u64_e32 31, v[4:5]
	s_cbranch_execz .LBB19_8
; %bb.5:
	v_lshrrev_b64 v[2:3], 5, v[4:5]
	v_dual_mov_b32 v7, 0 :: v_dual_mov_b32 v16, v12
	v_lshl_add_u64 v[4:5], v[0:1], 2, s[14:15]
	s_mov_b32 s3, s8
	s_mov_b32 s24, s8
	s_delay_alu instid0(VALU_DEP_2) | instskip(NEXT) | instid1(VALU_DEP_4)
	v_add_nc_u64_e32 v[20:21], s[20:21], v[6:7]
	v_add_nc_u64_e32 v[14:15], 1, v[2:3]
	;; [unrolled: 1-line block ×3, first 2 shown]
	v_mov_b32_e32 v9, v7
	v_add_nc_u64_e32 v[22:23], 0x80, v[4:5]
	s_mov_b32 s22, s12
	s_mov_b32 s23, s13
	;; [unrolled: 1-line block ×3, first 2 shown]
	v_dual_mov_b32 v19, v15 :: v_dual_bitop2_b32 v18, -2, v14 bitop3:0x40
	v_mov_b32_e32 v17, v13
	v_mov_b64_e32 v[4:5], v[2:3]
	v_add_nc_u64_e32 v[24:25], s[20:21], v[8:9]
	v_mov_b64_e32 v[2:3], v[0:1]
	v_mov_b64_e32 v[26:27], v[18:19]
	s_mov_b32 s25, 0
.LBB19_6:                               ; =>This Inner Loop Header: Depth=1
	s_delay_alu instid0(VALU_DEP_4) | instskip(SKIP_1) | instid1(VALU_DEP_4)
	v_mad_nc_u64_u32 v[28:29], 0xc4, v4, v[20:21]
	v_mul_lo_u32 v7, 0xc4, v5
	v_mad_nc_u64_u32 v[30:31], 0xc4, v2, v[20:21]
	v_mul_lo_u32 v9, 0xc4, v3
	v_mad_nc_u64_u32 v[32:33], 0xc4, v4, v[24:25]
	v_mad_nc_u64_u32 v[34:35], 0xc4, v2, v[24:25]
	s_clause 0x1
	global_load_b32 v80, v[22:23], off offset:-128
	global_load_b32 v81, v[22:23], off
	v_add_nc_u64_e32 v[26:27], -2, v[26:27]
	s_wait_xcnt 0x0
	v_add_nc_u64_e32 v[22:23], 0x100, v[22:23]
	v_dual_add_nc_u32 v29, v7, v29 :: v_dual_add_nc_u32 v31, v9, v31
	v_dual_add_nc_u32 v33, v7, v33 :: v_dual_add_nc_u32 v35, v9, v35
	v_dual_cndmask_b32 v36, v28, v32, vcc_lo :: v_dual_cndmask_b32 v38, v30, v34, vcc_lo
	s_delay_alu instid0(VALU_DEP_3) | instskip(NEXT) | instid1(VALU_DEP_3)
	v_add_nc_u64_e32 v[44:45], 28, v[30:31]
	v_dual_cndmask_b32 v37, v29, v33, vcc_lo :: v_dual_cndmask_b32 v39, v31, v35, vcc_lo
	global_load_b32 v7, v[38:39], off
	global_load_b32 v9, v[36:37], off
	v_add_nc_u64_e32 v[40:41], 4, v[34:35]
	v_add_nc_u64_e32 v[42:43], 4, v[32:33]
	;; [unrolled: 1-line block ×23, first 2 shown]
	s_wait_xcnt 0x1
	v_dual_cndmask_b32 v39, v45, v41 :: v_dual_cndmask_b32 v38, v44, v40
	s_wait_xcnt 0x0
	v_dual_cndmask_b32 v37, v47, v43 :: v_dual_cndmask_b32 v36, v46, v42
	v_dual_cndmask_b32 v43, v53, v49 :: v_dual_cndmask_b32 v42, v52, v48
	;; [unrolled: 1-line block ×11, first 2 shown]
	global_load_b32 v74, v[38:39], off
	global_load_b32 v75, v[36:37], off
	;; [unrolled: 1-line block ×12, first 2 shown]
	s_wait_xcnt 0x0
	v_sub_nc_u64_e64 v[28:29], v[2:3], s[12:13]
	v_sub_nc_u64_e64 v[30:31], v[4:5], s[22:23]
	v_cmp_eq_u64_e64 s0, 0, v[26:27]
	v_add_nc_u64_e32 v[4:5], 64, v[4:5]
	v_add_nc_u64_e32 v[2:3], 64, v[2:3]
	v_mad_nc_u64_u32 v[32:33], v28, 7, v[12:13]
	v_mad_nc_u64_u32 v[34:35], v30, 7, v[16:17]
	s_or_b32 s25, s0, s25
	s_delay_alu instid0(VALU_DEP_2) | instskip(NEXT) | instid1(VALU_DEP_2)
	v_mad_u32 v33, v29, 7, v33
	v_mad_u32 v35, v31, 7, v35
	s_delay_alu instid0(VALU_DEP_2) | instskip(NEXT) | instid1(VALU_DEP_2)
	v_lshlrev_b64_e32 v[28:29], 2, v[32:33]
	v_lshlrev_b64_e32 v[30:31], 2, v[34:35]
	s_delay_alu instid0(VALU_DEP_2) | instskip(NEXT) | instid1(VALU_DEP_2)
	v_add_nc_u64_e32 v[36:37], s[16:17], v[28:29]
	v_add_nc_u64_e32 v[38:39], s[16:17], v[30:31]
	;; [unrolled: 1-line block ×3, first 2 shown]
	s_wait_kmcnt 0x0
	v_add_nc_u64_e32 v[32:33], s[18:19], v[28:29]
	v_add_nc_u64_e32 v[34:35], s[18:19], v[30:31]
	;; [unrolled: 1-line block ×27, first 2 shown]
	s_wait_loadcnt 0xd
	global_store_b32 v[36:37], v7, off
	s_wait_loadcnt 0xc
	global_store_b32 v[38:39], v9, off
	s_wait_xcnt 0x1
	v_subrev_nc_u32_e32 v7, s3, v80
	s_wait_xcnt 0x0
	v_subrev_nc_u32_e32 v9, s24, v81
	v_add_nc_u64_e32 v[36:37], s[18:19], v[52:53]
	v_add_nc_u64_e32 v[38:39], s[18:19], v[54:55]
	;; [unrolled: 1-line block ×3, first 2 shown]
	v_mad_u32 v7, v7, 7, s2
	v_mad_u32 v9, v9, 7, s26
	v_add_nc_u64_e32 v[54:55], s[16:17], v[54:55]
	s_clause 0x1
	global_store_b32 v[32:33], v7, off
	global_store_b32 v[34:35], v9, off
	s_wait_xcnt 0x0
	v_add_nc_u32_e32 v34, 1, v7
	v_add_nc_u64_e32 v[32:33], s[18:19], v[58:59]
	v_add_nc_u64_e32 v[58:59], s[16:17], v[58:59]
	global_store_b32 v[60:61], v34, off
	s_wait_xcnt 0x0
	v_add_nc_u32_e32 v60, 1, v9
	v_add_nc_u64_e32 v[34:35], s[18:19], v[28:29]
	v_add_nc_u64_e32 v[28:29], s[16:17], v[28:29]
	global_store_b32 v[62:63], v60, off
	s_wait_xcnt 0x0
	v_dual_add_nc_u32 v62, 2, v7 :: v_dual_add_nc_u32 v63, 2, v9
	v_add_nc_u64_e32 v[60:61], s[18:19], v[30:31]
	v_add_nc_u64_e32 v[30:31], s[16:17], v[30:31]
	global_store_b32 v[64:65], v62, off
	s_wait_xcnt 0x0
	v_dual_add_nc_u32 v62, 3, v7 :: v_dual_add_nc_u32 v64, 3, v9
	v_add_nc_u32_e32 v65, 4, v7
	global_store_b32 v[66:67], v63, off
	s_wait_xcnt 0x0
	v_dual_add_nc_u32 v63, 4, v9 :: v_dual_add_nc_u32 v66, 5, v7
	v_dual_add_nc_u32 v67, 5, v9 :: v_dual_add_nc_u32 v7, 6, v7
	v_add_nc_u32_e32 v9, 6, v9
	s_clause 0x7
	global_store_b32 v[68:69], v62, off
	global_store_b32 v[70:71], v64, off
	;; [unrolled: 1-line block ×8, first 2 shown]
	s_wait_loadcnt 0xb
	global_store_b32 v[40:41], v74, off
	s_wait_loadcnt 0xa
	global_store_b32 v[42:43], v75, off
	;; [unrolled: 2-line block ×12, first 2 shown]
	s_wait_xcnt 0x0
	s_and_not1_b32 exec_lo, exec_lo, s25
	s_cbranch_execnz .LBB19_6
; %bb.7:
	s_or_b32 exec_lo, exec_lo, s25
	v_lshlrev_b64_e32 v[2:3], 5, v[18:19]
	v_cmp_ne_u64_e64 s0, v[14:15], v[18:19]
	s_delay_alu instid0(VALU_DEP_2)
	v_add_nc_u64_e32 v[0:1], v[0:1], v[2:3]
	s_or_not1_b32 s3, s0, exec_lo
.LBB19_8:
	s_or_b32 exec_lo, exec_lo, s1
	s_delay_alu instid0(SALU_CYCLE_1)
	s_and_b32 exec_lo, exec_lo, s3
	s_cbranch_execz .LBB19_11
; %bb.9:
	v_mul_u64_e32 v[2:3], s[10:11], v[10:11]
	s_mul_u64 s[0:1], s[4:5], 0xa8
	v_mov_b32_e32 v9, 0
	v_lshl_add_u64 v[12:13], v[0:1], 2, s[14:15]
	s_mov_b64 s[4:5], 0
	s_delay_alu instid0(VALU_DEP_2) | instskip(NEXT) | instid1(VALU_DEP_4)
	v_mov_b32_e32 v7, v9
	v_mad_nc_u64_u32 v[4:5], v2, 28, s[0:1]
	s_mul_u64 s[0:1], s[8:9], 0xa8
	s_delay_alu instid0(VALU_DEP_1) | instskip(SKIP_1) | instid1(VALU_DEP_2)
	v_mad_u32 v5, v3, 28, v5
	v_mad_nc_u64_u32 v[2:3], 0xc4, v0, s[20:21]
	v_mad_nc_u64_u32 v[4:5], v0, 28, v[4:5]
	s_delay_alu instid0(VALU_DEP_2) | instskip(NEXT) | instid1(VALU_DEP_2)
	v_mad_u32 v3, 0xc4, v1, v3
	v_mad_u32 v5, v1, 28, v5
	s_delay_alu instid0(VALU_DEP_1) | instskip(SKIP_1) | instid1(VALU_DEP_1)
	v_sub_nc_u64_e64 v[10:11], v[4:5], s[0:1]
	s_mov_b32 s1, 0
	v_add_nc_u64_e32 v[4:5], s[16:17], v[10:11]
	s_wait_kmcnt 0x0
	v_add_nc_u64_e32 v[10:11], s[18:19], v[10:11]
.LBB19_10:                              ; =>This Inner Loop Header: Depth=1
	v_add_nc_u64_e32 v[14:15], v[2:3], v[6:7]
	v_add_nc_u64_e32 v[16:17], v[2:3], v[8:9]
	global_load_b32 v42, v[12:13], off
	v_add_nc_u64_e32 v[0:1], 32, v[0:1]
	v_add_nc_u64_e32 v[2:3], 0x1880, v[2:3]
	s_wait_xcnt 0x0
	v_add_nc_u64_e32 v[12:13], 0x80, v[12:13]
	v_add_nc_u64_e32 v[24:25], 28, v[14:15]
	;; [unrolled: 1-line block ×5, first 2 shown]
	v_dual_cndmask_b32 v19, v15, v17 :: v_dual_cndmask_b32 v18, v14, v16
	v_add_nc_u64_e32 v[30:31], 12, v[16:17]
	v_add_nc_u64_e32 v[32:33], 0x54, v[14:15]
	;; [unrolled: 1-line block ×8, first 2 shown]
	global_load_b32 v22, v[18:19], off
	s_wait_xcnt 0x0
	v_dual_cndmask_b32 v19, v25, v21 :: v_dual_cndmask_b32 v18, v24, v20
	v_dual_cndmask_b32 v21, v29, v27 :: v_dual_cndmask_b32 v20, v28, v26
	;; [unrolled: 1-line block ×6, first 2 shown]
	global_load_b32 v23, v[18:19], off
	global_load_b32 v24, v[20:21], off
	global_load_b32 v14, v[26:27], off
	global_load_b32 v15, v[28:29], off
	global_load_b32 v16, v[30:31], off
	global_load_b32 v17, v[32:33], off
	v_cmp_le_i64_e64 s0, s[6:7], v[0:1]
	s_wait_xcnt 0x0
	v_add_nc_u64_e32 v[32:33], s[4:5], v[4:5]
	v_add_nc_u64_e32 v[30:31], s[4:5], v[10:11]
	s_add_nc_u64 s[4:5], s[4:5], 0x380
	s_or_b32 s1, s0, s1
	s_wait_loadcnt 0x7
	v_subrev_nc_u32_e32 v18, s8, v42
	s_delay_alu instid0(VALU_DEP_1) | instskip(NEXT) | instid1(VALU_DEP_1)
	v_mad_u32 v26, v18, 7, s2
	v_dual_add_nc_u32 v28, 2, v26 :: v_dual_add_nc_u32 v27, 1, v26
	v_dual_add_nc_u32 v19, 4, v26 :: v_dual_add_nc_u32 v18, 3, v26
	;; [unrolled: 1-line block ×3, first 2 shown]
	s_wait_loadcnt 0x4
	global_store_b96 v[32:33], v[22:24], off
	s_wait_loadcnt 0x0
	global_store_b128 v[32:33], v[14:17], off offset:12
	s_clause 0x1
	global_store_b96 v[30:31], v[26:28], off
	global_store_b128 v[30:31], v[18:21], off offset:12
	s_wait_xcnt 0x0
	s_and_not1_b32 exec_lo, exec_lo, s1
	s_cbranch_execnz .LBB19_10
.LBB19_11:
	s_sendmsg sendmsg(MSG_DEALLOC_VGPRS)
	s_endpgm
	.section	.rodata,"a",@progbits
	.p2align	6, 0x0
	.amdhsa_kernel _ZN9rocsparseL32bsr2csr_block_per_row_2_7_kernelILj256ELj7EiliEEv20rocsparse_direction_T3_S2_21rocsparse_index_base_PKT1_PKT2_PKS2_S2_S3_PS4_PS7_PS2_
		.amdhsa_group_segment_fixed_size 0
		.amdhsa_private_segment_fixed_size 0
		.amdhsa_kernarg_size 72
		.amdhsa_user_sgpr_count 2
		.amdhsa_user_sgpr_dispatch_ptr 0
		.amdhsa_user_sgpr_queue_ptr 0
		.amdhsa_user_sgpr_kernarg_segment_ptr 1
		.amdhsa_user_sgpr_dispatch_id 0
		.amdhsa_user_sgpr_kernarg_preload_length 0
		.amdhsa_user_sgpr_kernarg_preload_offset 0
		.amdhsa_user_sgpr_private_segment_size 0
		.amdhsa_wavefront_size32 1
		.amdhsa_uses_dynamic_stack 0
		.amdhsa_enable_private_segment 0
		.amdhsa_system_sgpr_workgroup_id_x 1
		.amdhsa_system_sgpr_workgroup_id_y 0
		.amdhsa_system_sgpr_workgroup_id_z 0
		.amdhsa_system_sgpr_workgroup_info 0
		.amdhsa_system_vgpr_workitem_id 0
		.amdhsa_next_free_vgpr 88
		.amdhsa_next_free_sgpr 27
		.amdhsa_named_barrier_count 0
		.amdhsa_reserve_vcc 1
		.amdhsa_float_round_mode_32 0
		.amdhsa_float_round_mode_16_64 0
		.amdhsa_float_denorm_mode_32 3
		.amdhsa_float_denorm_mode_16_64 3
		.amdhsa_fp16_overflow 0
		.amdhsa_memory_ordered 1
		.amdhsa_forward_progress 1
		.amdhsa_inst_pref_size 20
		.amdhsa_round_robin_scheduling 0
		.amdhsa_exception_fp_ieee_invalid_op 0
		.amdhsa_exception_fp_denorm_src 0
		.amdhsa_exception_fp_ieee_div_zero 0
		.amdhsa_exception_fp_ieee_overflow 0
		.amdhsa_exception_fp_ieee_underflow 0
		.amdhsa_exception_fp_ieee_inexact 0
		.amdhsa_exception_int_div_zero 0
	.end_amdhsa_kernel
	.section	.text._ZN9rocsparseL32bsr2csr_block_per_row_2_7_kernelILj256ELj7EiliEEv20rocsparse_direction_T3_S2_21rocsparse_index_base_PKT1_PKT2_PKS2_S2_S3_PS4_PS7_PS2_,"axG",@progbits,_ZN9rocsparseL32bsr2csr_block_per_row_2_7_kernelILj256ELj7EiliEEv20rocsparse_direction_T3_S2_21rocsparse_index_base_PKT1_PKT2_PKS2_S2_S3_PS4_PS7_PS2_,comdat
.Lfunc_end19:
	.size	_ZN9rocsparseL32bsr2csr_block_per_row_2_7_kernelILj256ELj7EiliEEv20rocsparse_direction_T3_S2_21rocsparse_index_base_PKT1_PKT2_PKS2_S2_S3_PS4_PS7_PS2_, .Lfunc_end19-_ZN9rocsparseL32bsr2csr_block_per_row_2_7_kernelILj256ELj7EiliEEv20rocsparse_direction_T3_S2_21rocsparse_index_base_PKT1_PKT2_PKS2_S2_S3_PS4_PS7_PS2_
                                        ; -- End function
	.set _ZN9rocsparseL32bsr2csr_block_per_row_2_7_kernelILj256ELj7EiliEEv20rocsparse_direction_T3_S2_21rocsparse_index_base_PKT1_PKT2_PKS2_S2_S3_PS4_PS7_PS2_.num_vgpr, 88
	.set _ZN9rocsparseL32bsr2csr_block_per_row_2_7_kernelILj256ELj7EiliEEv20rocsparse_direction_T3_S2_21rocsparse_index_base_PKT1_PKT2_PKS2_S2_S3_PS4_PS7_PS2_.num_agpr, 0
	.set _ZN9rocsparseL32bsr2csr_block_per_row_2_7_kernelILj256ELj7EiliEEv20rocsparse_direction_T3_S2_21rocsparse_index_base_PKT1_PKT2_PKS2_S2_S3_PS4_PS7_PS2_.numbered_sgpr, 27
	.set _ZN9rocsparseL32bsr2csr_block_per_row_2_7_kernelILj256ELj7EiliEEv20rocsparse_direction_T3_S2_21rocsparse_index_base_PKT1_PKT2_PKS2_S2_S3_PS4_PS7_PS2_.num_named_barrier, 0
	.set _ZN9rocsparseL32bsr2csr_block_per_row_2_7_kernelILj256ELj7EiliEEv20rocsparse_direction_T3_S2_21rocsparse_index_base_PKT1_PKT2_PKS2_S2_S3_PS4_PS7_PS2_.private_seg_size, 0
	.set _ZN9rocsparseL32bsr2csr_block_per_row_2_7_kernelILj256ELj7EiliEEv20rocsparse_direction_T3_S2_21rocsparse_index_base_PKT1_PKT2_PKS2_S2_S3_PS4_PS7_PS2_.uses_vcc, 1
	.set _ZN9rocsparseL32bsr2csr_block_per_row_2_7_kernelILj256ELj7EiliEEv20rocsparse_direction_T3_S2_21rocsparse_index_base_PKT1_PKT2_PKS2_S2_S3_PS4_PS7_PS2_.uses_flat_scratch, 0
	.set _ZN9rocsparseL32bsr2csr_block_per_row_2_7_kernelILj256ELj7EiliEEv20rocsparse_direction_T3_S2_21rocsparse_index_base_PKT1_PKT2_PKS2_S2_S3_PS4_PS7_PS2_.has_dyn_sized_stack, 0
	.set _ZN9rocsparseL32bsr2csr_block_per_row_2_7_kernelILj256ELj7EiliEEv20rocsparse_direction_T3_S2_21rocsparse_index_base_PKT1_PKT2_PKS2_S2_S3_PS4_PS7_PS2_.has_recursion, 0
	.set _ZN9rocsparseL32bsr2csr_block_per_row_2_7_kernelILj256ELj7EiliEEv20rocsparse_direction_T3_S2_21rocsparse_index_base_PKT1_PKT2_PKS2_S2_S3_PS4_PS7_PS2_.has_indirect_call, 0
	.section	.AMDGPU.csdata,"",@progbits
; Kernel info:
; codeLenInByte = 2504
; TotalNumSgprs: 29
; NumVgprs: 88
; ScratchSize: 0
; MemoryBound: 0
; FloatMode: 240
; IeeeMode: 1
; LDSByteSize: 0 bytes/workgroup (compile time only)
; SGPRBlocks: 0
; VGPRBlocks: 5
; NumSGPRsForWavesPerEU: 29
; NumVGPRsForWavesPerEU: 88
; NamedBarCnt: 0
; Occupancy: 10
; WaveLimiterHint : 1
; COMPUTE_PGM_RSRC2:SCRATCH_EN: 0
; COMPUTE_PGM_RSRC2:USER_SGPR: 2
; COMPUTE_PGM_RSRC2:TRAP_HANDLER: 0
; COMPUTE_PGM_RSRC2:TGID_X_EN: 1
; COMPUTE_PGM_RSRC2:TGID_Y_EN: 0
; COMPUTE_PGM_RSRC2:TGID_Z_EN: 0
; COMPUTE_PGM_RSRC2:TIDIG_COMP_CNT: 0
	.section	.text._ZN9rocsparseL33bsr2csr_block_per_row_8_32_kernelILj1024ELj8EiliEEv20rocsparse_direction_T3_S2_21rocsparse_index_base_PKT1_PKT2_PKS2_S2_S3_PS4_PS7_PS2_,"axG",@progbits,_ZN9rocsparseL33bsr2csr_block_per_row_8_32_kernelILj1024ELj8EiliEEv20rocsparse_direction_T3_S2_21rocsparse_index_base_PKT1_PKT2_PKS2_S2_S3_PS4_PS7_PS2_,comdat
	.globl	_ZN9rocsparseL33bsr2csr_block_per_row_8_32_kernelILj1024ELj8EiliEEv20rocsparse_direction_T3_S2_21rocsparse_index_base_PKT1_PKT2_PKS2_S2_S3_PS4_PS7_PS2_ ; -- Begin function _ZN9rocsparseL33bsr2csr_block_per_row_8_32_kernelILj1024ELj8EiliEEv20rocsparse_direction_T3_S2_21rocsparse_index_base_PKT1_PKT2_PKS2_S2_S3_PS4_PS7_PS2_
	.p2align	8
	.type	_ZN9rocsparseL33bsr2csr_block_per_row_8_32_kernelILj1024ELj8EiliEEv20rocsparse_direction_T3_S2_21rocsparse_index_base_PKT1_PKT2_PKS2_S2_S3_PS4_PS7_PS2_,@function
_ZN9rocsparseL33bsr2csr_block_per_row_8_32_kernelILj1024ELj8EiliEEv20rocsparse_direction_T3_S2_21rocsparse_index_base_PKT1_PKT2_PKS2_S2_S3_PS4_PS7_PS2_: ; @_ZN9rocsparseL33bsr2csr_block_per_row_8_32_kernelILj1024ELj8EiliEEv20rocsparse_direction_T3_S2_21rocsparse_index_base_PKT1_PKT2_PKS2_S2_S3_PS4_PS7_PS2_
; %bb.0:
	s_clause 0x1
	s_load_b64 s[2:3], s[0:1], 0x28
	s_load_b64 s[18:19], s[0:1], 0x38
	s_bfe_u32 s4, ttmp6, 0x4000c
	s_and_b32 s5, ttmp6, 15
	s_add_co_i32 s4, s4, 1
	s_getreg_b32 s6, hwreg(HW_REG_IB_STS2, 6, 4)
	s_mul_i32 s4, ttmp9, s4
	s_delay_alu instid0(SALU_CYCLE_1) | instskip(SKIP_3) | instid1(SALU_CYCLE_1)
	s_add_co_i32 s5, s5, s4
	s_cmp_eq_u32 s6, 0
	s_mov_b32 s4, exec_lo
	s_cselect_b32 s20, ttmp9, s5
	v_or_b32_e32 v1, s20, v0
	s_delay_alu instid0(VALU_DEP_1)
	v_cmpx_eq_u32_e32 0, v1
	s_cbranch_execz .LBB20_2
; %bb.1:
	s_wait_kmcnt 0x0
	v_dual_mov_b32 v2, s3 :: v_dual_mov_b32 v3, 0
	global_store_b64 v3, v[2:3], s[18:19]
.LBB20_2:
	s_wait_xcnt 0x0
	s_or_b32 exec_lo, exec_lo, s4
	v_and_b32_e32 v6, 7, v0
	v_bfe_u32 v24, v0, 3, 3
	s_mov_b32 s4, exec_lo
	s_delay_alu instid0(VALU_DEP_1) | instskip(SKIP_1) | instid1(VALU_DEP_1)
	v_max_i32_e32 v1, v24, v6
	s_wait_kmcnt 0x0
	v_cmpx_gt_i32_e64 s2, v1
	s_cbranch_execz .LBB20_13
; %bb.3:
	s_clause 0x1
	s_load_b64 s[4:5], s[0:1], 0x18
	s_load_b32 s8, s[0:1], 0xc
	s_ashr_i32 s21, s20, 31
	s_mov_b32 s9, 0
	s_lshl_b64 s[6:7], s[20:21], 3
	s_mov_b32 s12, s2
	s_mov_b32 s13, s9
	v_dual_mov_b32 v5, 0 :: v_dual_lshrrev_b32 v4, 6, v0
	s_mov_b32 s26, s3
	s_mov_b32 s27, s9
	v_mad_u32 v7, s2, s20, v24
	s_wait_kmcnt 0x0
	s_add_nc_u64 s[10:11], s[4:5], s[6:7]
	s_load_b128 s[4:7], s[10:11], 0x0
	s_wait_xcnt 0x0
	s_mul_i32 s10, s2, s2
	s_mov_b32 s11, s9
	s_wait_kmcnt 0x0
	s_sub_nc_u64 s[24:25], s[4:5], s[8:9]
	s_sub_nc_u64 s[6:7], s[6:7], s[8:9]
	s_mul_u64 s[14:15], s[24:25], s[10:11]
	s_sub_nc_u64 s[16:17], s[6:7], s[24:25]
	v_add_nc_u64_e32 v[0:1], s[24:25], v[4:5]
	s_mul_u64 s[22:23], s[16:17], s[12:13]
	s_delay_alu instid0(SALU_CYCLE_1) | instskip(SKIP_1) | instid1(VALU_DEP_2)
	v_mad_nc_u64_u32 v[2:3], s22, v24, s[14:15]
	s_add_nc_u64 s[20:21], s[22:23], s[26:27]
	v_cmp_gt_i64_e32 vcc_lo, s[6:7], v[0:1]
	s_delay_alu instid0(VALU_DEP_2) | instskip(NEXT) | instid1(VALU_DEP_1)
	v_mad_u32 v3, s23, v24, v3
	v_add_nc_u64_e32 v[8:9], s[20:21], v[2:3]
	global_store_b64 v7, v[8:9], s[18:19] offset:8 scale_offset
	s_wait_xcnt 0x0
	s_and_b32 exec_lo, exec_lo, vcc_lo
	s_cbranch_execz .LBB20_13
; %bb.4:
	v_add_nc_u64_e32 v[8:9], s[4:5], v[4:5]
	s_clause 0x3
	s_load_b64 s[22:23], s[0:1], 0x20
	s_load_b64 s[18:19], s[0:1], 0x30
	s_load_b32 s26, s[0:1], 0x0
	s_load_b64 s[20:21], s[0:1], 0x10
	v_mul_lo_u32 v10, s2, v6
	v_mul_lo_u32 v12, s2, v24
	v_dual_mov_b32 v11, v5 :: v_dual_mov_b32 v13, v5
	v_sub_nc_u64_e64 v[8:9], v[8:9], s[8:9]
	v_dual_mov_b32 v15, v5 :: v_dual_lshlrev_b32 v14, 2, v24
	v_dual_mov_b32 v17, v5 :: v_dual_lshlrev_b32 v16, 2, v6
	v_mov_b32_e32 v7, v5
	s_delay_alu instid0(VALU_DEP_4) | instskip(SKIP_2) | instid1(VALU_DEP_1)
	v_add_nc_u64_e32 v[8:9], 16, v[8:9]
	s_wait_kmcnt 0x0
	s_cmp_eq_u32 s26, 0
	v_max_i64 v[8:9], v[8:9], s[6:7]
	v_lshl_add_u64 v[10:11], v[10:11], 2, s[20:21]
	v_lshl_add_u64 v[12:13], v[12:13], 2, s[20:21]
	s_cselect_b32 vcc_lo, -1, 0
	s_not_b64 s[20:21], s[4:5]
	s_delay_alu instid0(SALU_CYCLE_1) | instskip(SKIP_2) | instid1(VALU_DEP_1)
	s_add_nc_u64 s[20:21], s[20:21], s[8:9]
	v_add_nc_u64_e32 v[10:11], v[10:11], v[14:15]
	v_add_nc_u64_e32 v[14:15], v[12:13], v[16:17]
	v_dual_cndmask_b32 v11, v11, v15 :: v_dual_cndmask_b32 v10, v10, v14
	v_add_nc_u64_e32 v[8:9], s[20:21], v[8:9]
	s_load_b64 s[20:21], s[0:1], 0x40
	s_wait_xcnt 0x0
	s_mov_b32 s1, s9
	s_delay_alu instid0(VALU_DEP_1) | instskip(SKIP_2) | instid1(VALU_DEP_2)
	v_sub_nc_u64_e32 v[12:13], v[8:9], v[4:5]
	v_add_nc_u32_e32 v8, s3, v6
	s_mov_b32 s3, exec_lo
	v_cmpx_lt_u64_e32 15, v[12:13]
	s_xor_b32 s3, exec_lo, s3
	s_cbranch_execnz .LBB20_7
; %bb.5:
	s_and_not1_saveexec_b32 s0, s3
	s_cbranch_execnz .LBB20_10
.LBB20_6:
	s_or_b32 exec_lo, exec_lo, s0
	s_delay_alu instid0(SALU_CYCLE_1)
	s_and_b32 exec_lo, exec_lo, s1
	s_cbranch_execnz .LBB20_11
	s_branch .LBB20_13
.LBB20_7:
	v_lshrrev_b64 v[4:5], 4, v[12:13]
	v_add_nc_u64_e32 v[12:13], v[2:3], v[6:7]
	v_add_nc_u64_e32 v[2:3], 16, v[0:1]
	s_mov_b32 s28, s8
	s_mov_b32 s29, s8
	;; [unrolled: 1-line block ×4, first 2 shown]
	v_add_nc_u64_e32 v[14:15], 1, v[4:5]
	v_lshl_add_u64 v[4:5], v[0:1], 2, s[22:23]
	v_dual_mov_b32 v9, v8 :: v_dual_mov_b32 v21, v13
	s_mov_b32 s30, s12
	s_mov_b32 s31, s2
	s_delay_alu instid0(VALU_DEP_2) | instskip(NEXT) | instid1(VALU_DEP_4)
	v_add_nc_u64_e32 v[18:19], 64, v[4:5]
	v_dual_mov_b32 v17, v15 :: v_dual_bitop2_b32 v16, -2, v14 bitop3:0x40
	v_mov_b32_e32 v20, v12
	v_mov_b64_e32 v[4:5], v[2:3]
	v_mov_b64_e32 v[2:3], v[0:1]
	s_mov_b32 s26, s10
	v_mov_b64_e32 v[22:23], v[16:17]
	s_mov_b32 s27, s11
	s_mov_b32 s33, 0
.LBB20_8:                               ; =>This Inner Loop Header: Depth=1
	s_delay_alu instid0(VALU_DEP_2)
	v_mul_u64_e32 v[26:27], s[10:11], v[2:3]
	v_mul_u64_e32 v[28:29], s[26:27], v[4:5]
	s_clause 0x1
	global_load_b32 v25, v[18:19], off offset:-64
	global_load_b32 v34, v[18:19], off
	v_add_nc_u64_e32 v[22:23], -2, v[22:23]
	s_wait_xcnt 0x0
	v_add_nc_u64_e32 v[18:19], 0x80, v[18:19]
	s_delay_alu instid0(VALU_DEP_2)
	v_cmp_eq_u64_e32 vcc_lo, 0, v[22:23]
	s_or_b32 s33, vcc_lo, s33
	v_lshl_add_u64 v[26:27], v[26:27], 2, v[10:11]
	v_lshl_add_u64 v[28:29], v[28:29], 2, v[10:11]
	s_clause 0x1
	global_load_b32 v35, v[26:27], off
	global_load_b32 v36, v[28:29], off
	s_wait_xcnt 0x1
	v_sub_nc_u64_e64 v[26:27], v[2:3], s[24:25]
	s_wait_xcnt 0x0
	v_sub_nc_u64_e64 v[28:29], v[4:5], s[0:1]
	v_add_nc_u64_e32 v[4:5], 32, v[4:5]
	v_add_nc_u64_e32 v[2:3], 32, v[2:3]
	s_delay_alu instid0(VALU_DEP_4) | instskip(NEXT) | instid1(VALU_DEP_4)
	v_mad_nc_u64_u32 v[30:31], v26, s12, v[12:13]
	v_mad_nc_u64_u32 v[32:33], v28, s30, v[20:21]
	s_delay_alu instid0(VALU_DEP_2) | instskip(NEXT) | instid1(VALU_DEP_2)
	v_mad_u32 v31, v27, s12, v31
	v_mad_u32 v33, v29, s30, v33
	s_delay_alu instid0(VALU_DEP_2) | instskip(NEXT) | instid1(VALU_DEP_2)
	v_lshlrev_b64_e32 v[26:27], 2, v[30:31]
	v_lshlrev_b64_e32 v[28:29], 2, v[32:33]
	s_wait_kmcnt 0x0
	s_delay_alu instid0(VALU_DEP_1)
	v_add_nc_u64_e32 v[32:33], s[20:21], v[28:29]
	v_add_nc_u64_e32 v[28:29], s[18:19], v[28:29]
	s_wait_loadcnt 0x3
	v_subrev_nc_u32_e32 v25, s28, v25
	s_wait_loadcnt 0x2
	v_subrev_nc_u32_e32 v30, s29, v34
	s_delay_alu instid0(VALU_DEP_2) | instskip(NEXT) | instid1(VALU_DEP_2)
	v_mad_u32 v25, v25, s2, v8
	v_mad_u32 v34, v30, s31, v9
	v_add_nc_u64_e32 v[30:31], s[20:21], v[26:27]
	v_add_nc_u64_e32 v[26:27], s[18:19], v[26:27]
	s_clause 0x1
	global_store_b32 v[30:31], v25, off
	global_store_b32 v[32:33], v34, off
	s_wait_loadcnt 0x1
	global_store_b32 v[26:27], v35, off
	s_wait_loadcnt 0x0
	global_store_b32 v[28:29], v36, off
	s_wait_xcnt 0x0
	s_and_not1_b32 exec_lo, exec_lo, s33
	s_cbranch_execnz .LBB20_8
; %bb.9:
	s_or_b32 exec_lo, exec_lo, s33
	v_cmp_ne_u64_e32 vcc_lo, v[14:15], v[16:17]
	v_lshl_add_u64 v[0:1], v[16:17], 4, v[0:1]
	s_and_b32 s1, vcc_lo, exec_lo
	s_and_not1_saveexec_b32 s0, s3
	s_cbranch_execz .LBB20_6
.LBB20_10:
	s_or_b32 s1, s1, exec_lo
	s_or_b32 exec_lo, exec_lo, s0
	s_delay_alu instid0(SALU_CYCLE_1)
	s_and_b32 exec_lo, exec_lo, s1
	s_cbranch_execz .LBB20_13
.LBB20_11:
	v_mad_nc_u64_u32 v[2:3], s16, v24, v[0:1]
	v_mul_u64_e32 v[4:5], s[10:11], v[0:1]
	s_lshl_b64 s[0:1], s[10:11], 6
	s_mov_b32 s3, 0
	s_delay_alu instid0(VALU_DEP_2) | instskip(NEXT) | instid1(VALU_DEP_1)
	v_mad_u32 v3, s17, v24, v3
	v_add_nc_u64_e32 v[2:3], s[8:9], v[2:3]
	s_delay_alu instid0(VALU_DEP_1) | instskip(SKIP_1) | instid1(VALU_DEP_4)
	v_sub_nc_u64_e64 v[2:3], v[2:3], s[4:5]
	s_lshl_b64 s[4:5], s[12:13], 6
	v_lshl_add_u64 v[4:5], v[4:5], 2, v[10:11]
	s_delay_alu instid0(VALU_DEP_2) | instskip(NEXT) | instid1(VALU_DEP_1)
	v_mad_nc_u64_u32 v[12:13], v2, s12, s[14:15]
	v_mad_u32 v13, v3, s12, v13
	s_delay_alu instid0(VALU_DEP_1) | instskip(SKIP_1) | instid1(VALU_DEP_2)
	v_add_nc_u64_e32 v[2:3], v[12:13], v[6:7]
	v_lshl_add_u64 v[6:7], v[0:1], 2, s[22:23]
	v_lshlrev_b64_e32 v[2:3], 2, v[2:3]
.LBB20_12:                              ; =>This Inner Loop Header: Depth=1
	global_load_b32 v9, v[6:7], off
	s_wait_kmcnt 0x0
	v_add_nc_u64_e32 v[10:11], s[20:21], v[2:3]
	v_add_nc_u64_e32 v[0:1], 16, v[0:1]
	s_wait_xcnt 0x0
	v_add_nc_u64_e32 v[6:7], 64, v[6:7]
	s_delay_alu instid0(VALU_DEP_2) | instskip(SKIP_3) | instid1(VALU_DEP_1)
	v_cmp_le_i64_e32 vcc_lo, s[6:7], v[0:1]
	s_or_b32 s3, vcc_lo, s3
	s_wait_loadcnt 0x0
	v_subrev_nc_u32_e32 v9, s8, v9
	v_mad_u32 v9, v9, s2, v8
	global_store_b32 v[10:11], v9, off
	global_load_b32 v9, v[4:5], off
	v_add_nc_u64_e32 v[10:11], s[18:19], v[2:3]
	v_add_nc_u64_e32 v[2:3], s[4:5], v[2:3]
	s_wait_xcnt 0x0
	v_add_nc_u64_e32 v[4:5], s[0:1], v[4:5]
	s_wait_loadcnt 0x0
	global_store_b32 v[10:11], v9, off
	s_wait_xcnt 0x0
	s_and_not1_b32 exec_lo, exec_lo, s3
	s_cbranch_execnz .LBB20_12
.LBB20_13:
	s_endpgm
	.section	.rodata,"a",@progbits
	.p2align	6, 0x0
	.amdhsa_kernel _ZN9rocsparseL33bsr2csr_block_per_row_8_32_kernelILj1024ELj8EiliEEv20rocsparse_direction_T3_S2_21rocsparse_index_base_PKT1_PKT2_PKS2_S2_S3_PS4_PS7_PS2_
		.amdhsa_group_segment_fixed_size 0
		.amdhsa_private_segment_fixed_size 0
		.amdhsa_kernarg_size 72
		.amdhsa_user_sgpr_count 2
		.amdhsa_user_sgpr_dispatch_ptr 0
		.amdhsa_user_sgpr_queue_ptr 0
		.amdhsa_user_sgpr_kernarg_segment_ptr 1
		.amdhsa_user_sgpr_dispatch_id 0
		.amdhsa_user_sgpr_kernarg_preload_length 0
		.amdhsa_user_sgpr_kernarg_preload_offset 0
		.amdhsa_user_sgpr_private_segment_size 0
		.amdhsa_wavefront_size32 1
		.amdhsa_uses_dynamic_stack 0
		.amdhsa_enable_private_segment 0
		.amdhsa_system_sgpr_workgroup_id_x 1
		.amdhsa_system_sgpr_workgroup_id_y 0
		.amdhsa_system_sgpr_workgroup_id_z 0
		.amdhsa_system_sgpr_workgroup_info 0
		.amdhsa_system_vgpr_workitem_id 0
		.amdhsa_next_free_vgpr 37
		.amdhsa_next_free_sgpr 34
		.amdhsa_named_barrier_count 0
		.amdhsa_reserve_vcc 1
		.amdhsa_float_round_mode_32 0
		.amdhsa_float_round_mode_16_64 0
		.amdhsa_float_denorm_mode_32 3
		.amdhsa_float_denorm_mode_16_64 3
		.amdhsa_fp16_overflow 0
		.amdhsa_memory_ordered 1
		.amdhsa_forward_progress 1
		.amdhsa_inst_pref_size 11
		.amdhsa_round_robin_scheduling 0
		.amdhsa_exception_fp_ieee_invalid_op 0
		.amdhsa_exception_fp_denorm_src 0
		.amdhsa_exception_fp_ieee_div_zero 0
		.amdhsa_exception_fp_ieee_overflow 0
		.amdhsa_exception_fp_ieee_underflow 0
		.amdhsa_exception_fp_ieee_inexact 0
		.amdhsa_exception_int_div_zero 0
	.end_amdhsa_kernel
	.section	.text._ZN9rocsparseL33bsr2csr_block_per_row_8_32_kernelILj1024ELj8EiliEEv20rocsparse_direction_T3_S2_21rocsparse_index_base_PKT1_PKT2_PKS2_S2_S3_PS4_PS7_PS2_,"axG",@progbits,_ZN9rocsparseL33bsr2csr_block_per_row_8_32_kernelILj1024ELj8EiliEEv20rocsparse_direction_T3_S2_21rocsparse_index_base_PKT1_PKT2_PKS2_S2_S3_PS4_PS7_PS2_,comdat
.Lfunc_end20:
	.size	_ZN9rocsparseL33bsr2csr_block_per_row_8_32_kernelILj1024ELj8EiliEEv20rocsparse_direction_T3_S2_21rocsparse_index_base_PKT1_PKT2_PKS2_S2_S3_PS4_PS7_PS2_, .Lfunc_end20-_ZN9rocsparseL33bsr2csr_block_per_row_8_32_kernelILj1024ELj8EiliEEv20rocsparse_direction_T3_S2_21rocsparse_index_base_PKT1_PKT2_PKS2_S2_S3_PS4_PS7_PS2_
                                        ; -- End function
	.set _ZN9rocsparseL33bsr2csr_block_per_row_8_32_kernelILj1024ELj8EiliEEv20rocsparse_direction_T3_S2_21rocsparse_index_base_PKT1_PKT2_PKS2_S2_S3_PS4_PS7_PS2_.num_vgpr, 37
	.set _ZN9rocsparseL33bsr2csr_block_per_row_8_32_kernelILj1024ELj8EiliEEv20rocsparse_direction_T3_S2_21rocsparse_index_base_PKT1_PKT2_PKS2_S2_S3_PS4_PS7_PS2_.num_agpr, 0
	.set _ZN9rocsparseL33bsr2csr_block_per_row_8_32_kernelILj1024ELj8EiliEEv20rocsparse_direction_T3_S2_21rocsparse_index_base_PKT1_PKT2_PKS2_S2_S3_PS4_PS7_PS2_.numbered_sgpr, 34
	.set _ZN9rocsparseL33bsr2csr_block_per_row_8_32_kernelILj1024ELj8EiliEEv20rocsparse_direction_T3_S2_21rocsparse_index_base_PKT1_PKT2_PKS2_S2_S3_PS4_PS7_PS2_.num_named_barrier, 0
	.set _ZN9rocsparseL33bsr2csr_block_per_row_8_32_kernelILj1024ELj8EiliEEv20rocsparse_direction_T3_S2_21rocsparse_index_base_PKT1_PKT2_PKS2_S2_S3_PS4_PS7_PS2_.private_seg_size, 0
	.set _ZN9rocsparseL33bsr2csr_block_per_row_8_32_kernelILj1024ELj8EiliEEv20rocsparse_direction_T3_S2_21rocsparse_index_base_PKT1_PKT2_PKS2_S2_S3_PS4_PS7_PS2_.uses_vcc, 1
	.set _ZN9rocsparseL33bsr2csr_block_per_row_8_32_kernelILj1024ELj8EiliEEv20rocsparse_direction_T3_S2_21rocsparse_index_base_PKT1_PKT2_PKS2_S2_S3_PS4_PS7_PS2_.uses_flat_scratch, 0
	.set _ZN9rocsparseL33bsr2csr_block_per_row_8_32_kernelILj1024ELj8EiliEEv20rocsparse_direction_T3_S2_21rocsparse_index_base_PKT1_PKT2_PKS2_S2_S3_PS4_PS7_PS2_.has_dyn_sized_stack, 0
	.set _ZN9rocsparseL33bsr2csr_block_per_row_8_32_kernelILj1024ELj8EiliEEv20rocsparse_direction_T3_S2_21rocsparse_index_base_PKT1_PKT2_PKS2_S2_S3_PS4_PS7_PS2_.has_recursion, 0
	.set _ZN9rocsparseL33bsr2csr_block_per_row_8_32_kernelILj1024ELj8EiliEEv20rocsparse_direction_T3_S2_21rocsparse_index_base_PKT1_PKT2_PKS2_S2_S3_PS4_PS7_PS2_.has_indirect_call, 0
	.section	.AMDGPU.csdata,"",@progbits
; Kernel info:
; codeLenInByte = 1296
; TotalNumSgprs: 36
; NumVgprs: 37
; ScratchSize: 0
; MemoryBound: 0
; FloatMode: 240
; IeeeMode: 1
; LDSByteSize: 0 bytes/workgroup (compile time only)
; SGPRBlocks: 0
; VGPRBlocks: 2
; NumSGPRsForWavesPerEU: 36
; NumVGPRsForWavesPerEU: 37
; NamedBarCnt: 0
; Occupancy: 16
; WaveLimiterHint : 0
; COMPUTE_PGM_RSRC2:SCRATCH_EN: 0
; COMPUTE_PGM_RSRC2:USER_SGPR: 2
; COMPUTE_PGM_RSRC2:TRAP_HANDLER: 0
; COMPUTE_PGM_RSRC2:TGID_X_EN: 1
; COMPUTE_PGM_RSRC2:TGID_Y_EN: 0
; COMPUTE_PGM_RSRC2:TGID_Z_EN: 0
; COMPUTE_PGM_RSRC2:TIDIG_COMP_CNT: 0
	.section	.text._ZN9rocsparseL33bsr2csr_block_per_row_8_32_kernelILj1024ELj16EiliEEv20rocsparse_direction_T3_S2_21rocsparse_index_base_PKT1_PKT2_PKS2_S2_S3_PS4_PS7_PS2_,"axG",@progbits,_ZN9rocsparseL33bsr2csr_block_per_row_8_32_kernelILj1024ELj16EiliEEv20rocsparse_direction_T3_S2_21rocsparse_index_base_PKT1_PKT2_PKS2_S2_S3_PS4_PS7_PS2_,comdat
	.globl	_ZN9rocsparseL33bsr2csr_block_per_row_8_32_kernelILj1024ELj16EiliEEv20rocsparse_direction_T3_S2_21rocsparse_index_base_PKT1_PKT2_PKS2_S2_S3_PS4_PS7_PS2_ ; -- Begin function _ZN9rocsparseL33bsr2csr_block_per_row_8_32_kernelILj1024ELj16EiliEEv20rocsparse_direction_T3_S2_21rocsparse_index_base_PKT1_PKT2_PKS2_S2_S3_PS4_PS7_PS2_
	.p2align	8
	.type	_ZN9rocsparseL33bsr2csr_block_per_row_8_32_kernelILj1024ELj16EiliEEv20rocsparse_direction_T3_S2_21rocsparse_index_base_PKT1_PKT2_PKS2_S2_S3_PS4_PS7_PS2_,@function
_ZN9rocsparseL33bsr2csr_block_per_row_8_32_kernelILj1024ELj16EiliEEv20rocsparse_direction_T3_S2_21rocsparse_index_base_PKT1_PKT2_PKS2_S2_S3_PS4_PS7_PS2_: ; @_ZN9rocsparseL33bsr2csr_block_per_row_8_32_kernelILj1024ELj16EiliEEv20rocsparse_direction_T3_S2_21rocsparse_index_base_PKT1_PKT2_PKS2_S2_S3_PS4_PS7_PS2_
; %bb.0:
	s_clause 0x1
	s_load_b64 s[2:3], s[0:1], 0x28
	s_load_b64 s[18:19], s[0:1], 0x38
	s_bfe_u32 s4, ttmp6, 0x4000c
	s_and_b32 s5, ttmp6, 15
	s_add_co_i32 s4, s4, 1
	s_getreg_b32 s6, hwreg(HW_REG_IB_STS2, 6, 4)
	s_mul_i32 s4, ttmp9, s4
	s_delay_alu instid0(SALU_CYCLE_1) | instskip(SKIP_3) | instid1(SALU_CYCLE_1)
	s_add_co_i32 s5, s5, s4
	s_cmp_eq_u32 s6, 0
	s_mov_b32 s4, exec_lo
	s_cselect_b32 s20, ttmp9, s5
	v_or_b32_e32 v1, s20, v0
	s_delay_alu instid0(VALU_DEP_1)
	v_cmpx_eq_u32_e32 0, v1
	s_cbranch_execz .LBB21_2
; %bb.1:
	s_wait_kmcnt 0x0
	v_dual_mov_b32 v2, s3 :: v_dual_mov_b32 v3, 0
	global_store_b64 v3, v[2:3], s[18:19]
.LBB21_2:
	s_wait_xcnt 0x0
	s_or_b32 exec_lo, exec_lo, s4
	v_and_b32_e32 v6, 15, v0
	v_bfe_u32 v24, v0, 4, 4
	s_mov_b32 s4, exec_lo
	s_delay_alu instid0(VALU_DEP_1) | instskip(SKIP_1) | instid1(VALU_DEP_1)
	v_max_i32_e32 v1, v24, v6
	s_wait_kmcnt 0x0
	v_cmpx_gt_i32_e64 s2, v1
	s_cbranch_execz .LBB21_13
; %bb.3:
	s_clause 0x1
	s_load_b64 s[4:5], s[0:1], 0x18
	s_load_b32 s8, s[0:1], 0xc
	s_ashr_i32 s21, s20, 31
	s_mov_b32 s9, 0
	s_lshl_b64 s[6:7], s[20:21], 3
	s_mov_b32 s12, s2
	s_mov_b32 s13, s9
	v_dual_mov_b32 v5, 0 :: v_dual_lshrrev_b32 v4, 8, v0
	s_mov_b32 s26, s3
	s_mov_b32 s27, s9
	v_mad_u32 v7, s2, s20, v24
	s_wait_kmcnt 0x0
	s_add_nc_u64 s[10:11], s[4:5], s[6:7]
	s_load_b128 s[4:7], s[10:11], 0x0
	s_wait_xcnt 0x0
	s_mul_i32 s10, s2, s2
	s_mov_b32 s11, s9
	s_wait_kmcnt 0x0
	s_sub_nc_u64 s[24:25], s[4:5], s[8:9]
	s_sub_nc_u64 s[6:7], s[6:7], s[8:9]
	s_mul_u64 s[14:15], s[24:25], s[10:11]
	s_sub_nc_u64 s[16:17], s[6:7], s[24:25]
	v_add_nc_u64_e32 v[0:1], s[24:25], v[4:5]
	s_mul_u64 s[22:23], s[16:17], s[12:13]
	s_delay_alu instid0(SALU_CYCLE_1) | instskip(SKIP_1) | instid1(VALU_DEP_2)
	v_mad_nc_u64_u32 v[2:3], s22, v24, s[14:15]
	s_add_nc_u64 s[20:21], s[22:23], s[26:27]
	v_cmp_gt_i64_e32 vcc_lo, s[6:7], v[0:1]
	s_delay_alu instid0(VALU_DEP_2) | instskip(NEXT) | instid1(VALU_DEP_1)
	v_mad_u32 v3, s23, v24, v3
	v_add_nc_u64_e32 v[8:9], s[20:21], v[2:3]
	global_store_b64 v7, v[8:9], s[18:19] offset:8 scale_offset
	s_wait_xcnt 0x0
	s_and_b32 exec_lo, exec_lo, vcc_lo
	s_cbranch_execz .LBB21_13
; %bb.4:
	v_add_nc_u64_e32 v[8:9], s[4:5], v[4:5]
	s_clause 0x3
	s_load_b64 s[22:23], s[0:1], 0x20
	s_load_b64 s[18:19], s[0:1], 0x30
	s_load_b32 s26, s[0:1], 0x0
	s_load_b64 s[20:21], s[0:1], 0x10
	v_mul_lo_u32 v10, s2, v6
	v_mul_lo_u32 v12, s2, v24
	v_dual_mov_b32 v11, v5 :: v_dual_mov_b32 v13, v5
	v_sub_nc_u64_e64 v[8:9], v[8:9], s[8:9]
	v_dual_mov_b32 v15, v5 :: v_dual_lshlrev_b32 v14, 2, v24
	v_dual_mov_b32 v17, v5 :: v_dual_lshlrev_b32 v16, 2, v6
	v_mov_b32_e32 v7, v5
	s_delay_alu instid0(VALU_DEP_4) | instskip(SKIP_2) | instid1(VALU_DEP_1)
	v_add_nc_u64_e32 v[8:9], 4, v[8:9]
	s_wait_kmcnt 0x0
	s_cmp_eq_u32 s26, 0
	v_max_i64 v[8:9], v[8:9], s[6:7]
	v_lshl_add_u64 v[10:11], v[10:11], 2, s[20:21]
	v_lshl_add_u64 v[12:13], v[12:13], 2, s[20:21]
	s_cselect_b32 vcc_lo, -1, 0
	s_not_b64 s[20:21], s[4:5]
	s_delay_alu instid0(SALU_CYCLE_1) | instskip(SKIP_2) | instid1(VALU_DEP_1)
	s_add_nc_u64 s[20:21], s[20:21], s[8:9]
	v_add_nc_u64_e32 v[10:11], v[10:11], v[14:15]
	v_add_nc_u64_e32 v[14:15], v[12:13], v[16:17]
	v_dual_cndmask_b32 v11, v11, v15 :: v_dual_cndmask_b32 v10, v10, v14
	v_add_nc_u64_e32 v[8:9], s[20:21], v[8:9]
	s_load_b64 s[20:21], s[0:1], 0x40
	s_wait_xcnt 0x0
	s_mov_b32 s1, s9
	s_delay_alu instid0(VALU_DEP_1) | instskip(SKIP_2) | instid1(VALU_DEP_2)
	v_sub_nc_u64_e32 v[12:13], v[8:9], v[4:5]
	v_add_nc_u32_e32 v8, s3, v6
	s_mov_b32 s3, exec_lo
	v_cmpx_lt_u64_e32 3, v[12:13]
	s_xor_b32 s3, exec_lo, s3
	s_cbranch_execnz .LBB21_7
; %bb.5:
	s_and_not1_saveexec_b32 s0, s3
	s_cbranch_execnz .LBB21_10
.LBB21_6:
	s_or_b32 exec_lo, exec_lo, s0
	s_delay_alu instid0(SALU_CYCLE_1)
	s_and_b32 exec_lo, exec_lo, s1
	s_cbranch_execnz .LBB21_11
	s_branch .LBB21_13
.LBB21_7:
	v_lshrrev_b64 v[4:5], 2, v[12:13]
	v_add_nc_u64_e32 v[12:13], v[2:3], v[6:7]
	v_add_nc_u64_e32 v[2:3], 4, v[0:1]
	s_mov_b32 s28, s8
	s_mov_b32 s29, s8
	;; [unrolled: 1-line block ×4, first 2 shown]
	v_add_nc_u64_e32 v[14:15], 1, v[4:5]
	v_lshl_add_u64 v[4:5], v[0:1], 2, s[22:23]
	v_dual_mov_b32 v9, v8 :: v_dual_mov_b32 v21, v13
	s_mov_b32 s30, s12
	s_mov_b32 s31, s2
	s_delay_alu instid0(VALU_DEP_2) | instskip(NEXT) | instid1(VALU_DEP_4)
	v_add_nc_u64_e32 v[18:19], 16, v[4:5]
	v_dual_mov_b32 v17, v15 :: v_dual_bitop2_b32 v16, -2, v14 bitop3:0x40
	v_mov_b32_e32 v20, v12
	v_mov_b64_e32 v[4:5], v[2:3]
	v_mov_b64_e32 v[2:3], v[0:1]
	s_mov_b32 s26, s10
	v_mov_b64_e32 v[22:23], v[16:17]
	s_mov_b32 s27, s11
	s_mov_b32 s33, 0
.LBB21_8:                               ; =>This Inner Loop Header: Depth=1
	s_delay_alu instid0(VALU_DEP_2)
	v_mul_u64_e32 v[26:27], s[10:11], v[2:3]
	v_mul_u64_e32 v[28:29], s[26:27], v[4:5]
	s_clause 0x1
	global_load_b32 v25, v[18:19], off offset:-16
	global_load_b32 v34, v[18:19], off
	v_add_nc_u64_e32 v[22:23], -2, v[22:23]
	s_wait_xcnt 0x0
	v_add_nc_u64_e32 v[18:19], 32, v[18:19]
	s_delay_alu instid0(VALU_DEP_2)
	v_cmp_eq_u64_e32 vcc_lo, 0, v[22:23]
	s_or_b32 s33, vcc_lo, s33
	v_lshl_add_u64 v[26:27], v[26:27], 2, v[10:11]
	v_lshl_add_u64 v[28:29], v[28:29], 2, v[10:11]
	s_clause 0x1
	global_load_b32 v35, v[26:27], off
	global_load_b32 v36, v[28:29], off
	s_wait_xcnt 0x1
	v_sub_nc_u64_e64 v[26:27], v[2:3], s[24:25]
	s_wait_xcnt 0x0
	v_sub_nc_u64_e64 v[28:29], v[4:5], s[0:1]
	v_add_nc_u64_e32 v[4:5], 8, v[4:5]
	v_add_nc_u64_e32 v[2:3], 8, v[2:3]
	s_delay_alu instid0(VALU_DEP_4) | instskip(NEXT) | instid1(VALU_DEP_4)
	v_mad_nc_u64_u32 v[30:31], v26, s12, v[12:13]
	v_mad_nc_u64_u32 v[32:33], v28, s30, v[20:21]
	s_delay_alu instid0(VALU_DEP_2) | instskip(NEXT) | instid1(VALU_DEP_2)
	v_mad_u32 v31, v27, s12, v31
	v_mad_u32 v33, v29, s30, v33
	s_delay_alu instid0(VALU_DEP_2) | instskip(NEXT) | instid1(VALU_DEP_2)
	v_lshlrev_b64_e32 v[26:27], 2, v[30:31]
	v_lshlrev_b64_e32 v[28:29], 2, v[32:33]
	s_wait_kmcnt 0x0
	s_delay_alu instid0(VALU_DEP_1)
	v_add_nc_u64_e32 v[32:33], s[20:21], v[28:29]
	v_add_nc_u64_e32 v[28:29], s[18:19], v[28:29]
	s_wait_loadcnt 0x3
	v_subrev_nc_u32_e32 v25, s28, v25
	s_wait_loadcnt 0x2
	v_subrev_nc_u32_e32 v30, s29, v34
	s_delay_alu instid0(VALU_DEP_2) | instskip(NEXT) | instid1(VALU_DEP_2)
	v_mad_u32 v25, v25, s2, v8
	v_mad_u32 v34, v30, s31, v9
	v_add_nc_u64_e32 v[30:31], s[20:21], v[26:27]
	v_add_nc_u64_e32 v[26:27], s[18:19], v[26:27]
	s_clause 0x1
	global_store_b32 v[30:31], v25, off
	global_store_b32 v[32:33], v34, off
	s_wait_loadcnt 0x1
	global_store_b32 v[26:27], v35, off
	s_wait_loadcnt 0x0
	global_store_b32 v[28:29], v36, off
	s_wait_xcnt 0x0
	s_and_not1_b32 exec_lo, exec_lo, s33
	s_cbranch_execnz .LBB21_8
; %bb.9:
	s_or_b32 exec_lo, exec_lo, s33
	v_cmp_ne_u64_e32 vcc_lo, v[14:15], v[16:17]
	v_lshl_add_u64 v[0:1], v[16:17], 2, v[0:1]
	s_and_b32 s1, vcc_lo, exec_lo
	s_and_not1_saveexec_b32 s0, s3
	s_cbranch_execz .LBB21_6
.LBB21_10:
	s_or_b32 s1, s1, exec_lo
	s_or_b32 exec_lo, exec_lo, s0
	s_delay_alu instid0(SALU_CYCLE_1)
	s_and_b32 exec_lo, exec_lo, s1
	s_cbranch_execz .LBB21_13
.LBB21_11:
	v_mad_nc_u64_u32 v[2:3], s16, v24, v[0:1]
	v_mul_u64_e32 v[4:5], s[10:11], v[0:1]
	s_lshl_b64 s[0:1], s[10:11], 4
	s_mov_b32 s3, 0
	s_delay_alu instid0(VALU_DEP_2) | instskip(NEXT) | instid1(VALU_DEP_1)
	v_mad_u32 v3, s17, v24, v3
	v_add_nc_u64_e32 v[2:3], s[8:9], v[2:3]
	s_delay_alu instid0(VALU_DEP_1) | instskip(SKIP_1) | instid1(VALU_DEP_4)
	v_sub_nc_u64_e64 v[2:3], v[2:3], s[4:5]
	s_lshl_b64 s[4:5], s[12:13], 4
	v_lshl_add_u64 v[4:5], v[4:5], 2, v[10:11]
	s_delay_alu instid0(VALU_DEP_2) | instskip(NEXT) | instid1(VALU_DEP_1)
	v_mad_nc_u64_u32 v[12:13], v2, s12, s[14:15]
	v_mad_u32 v13, v3, s12, v13
	s_delay_alu instid0(VALU_DEP_1) | instskip(SKIP_1) | instid1(VALU_DEP_2)
	v_add_nc_u64_e32 v[2:3], v[12:13], v[6:7]
	v_lshl_add_u64 v[6:7], v[0:1], 2, s[22:23]
	v_lshlrev_b64_e32 v[2:3], 2, v[2:3]
.LBB21_12:                              ; =>This Inner Loop Header: Depth=1
	global_load_b32 v9, v[6:7], off
	s_wait_kmcnt 0x0
	v_add_nc_u64_e32 v[10:11], s[20:21], v[2:3]
	v_add_nc_u64_e32 v[0:1], 4, v[0:1]
	s_wait_xcnt 0x0
	v_add_nc_u64_e32 v[6:7], 16, v[6:7]
	s_delay_alu instid0(VALU_DEP_2) | instskip(SKIP_3) | instid1(VALU_DEP_1)
	v_cmp_le_i64_e32 vcc_lo, s[6:7], v[0:1]
	s_or_b32 s3, vcc_lo, s3
	s_wait_loadcnt 0x0
	v_subrev_nc_u32_e32 v9, s8, v9
	v_mad_u32 v9, v9, s2, v8
	global_store_b32 v[10:11], v9, off
	global_load_b32 v9, v[4:5], off
	v_add_nc_u64_e32 v[10:11], s[18:19], v[2:3]
	v_add_nc_u64_e32 v[2:3], s[4:5], v[2:3]
	s_wait_xcnt 0x0
	v_add_nc_u64_e32 v[4:5], s[0:1], v[4:5]
	s_wait_loadcnt 0x0
	global_store_b32 v[10:11], v9, off
	s_wait_xcnt 0x0
	s_and_not1_b32 exec_lo, exec_lo, s3
	s_cbranch_execnz .LBB21_12
.LBB21_13:
	s_endpgm
	.section	.rodata,"a",@progbits
	.p2align	6, 0x0
	.amdhsa_kernel _ZN9rocsparseL33bsr2csr_block_per_row_8_32_kernelILj1024ELj16EiliEEv20rocsparse_direction_T3_S2_21rocsparse_index_base_PKT1_PKT2_PKS2_S2_S3_PS4_PS7_PS2_
		.amdhsa_group_segment_fixed_size 0
		.amdhsa_private_segment_fixed_size 0
		.amdhsa_kernarg_size 72
		.amdhsa_user_sgpr_count 2
		.amdhsa_user_sgpr_dispatch_ptr 0
		.amdhsa_user_sgpr_queue_ptr 0
		.amdhsa_user_sgpr_kernarg_segment_ptr 1
		.amdhsa_user_sgpr_dispatch_id 0
		.amdhsa_user_sgpr_kernarg_preload_length 0
		.amdhsa_user_sgpr_kernarg_preload_offset 0
		.amdhsa_user_sgpr_private_segment_size 0
		.amdhsa_wavefront_size32 1
		.amdhsa_uses_dynamic_stack 0
		.amdhsa_enable_private_segment 0
		.amdhsa_system_sgpr_workgroup_id_x 1
		.amdhsa_system_sgpr_workgroup_id_y 0
		.amdhsa_system_sgpr_workgroup_id_z 0
		.amdhsa_system_sgpr_workgroup_info 0
		.amdhsa_system_vgpr_workitem_id 0
		.amdhsa_next_free_vgpr 37
		.amdhsa_next_free_sgpr 34
		.amdhsa_named_barrier_count 0
		.amdhsa_reserve_vcc 1
		.amdhsa_float_round_mode_32 0
		.amdhsa_float_round_mode_16_64 0
		.amdhsa_float_denorm_mode_32 3
		.amdhsa_float_denorm_mode_16_64 3
		.amdhsa_fp16_overflow 0
		.amdhsa_memory_ordered 1
		.amdhsa_forward_progress 1
		.amdhsa_inst_pref_size 11
		.amdhsa_round_robin_scheduling 0
		.amdhsa_exception_fp_ieee_invalid_op 0
		.amdhsa_exception_fp_denorm_src 0
		.amdhsa_exception_fp_ieee_div_zero 0
		.amdhsa_exception_fp_ieee_overflow 0
		.amdhsa_exception_fp_ieee_underflow 0
		.amdhsa_exception_fp_ieee_inexact 0
		.amdhsa_exception_int_div_zero 0
	.end_amdhsa_kernel
	.section	.text._ZN9rocsparseL33bsr2csr_block_per_row_8_32_kernelILj1024ELj16EiliEEv20rocsparse_direction_T3_S2_21rocsparse_index_base_PKT1_PKT2_PKS2_S2_S3_PS4_PS7_PS2_,"axG",@progbits,_ZN9rocsparseL33bsr2csr_block_per_row_8_32_kernelILj1024ELj16EiliEEv20rocsparse_direction_T3_S2_21rocsparse_index_base_PKT1_PKT2_PKS2_S2_S3_PS4_PS7_PS2_,comdat
.Lfunc_end21:
	.size	_ZN9rocsparseL33bsr2csr_block_per_row_8_32_kernelILj1024ELj16EiliEEv20rocsparse_direction_T3_S2_21rocsparse_index_base_PKT1_PKT2_PKS2_S2_S3_PS4_PS7_PS2_, .Lfunc_end21-_ZN9rocsparseL33bsr2csr_block_per_row_8_32_kernelILj1024ELj16EiliEEv20rocsparse_direction_T3_S2_21rocsparse_index_base_PKT1_PKT2_PKS2_S2_S3_PS4_PS7_PS2_
                                        ; -- End function
	.set _ZN9rocsparseL33bsr2csr_block_per_row_8_32_kernelILj1024ELj16EiliEEv20rocsparse_direction_T3_S2_21rocsparse_index_base_PKT1_PKT2_PKS2_S2_S3_PS4_PS7_PS2_.num_vgpr, 37
	.set _ZN9rocsparseL33bsr2csr_block_per_row_8_32_kernelILj1024ELj16EiliEEv20rocsparse_direction_T3_S2_21rocsparse_index_base_PKT1_PKT2_PKS2_S2_S3_PS4_PS7_PS2_.num_agpr, 0
	.set _ZN9rocsparseL33bsr2csr_block_per_row_8_32_kernelILj1024ELj16EiliEEv20rocsparse_direction_T3_S2_21rocsparse_index_base_PKT1_PKT2_PKS2_S2_S3_PS4_PS7_PS2_.numbered_sgpr, 34
	.set _ZN9rocsparseL33bsr2csr_block_per_row_8_32_kernelILj1024ELj16EiliEEv20rocsparse_direction_T3_S2_21rocsparse_index_base_PKT1_PKT2_PKS2_S2_S3_PS4_PS7_PS2_.num_named_barrier, 0
	.set _ZN9rocsparseL33bsr2csr_block_per_row_8_32_kernelILj1024ELj16EiliEEv20rocsparse_direction_T3_S2_21rocsparse_index_base_PKT1_PKT2_PKS2_S2_S3_PS4_PS7_PS2_.private_seg_size, 0
	.set _ZN9rocsparseL33bsr2csr_block_per_row_8_32_kernelILj1024ELj16EiliEEv20rocsparse_direction_T3_S2_21rocsparse_index_base_PKT1_PKT2_PKS2_S2_S3_PS4_PS7_PS2_.uses_vcc, 1
	.set _ZN9rocsparseL33bsr2csr_block_per_row_8_32_kernelILj1024ELj16EiliEEv20rocsparse_direction_T3_S2_21rocsparse_index_base_PKT1_PKT2_PKS2_S2_S3_PS4_PS7_PS2_.uses_flat_scratch, 0
	.set _ZN9rocsparseL33bsr2csr_block_per_row_8_32_kernelILj1024ELj16EiliEEv20rocsparse_direction_T3_S2_21rocsparse_index_base_PKT1_PKT2_PKS2_S2_S3_PS4_PS7_PS2_.has_dyn_sized_stack, 0
	.set _ZN9rocsparseL33bsr2csr_block_per_row_8_32_kernelILj1024ELj16EiliEEv20rocsparse_direction_T3_S2_21rocsparse_index_base_PKT1_PKT2_PKS2_S2_S3_PS4_PS7_PS2_.has_recursion, 0
	.set _ZN9rocsparseL33bsr2csr_block_per_row_8_32_kernelILj1024ELj16EiliEEv20rocsparse_direction_T3_S2_21rocsparse_index_base_PKT1_PKT2_PKS2_S2_S3_PS4_PS7_PS2_.has_indirect_call, 0
	.section	.AMDGPU.csdata,"",@progbits
; Kernel info:
; codeLenInByte = 1292
; TotalNumSgprs: 36
; NumVgprs: 37
; ScratchSize: 0
; MemoryBound: 0
; FloatMode: 240
; IeeeMode: 1
; LDSByteSize: 0 bytes/workgroup (compile time only)
; SGPRBlocks: 0
; VGPRBlocks: 2
; NumSGPRsForWavesPerEU: 36
; NumVGPRsForWavesPerEU: 37
; NamedBarCnt: 0
; Occupancy: 16
; WaveLimiterHint : 0
; COMPUTE_PGM_RSRC2:SCRATCH_EN: 0
; COMPUTE_PGM_RSRC2:USER_SGPR: 2
; COMPUTE_PGM_RSRC2:TRAP_HANDLER: 0
; COMPUTE_PGM_RSRC2:TGID_X_EN: 1
; COMPUTE_PGM_RSRC2:TGID_Y_EN: 0
; COMPUTE_PGM_RSRC2:TGID_Z_EN: 0
; COMPUTE_PGM_RSRC2:TIDIG_COMP_CNT: 0
	.section	.text._ZN9rocsparseL33bsr2csr_block_per_row_8_32_kernelILj1024ELj32EiliEEv20rocsparse_direction_T3_S2_21rocsparse_index_base_PKT1_PKT2_PKS2_S2_S3_PS4_PS7_PS2_,"axG",@progbits,_ZN9rocsparseL33bsr2csr_block_per_row_8_32_kernelILj1024ELj32EiliEEv20rocsparse_direction_T3_S2_21rocsparse_index_base_PKT1_PKT2_PKS2_S2_S3_PS4_PS7_PS2_,comdat
	.globl	_ZN9rocsparseL33bsr2csr_block_per_row_8_32_kernelILj1024ELj32EiliEEv20rocsparse_direction_T3_S2_21rocsparse_index_base_PKT1_PKT2_PKS2_S2_S3_PS4_PS7_PS2_ ; -- Begin function _ZN9rocsparseL33bsr2csr_block_per_row_8_32_kernelILj1024ELj32EiliEEv20rocsparse_direction_T3_S2_21rocsparse_index_base_PKT1_PKT2_PKS2_S2_S3_PS4_PS7_PS2_
	.p2align	8
	.type	_ZN9rocsparseL33bsr2csr_block_per_row_8_32_kernelILj1024ELj32EiliEEv20rocsparse_direction_T3_S2_21rocsparse_index_base_PKT1_PKT2_PKS2_S2_S3_PS4_PS7_PS2_,@function
_ZN9rocsparseL33bsr2csr_block_per_row_8_32_kernelILj1024ELj32EiliEEv20rocsparse_direction_T3_S2_21rocsparse_index_base_PKT1_PKT2_PKS2_S2_S3_PS4_PS7_PS2_: ; @_ZN9rocsparseL33bsr2csr_block_per_row_8_32_kernelILj1024ELj32EiliEEv20rocsparse_direction_T3_S2_21rocsparse_index_base_PKT1_PKT2_PKS2_S2_S3_PS4_PS7_PS2_
; %bb.0:
	s_clause 0x1
	s_load_b64 s[2:3], s[0:1], 0x28
	s_load_b64 s[16:17], s[0:1], 0x38
	s_bfe_u32 s4, ttmp6, 0x4000c
	s_and_b32 s5, ttmp6, 15
	s_add_co_i32 s4, s4, 1
	s_getreg_b32 s6, hwreg(HW_REG_IB_STS2, 6, 4)
	s_mul_i32 s4, ttmp9, s4
	s_delay_alu instid0(SALU_CYCLE_1) | instskip(SKIP_3) | instid1(SALU_CYCLE_1)
	s_add_co_i32 s5, s5, s4
	s_cmp_eq_u32 s6, 0
	s_mov_b32 s4, exec_lo
	s_cselect_b32 s22, ttmp9, s5
	v_or_b32_e32 v1, s22, v0
	s_delay_alu instid0(VALU_DEP_1)
	v_cmpx_eq_u32_e32 0, v1
	s_cbranch_execz .LBB22_2
; %bb.1:
	s_wait_kmcnt 0x0
	v_dual_mov_b32 v2, s3 :: v_dual_mov_b32 v3, 0
	global_store_b64 v3, v[2:3], s[16:17]
.LBB22_2:
	s_wait_xcnt 0x0
	s_or_b32 exec_lo, exec_lo, s4
	v_dual_lshrrev_b32 v4, 5, v0 :: v_dual_bitop2_b32 v2, 31, v0 bitop3:0x40
	s_mov_b32 s4, exec_lo
	s_delay_alu instid0(VALU_DEP_1) | instskip(SKIP_1) | instid1(VALU_DEP_1)
	v_max_i32_e32 v0, v4, v2
	s_wait_kmcnt 0x0
	v_cmpx_gt_i32_e64 s2, v0
	s_cbranch_execz .LBB22_6
; %bb.3:
	s_clause 0x1
	s_load_b64 s[4:5], s[0:1], 0x18
	s_load_b32 s8, s[0:1], 0xc
	s_ashr_i32 s23, s22, 31
	s_mov_b32 s9, 0
	s_lshl_b64 s[6:7], s[22:23], 3
	s_mul_i32 s14, s2, s2
	s_mov_b32 s18, s2
	s_mov_b32 s15, s9
	s_mov_b32 s19, s9
	s_mov_b32 s26, s3
	v_mad_u32 v3, s2, s22, v4
	s_mov_b32 s27, s9
	s_wait_kmcnt 0x0
	s_add_nc_u64 s[10:11], s[4:5], s[6:7]
	s_load_b128 s[4:7], s[10:11], 0x0
	s_wait_kmcnt 0x0
	s_sub_nc_u64 s[10:11], s[4:5], s[8:9]
	s_sub_nc_u64 s[12:13], s[6:7], s[8:9]
	s_mul_u64 s[20:21], s[10:11], s[14:15]
	s_sub_nc_u64 s[24:25], s[12:13], s[10:11]
	v_cmp_ge_i64_e64 s6, s[4:5], s[6:7]
	s_mul_u64 s[24:25], s[24:25], s[18:19]
	s_delay_alu instid0(SALU_CYCLE_1) | instskip(SKIP_2) | instid1(VALU_DEP_1)
	v_mad_nc_u64_u32 v[0:1], s24, v4, s[20:21]
	s_add_nc_u64 s[22:23], s[24:25], s[26:27]
	s_and_b32 vcc_lo, exec_lo, s6
	v_mad_u32 v1, s25, v4, v1
	s_delay_alu instid0(VALU_DEP_1)
	v_add_nc_u64_e32 v[6:7], s[22:23], v[0:1]
	global_store_b64 v3, v[6:7], s[16:17] offset:8 scale_offset
	s_cbranch_vccnz .LBB22_6
; %bb.4:
	s_wait_xcnt 0x0
	s_clause 0x3
	s_load_b64 s[16:17], s[0:1], 0x10
	s_load_b64 s[22:23], s[0:1], 0x20
	;; [unrolled: 1-line block ×3, first 2 shown]
	s_load_b32 s24, s[0:1], 0x0
	v_mul_lo_u32 v6, s2, v2
	v_mov_b32_e32 v3, 0
	v_mul_lo_u32 v8, s2, v4
	v_dual_lshlrev_b32 v4, 2, v4 :: v_dual_lshlrev_b32 v10, 2, v2
	s_wait_xcnt 0x0
	s_load_b64 s[0:1], s[0:1], 0x40
	v_dual_mov_b32 v7, v3 :: v_dual_mov_b32 v9, v3
	v_mov_b32_e32 v5, v3
	v_add_nc_u64_e32 v[0:1], v[0:1], v[2:3]
	s_delay_alu instid0(VALU_DEP_1)
	v_lshlrev_b64_e32 v[0:1], 2, v[0:1]
	s_wait_kmcnt 0x0
	v_lshl_add_u64 v[6:7], v[6:7], 2, s[16:17]
	v_lshl_add_u64 v[8:9], v[8:9], 2, s[16:17]
	s_cmp_eq_u32 s24, 0
	s_cselect_b32 vcc_lo, -1, 0
	s_delay_alu instid0(VALU_DEP_2)
	v_add_nc_u64_e32 v[4:5], v[6:7], v[4:5]
	v_mov_b32_e32 v11, v3
	s_lshl_b64 s[16:17], s[4:5], 2
	s_lshl_b64 s[24:25], s[8:9], 2
	;; [unrolled: 1-line block ×3, first 2 shown]
	s_sub_nc_u64 s[16:17], s[16:17], s[24:25]
	v_add_nc_u64_e32 v[6:7], v[8:9], v[10:11]
	s_lshl_b64 s[14:15], s[18:19], 2
	s_add_nc_u64 s[16:17], s[22:23], s[16:17]
	s_delay_alu instid0(VALU_DEP_1) | instskip(SKIP_1) | instid1(VALU_DEP_2)
	v_dual_cndmask_b32 v7, v5, v7 :: v_dual_cndmask_b32 v6, v4, v6
	v_add_nc_u32_e32 v4, s3, v2
	v_lshl_add_u64 v[2:3], s[20:21], 2, v[6:7]
.LBB22_5:                               ; =>This Inner Loop Header: Depth=1
	global_load_b32 v5, v[2:3], off
	s_load_b32 s3, s[16:17], 0x0
	s_add_nc_u64 s[10:11], s[10:11], 1
	v_add_nc_u64_e32 v[6:7], s[0:1], v[0:1]
	v_cmp_lt_i64_e64 s9, s[10:11], s[12:13]
	v_add_nc_u64_e32 v[8:9], s[6:7], v[0:1]
	v_add_nc_u64_e32 v[2:3], s[4:5], v[2:3]
	;; [unrolled: 1-line block ×3, first 2 shown]
	s_wait_xcnt 0x0
	s_add_nc_u64 s[16:17], s[16:17], 4
	s_and_b32 vcc_lo, exec_lo, s9
	s_wait_kmcnt 0x0
	s_sub_co_i32 s3, s3, s8
	s_delay_alu instid0(SALU_CYCLE_1)
	v_mad_u32 v10, s3, s2, v4
	global_store_b32 v[6:7], v10, off
	s_wait_loadcnt 0x0
	global_store_b32 v[8:9], v5, off
	s_cbranch_vccnz .LBB22_5
.LBB22_6:
	s_endpgm
	.section	.rodata,"a",@progbits
	.p2align	6, 0x0
	.amdhsa_kernel _ZN9rocsparseL33bsr2csr_block_per_row_8_32_kernelILj1024ELj32EiliEEv20rocsparse_direction_T3_S2_21rocsparse_index_base_PKT1_PKT2_PKS2_S2_S3_PS4_PS7_PS2_
		.amdhsa_group_segment_fixed_size 0
		.amdhsa_private_segment_fixed_size 0
		.amdhsa_kernarg_size 72
		.amdhsa_user_sgpr_count 2
		.amdhsa_user_sgpr_dispatch_ptr 0
		.amdhsa_user_sgpr_queue_ptr 0
		.amdhsa_user_sgpr_kernarg_segment_ptr 1
		.amdhsa_user_sgpr_dispatch_id 0
		.amdhsa_user_sgpr_kernarg_preload_length 0
		.amdhsa_user_sgpr_kernarg_preload_offset 0
		.amdhsa_user_sgpr_private_segment_size 0
		.amdhsa_wavefront_size32 1
		.amdhsa_uses_dynamic_stack 0
		.amdhsa_enable_private_segment 0
		.amdhsa_system_sgpr_workgroup_id_x 1
		.amdhsa_system_sgpr_workgroup_id_y 0
		.amdhsa_system_sgpr_workgroup_id_z 0
		.amdhsa_system_sgpr_workgroup_info 0
		.amdhsa_system_vgpr_workitem_id 0
		.amdhsa_next_free_vgpr 12
		.amdhsa_next_free_sgpr 28
		.amdhsa_named_barrier_count 0
		.amdhsa_reserve_vcc 1
		.amdhsa_float_round_mode_32 0
		.amdhsa_float_round_mode_16_64 0
		.amdhsa_float_denorm_mode_32 3
		.amdhsa_float_denorm_mode_16_64 3
		.amdhsa_fp16_overflow 0
		.amdhsa_memory_ordered 1
		.amdhsa_forward_progress 1
		.amdhsa_inst_pref_size 5
		.amdhsa_round_robin_scheduling 0
		.amdhsa_exception_fp_ieee_invalid_op 0
		.amdhsa_exception_fp_denorm_src 0
		.amdhsa_exception_fp_ieee_div_zero 0
		.amdhsa_exception_fp_ieee_overflow 0
		.amdhsa_exception_fp_ieee_underflow 0
		.amdhsa_exception_fp_ieee_inexact 0
		.amdhsa_exception_int_div_zero 0
	.end_amdhsa_kernel
	.section	.text._ZN9rocsparseL33bsr2csr_block_per_row_8_32_kernelILj1024ELj32EiliEEv20rocsparse_direction_T3_S2_21rocsparse_index_base_PKT1_PKT2_PKS2_S2_S3_PS4_PS7_PS2_,"axG",@progbits,_ZN9rocsparseL33bsr2csr_block_per_row_8_32_kernelILj1024ELj32EiliEEv20rocsparse_direction_T3_S2_21rocsparse_index_base_PKT1_PKT2_PKS2_S2_S3_PS4_PS7_PS2_,comdat
.Lfunc_end22:
	.size	_ZN9rocsparseL33bsr2csr_block_per_row_8_32_kernelILj1024ELj32EiliEEv20rocsparse_direction_T3_S2_21rocsparse_index_base_PKT1_PKT2_PKS2_S2_S3_PS4_PS7_PS2_, .Lfunc_end22-_ZN9rocsparseL33bsr2csr_block_per_row_8_32_kernelILj1024ELj32EiliEEv20rocsparse_direction_T3_S2_21rocsparse_index_base_PKT1_PKT2_PKS2_S2_S3_PS4_PS7_PS2_
                                        ; -- End function
	.set _ZN9rocsparseL33bsr2csr_block_per_row_8_32_kernelILj1024ELj32EiliEEv20rocsparse_direction_T3_S2_21rocsparse_index_base_PKT1_PKT2_PKS2_S2_S3_PS4_PS7_PS2_.num_vgpr, 12
	.set _ZN9rocsparseL33bsr2csr_block_per_row_8_32_kernelILj1024ELj32EiliEEv20rocsparse_direction_T3_S2_21rocsparse_index_base_PKT1_PKT2_PKS2_S2_S3_PS4_PS7_PS2_.num_agpr, 0
	.set _ZN9rocsparseL33bsr2csr_block_per_row_8_32_kernelILj1024ELj32EiliEEv20rocsparse_direction_T3_S2_21rocsparse_index_base_PKT1_PKT2_PKS2_S2_S3_PS4_PS7_PS2_.numbered_sgpr, 28
	.set _ZN9rocsparseL33bsr2csr_block_per_row_8_32_kernelILj1024ELj32EiliEEv20rocsparse_direction_T3_S2_21rocsparse_index_base_PKT1_PKT2_PKS2_S2_S3_PS4_PS7_PS2_.num_named_barrier, 0
	.set _ZN9rocsparseL33bsr2csr_block_per_row_8_32_kernelILj1024ELj32EiliEEv20rocsparse_direction_T3_S2_21rocsparse_index_base_PKT1_PKT2_PKS2_S2_S3_PS4_PS7_PS2_.private_seg_size, 0
	.set _ZN9rocsparseL33bsr2csr_block_per_row_8_32_kernelILj1024ELj32EiliEEv20rocsparse_direction_T3_S2_21rocsparse_index_base_PKT1_PKT2_PKS2_S2_S3_PS4_PS7_PS2_.uses_vcc, 1
	.set _ZN9rocsparseL33bsr2csr_block_per_row_8_32_kernelILj1024ELj32EiliEEv20rocsparse_direction_T3_S2_21rocsparse_index_base_PKT1_PKT2_PKS2_S2_S3_PS4_PS7_PS2_.uses_flat_scratch, 0
	.set _ZN9rocsparseL33bsr2csr_block_per_row_8_32_kernelILj1024ELj32EiliEEv20rocsparse_direction_T3_S2_21rocsparse_index_base_PKT1_PKT2_PKS2_S2_S3_PS4_PS7_PS2_.has_dyn_sized_stack, 0
	.set _ZN9rocsparseL33bsr2csr_block_per_row_8_32_kernelILj1024ELj32EiliEEv20rocsparse_direction_T3_S2_21rocsparse_index_base_PKT1_PKT2_PKS2_S2_S3_PS4_PS7_PS2_.has_recursion, 0
	.set _ZN9rocsparseL33bsr2csr_block_per_row_8_32_kernelILj1024ELj32EiliEEv20rocsparse_direction_T3_S2_21rocsparse_index_base_PKT1_PKT2_PKS2_S2_S3_PS4_PS7_PS2_.has_indirect_call, 0
	.section	.AMDGPU.csdata,"",@progbits
; Kernel info:
; codeLenInByte = 636
; TotalNumSgprs: 30
; NumVgprs: 12
; ScratchSize: 0
; MemoryBound: 0
; FloatMode: 240
; IeeeMode: 1
; LDSByteSize: 0 bytes/workgroup (compile time only)
; SGPRBlocks: 0
; VGPRBlocks: 0
; NumSGPRsForWavesPerEU: 30
; NumVGPRsForWavesPerEU: 12
; NamedBarCnt: 0
; Occupancy: 16
; WaveLimiterHint : 0
; COMPUTE_PGM_RSRC2:SCRATCH_EN: 0
; COMPUTE_PGM_RSRC2:USER_SGPR: 2
; COMPUTE_PGM_RSRC2:TRAP_HANDLER: 0
; COMPUTE_PGM_RSRC2:TGID_X_EN: 1
; COMPUTE_PGM_RSRC2:TGID_Y_EN: 0
; COMPUTE_PGM_RSRC2:TGID_Z_EN: 0
; COMPUTE_PGM_RSRC2:TIDIG_COMP_CNT: 0
	.section	.text._ZN9rocsparseL35bsr2csr_block_per_row_33_256_kernelILj1024ELj64ELj32EiliEEv20rocsparse_direction_T4_S2_21rocsparse_index_base_PKT2_PKT3_PKS2_S2_S3_PS4_PS7_PS2_,"axG",@progbits,_ZN9rocsparseL35bsr2csr_block_per_row_33_256_kernelILj1024ELj64ELj32EiliEEv20rocsparse_direction_T4_S2_21rocsparse_index_base_PKT2_PKT3_PKS2_S2_S3_PS4_PS7_PS2_,comdat
	.globl	_ZN9rocsparseL35bsr2csr_block_per_row_33_256_kernelILj1024ELj64ELj32EiliEEv20rocsparse_direction_T4_S2_21rocsparse_index_base_PKT2_PKT3_PKS2_S2_S3_PS4_PS7_PS2_ ; -- Begin function _ZN9rocsparseL35bsr2csr_block_per_row_33_256_kernelILj1024ELj64ELj32EiliEEv20rocsparse_direction_T4_S2_21rocsparse_index_base_PKT2_PKT3_PKS2_S2_S3_PS4_PS7_PS2_
	.p2align	8
	.type	_ZN9rocsparseL35bsr2csr_block_per_row_33_256_kernelILj1024ELj64ELj32EiliEEv20rocsparse_direction_T4_S2_21rocsparse_index_base_PKT2_PKT3_PKS2_S2_S3_PS4_PS7_PS2_,@function
_ZN9rocsparseL35bsr2csr_block_per_row_33_256_kernelILj1024ELj64ELj32EiliEEv20rocsparse_direction_T4_S2_21rocsparse_index_base_PKT2_PKT3_PKS2_S2_S3_PS4_PS7_PS2_: ; @_ZN9rocsparseL35bsr2csr_block_per_row_33_256_kernelILj1024ELj64ELj32EiliEEv20rocsparse_direction_T4_S2_21rocsparse_index_base_PKT2_PKT3_PKS2_S2_S3_PS4_PS7_PS2_
; %bb.0:
	s_load_b64 s[2:3], s[0:1], 0x18
	s_bfe_u32 s4, ttmp6, 0x4000c
	s_and_b32 s5, ttmp6, 15
	s_add_co_i32 s4, s4, 1
	s_getreg_b32 s6, hwreg(HW_REG_IB_STS2, 6, 4)
	s_mul_i32 s4, ttmp9, s4
	s_clause 0x1
	s_load_b64 s[8:9], s[0:1], 0x28
	s_load_b64 s[24:25], s[0:1], 0x38
	s_add_co_i32 s5, s5, s4
	s_cmp_eq_u32 s6, 0
	s_mov_b32 s11, 0
	s_cselect_b32 s26, ttmp9, s5
	s_mov_b32 s13, s11
	s_ashr_i32 s27, s26, 31
	v_or_b32_e32 v1, s26, v0
	s_lshl_b64 s[4:5], s[26:27], 3
	s_wait_kmcnt 0x0
	s_add_nc_u64 s[2:3], s[2:3], s[4:5]
	s_load_b128 s[4:7], s[2:3], 0x0
	s_wait_xcnt 0x0
	s_mov_b32 s2, exec_lo
	s_mov_b32 s12, s9
	v_cmpx_eq_u32_e32 0, v1
	s_cbranch_execz .LBB23_2
; %bb.1:
	v_mov_b64_e32 v[2:3], s[12:13]
	v_mov_b32_e32 v1, 0
	global_store_b64 v1, v[2:3], s[24:25]
.LBB23_2:
	s_wait_xcnt 0x0
	s_or_b32 exec_lo, exec_lo, s2
	s_load_b32 s10, s[0:1], 0xc
	v_lshrrev_b32_e32 v2, 5, v0
	s_mul_i32 s18, s8, s8
	s_mov_b32 s19, s11
	s_mov_b32 s9, s11
	s_mul_i32 s26, s8, s26
	v_cmp_gt_i32_e64 s2, s8, v2
	s_wait_kmcnt 0x0
	s_sub_nc_u64 s[14:15], s[4:5], s[10:11]
	s_sub_nc_u64 s[16:17], s[6:7], s[10:11]
	s_mul_u64 s[20:21], s[14:15], s[18:19]
	s_sub_nc_u64 s[22:23], s[16:17], s[14:15]
	s_add_nc_u64 s[30:31], s[20:21], s[12:13]
	s_mul_u64 s[28:29], s[22:23], s[8:9]
	s_delay_alu instid0(SALU_CYCLE_1)
	s_add_nc_u64 s[30:31], s[30:31], s[28:29]
	s_and_saveexec_b32 s3, s2
	s_cbranch_execz .LBB23_4
; %bb.3:
	v_mad_nc_u64_u32 v[4:5], s28, v2, s[30:31]
	v_add_nc_u32_e32 v1, s26, v2
	s_delay_alu instid0(VALU_DEP_2)
	v_mad_u32 v5, s29, v2, v5
	global_store_b64 v1, v[4:5], s[24:25] offset:8 scale_offset
.LBB23_4:
	s_wait_xcnt 0x0
	s_or_b32 exec_lo, exec_lo, s3
	v_or_b32_e32 v4, 32, v2
	s_delay_alu instid0(VALU_DEP_1)
	v_cmp_gt_i32_e64 s3, s8, v4
	s_and_saveexec_b32 s13, s3
	s_cbranch_execz .LBB23_6
; %bb.5:
	v_mad_nc_u64_u32 v[6:7], s28, v4, s[30:31]
	v_mov_b32_e32 v3, 0
	s_ashr_i32 s27, s26, 31
	s_delay_alu instid0(VALU_DEP_1) | instid1(SALU_CYCLE_1)
	v_add_nc_u64_e32 v[8:9], s[26:27], v[2:3]
	s_delay_alu instid0(VALU_DEP_3) | instskip(NEXT) | instid1(VALU_DEP_2)
	v_mad_u32 v7, s29, v4, v7
	v_lshl_add_u64 v[8:9], v[8:9], 3, s[24:25]
	global_store_b64 v[8:9], v[6:7], off offset:264
.LBB23_6:
	s_wait_xcnt 0x0
	s_or_b32 exec_lo, exec_lo, s13
	v_cmp_lt_i64_e64 s6, s[4:5], s[6:7]
	s_and_b32 vcc_lo, exec_lo, s6
	s_cbranch_vccz .LBB23_17
; %bb.7:
	v_dual_mov_b32 v3, 0 :: v_dual_bitop2_b32 v28, 31, v0 bitop3:0x40
	s_clause 0x4
	s_load_b64 s[6:7], s[0:1], 0x20
	s_load_b64 s[24:25], s[0:1], 0x30
	s_load_b32 s13, s[0:1], 0x0
	s_load_b64 s[26:27], s[0:1], 0x10
	s_load_b64 s[28:29], s[0:1], 0x40
	v_dual_mov_b32 v5, v3 :: v_dual_lshlrev_b32 v16, 2, v2
	v_mul_u64_e32 v[6:7], s[22:23], v[2:3]
	v_dual_lshlrev_b32 v12, 2, v28 :: v_dual_bitop2_b32 v29, 32, v28 bitop3:0x54
	s_delay_alu instid0(VALU_DEP_3)
	v_mul_u64_e32 v[4:5], s[22:23], v[4:5]
	v_mul_lo_u32 v8, v2, s8
	v_mul_lo_u32 v10, v28, s8
	v_cmp_gt_i32_e32 vcc_lo, s8, v28
	s_wait_xcnt 0x0
	v_cmp_gt_i32_e64 s1, s8, v29
	v_dual_mov_b32 v9, v3 :: v_dual_mov_b32 v11, v3
	v_dual_mov_b32 v13, v3 :: v_dual_mov_b32 v19, v3
	;; [unrolled: 1-line block ×3, first 2 shown]
	s_wait_kmcnt 0x0
	s_cmp_eq_u32 s13, 0
	s_delay_alu instid0(VALU_DEP_2)
	v_lshl_add_u64 v[0:1], v[8:9], 2, v[12:13]
	s_cselect_b32 s0, -1, 0
	s_and_b32 s13, s2, vcc_lo
	s_and_b32 s22, s2, s1
	s_lshl_b32 s2, s8, 5
	s_lshl_b64 s[20:21], s[20:21], 2
	v_dual_add_nc_u32 v14, s2, v8 :: v_dual_add_nc_u32 v18, s2, v10
	v_lshl_add_u64 v[2:3], v[10:11], 2, v[16:17]
	s_lshl_b64 s[4:5], s[4:5], 2
	s_lshl_b64 s[30:31], s[10:11], 2
	s_and_b32 s23, s3, vcc_lo
	v_lshl_add_u64 v[16:17], v[18:19], 2, v[16:17]
	s_and_b32 s1, s3, s1
	s_add_nc_u64 s[2:3], s[26:27], s[20:21]
	v_mul_u64_e32 v[6:7], s[8:9], v[6:7]
	v_mul_u64_e32 v[4:5], s[8:9], v[4:5]
	s_delay_alu instid0(VALU_DEP_2) | instskip(SKIP_1) | instid1(VALU_DEP_3)
	v_lshl_add_u64 v[22:23], v[6:7], 2, 0x80
	v_lshl_add_u64 v[6:7], v[14:15], 2, v[12:13]
	v_lshlrev_b64_e32 v[20:21], 2, v[4:5]
	v_add_nc_u64_e32 v[4:5], s[20:21], v[12:13]
	s_delay_alu instid0(VALU_DEP_4)
	v_add_nc_u64_e32 v[8:9], s[28:29], v[22:23]
	v_add_nc_u64_e32 v[14:15], s[24:25], v[22:23]
	s_sub_nc_u64 s[20:21], s[4:5], s[30:31]
	s_lshl_b64 s[4:5], s[18:19], 2
	s_add_nc_u64 s[6:7], s[6:7], s[20:21]
	v_add_nc_u64_e32 v[10:11], s[24:25], v[20:21]
	v_add_nc_u64_e32 v[12:13], s[28:29], v[20:21]
	s_lshl_b64 s[18:19], s[8:9], 2
	s_branch .LBB23_9
.LBB23_8:                               ;   in Loop: Header=BB23_9 Depth=1
	s_wait_xcnt 0x0
	s_or_b32 exec_lo, exec_lo, s9
	s_add_nc_u64 s[14:15], s[14:15], 1
	v_add_nc_u64_e32 v[4:5], s[18:19], v[4:5]
	v_cmp_ge_i64_e64 s9, s[14:15], s[16:17]
	s_add_nc_u64 s[2:3], s[2:3], s[4:5]
	s_add_nc_u64 s[6:7], s[6:7], 4
	s_and_b32 vcc_lo, exec_lo, s9
	s_cbranch_vccnz .LBB23_17
.LBB23_9:                               ; =>This Inner Loop Header: Depth=1
	s_load_b32 s9, s[6:7], 0x0
	v_add_nc_u64_e32 v[22:23], v[8:9], v[4:5]
	v_add_nc_u64_e32 v[24:25], v[14:15], v[4:5]
	;; [unrolled: 1-line block ×4, first 2 shown]
	s_wait_kmcnt 0x0
	s_sub_co_i32 s9, s9, s10
	s_delay_alu instid0(SALU_CYCLE_1) | instskip(NEXT) | instid1(SALU_CYCLE_1)
	s_mul_i32 s9, s9, s8
	s_add_co_i32 s9, s9, s12
	s_delay_alu instid0(SALU_CYCLE_1)
	v_add_nc_u32_e32 v30, s9, v28
	s_and_saveexec_b32 s11, s13
	s_cbranch_execz .LBB23_11
; %bb.10:                               ;   in Loop: Header=BB23_9 Depth=1
	v_dual_cndmask_b32 v21, v19, v27, s0 :: v_dual_cndmask_b32 v20, v18, v26, s0
	global_load_b32 v20, v[20:21], off
	global_store_b32 v[22:23], v30, off offset:-128
	s_wait_loadcnt 0x0
	global_store_b32 v[24:25], v20, off offset:-128
.LBB23_11:                              ;   in Loop: Header=BB23_9 Depth=1
	s_wait_xcnt 0x0
	s_or_b32 exec_lo, exec_lo, s11
	v_add_nc_u64_e32 v[20:21], s[2:3], v[16:17]
	v_add_nc_u32_e32 v31, s9, v29
	s_and_saveexec_b32 s9, s22
	s_cbranch_execz .LBB23_13
; %bb.12:                               ;   in Loop: Header=BB23_9 Depth=1
	v_add_nc_u64_e32 v[26:27], 0x80, v[26:27]
	s_delay_alu instid0(VALU_DEP_1)
	v_dual_cndmask_b32 v27, v21, v27, s0 :: v_dual_cndmask_b32 v26, v20, v26, s0
	global_load_b32 v26, v[26:27], off
	global_store_b32 v[22:23], v31, off
	s_wait_loadcnt 0x0
	global_store_b32 v[24:25], v26, off
.LBB23_13:                              ;   in Loop: Header=BB23_9 Depth=1
	s_wait_xcnt 0x0
	s_or_b32 exec_lo, exec_lo, s9
	v_add_nc_u64_e32 v[22:23], v[12:13], v[4:5]
	v_add_nc_u64_e32 v[24:25], v[10:11], v[4:5]
	;; [unrolled: 1-line block ×3, first 2 shown]
	s_and_saveexec_b32 s9, s23
	s_cbranch_execz .LBB23_15
; %bb.14:                               ;   in Loop: Header=BB23_9 Depth=1
	v_add_nc_u64_e32 v[18:19], 0x80, v[18:19]
	s_delay_alu instid0(VALU_DEP_1)
	v_dual_cndmask_b32 v19, v19, v27, s0 :: v_dual_cndmask_b32 v18, v18, v26, s0
	global_load_b32 v18, v[18:19], off
	global_store_b32 v[22:23], v30, off
	s_wait_loadcnt 0x0
	global_store_b32 v[24:25], v18, off
.LBB23_15:                              ;   in Loop: Header=BB23_9 Depth=1
	s_wait_xcnt 0x0
	s_or_b32 exec_lo, exec_lo, s9
	s_and_saveexec_b32 s9, s1
	s_cbranch_execz .LBB23_8
; %bb.16:                               ;   in Loop: Header=BB23_9 Depth=1
	v_dual_cndmask_b32 v19, v21, v27, s0 :: v_dual_cndmask_b32 v18, v20, v26, s0
	global_load_b32 v18, v[18:19], off offset:128
	global_store_b32 v[22:23], v31, off offset:128
	s_wait_loadcnt 0x0
	global_store_b32 v[24:25], v18, off offset:128
	s_branch .LBB23_8
.LBB23_17:
	s_endpgm
	.section	.rodata,"a",@progbits
	.p2align	6, 0x0
	.amdhsa_kernel _ZN9rocsparseL35bsr2csr_block_per_row_33_256_kernelILj1024ELj64ELj32EiliEEv20rocsparse_direction_T4_S2_21rocsparse_index_base_PKT2_PKT3_PKS2_S2_S3_PS4_PS7_PS2_
		.amdhsa_group_segment_fixed_size 0
		.amdhsa_private_segment_fixed_size 0
		.amdhsa_kernarg_size 72
		.amdhsa_user_sgpr_count 2
		.amdhsa_user_sgpr_dispatch_ptr 0
		.amdhsa_user_sgpr_queue_ptr 0
		.amdhsa_user_sgpr_kernarg_segment_ptr 1
		.amdhsa_user_sgpr_dispatch_id 0
		.amdhsa_user_sgpr_kernarg_preload_length 0
		.amdhsa_user_sgpr_kernarg_preload_offset 0
		.amdhsa_user_sgpr_private_segment_size 0
		.amdhsa_wavefront_size32 1
		.amdhsa_uses_dynamic_stack 0
		.amdhsa_enable_private_segment 0
		.amdhsa_system_sgpr_workgroup_id_x 1
		.amdhsa_system_sgpr_workgroup_id_y 0
		.amdhsa_system_sgpr_workgroup_id_z 0
		.amdhsa_system_sgpr_workgroup_info 0
		.amdhsa_system_vgpr_workitem_id 0
		.amdhsa_next_free_vgpr 32
		.amdhsa_next_free_sgpr 32
		.amdhsa_named_barrier_count 0
		.amdhsa_reserve_vcc 1
		.amdhsa_float_round_mode_32 0
		.amdhsa_float_round_mode_16_64 0
		.amdhsa_float_denorm_mode_32 3
		.amdhsa_float_denorm_mode_16_64 3
		.amdhsa_fp16_overflow 0
		.amdhsa_memory_ordered 1
		.amdhsa_forward_progress 1
		.amdhsa_inst_pref_size 9
		.amdhsa_round_robin_scheduling 0
		.amdhsa_exception_fp_ieee_invalid_op 0
		.amdhsa_exception_fp_denorm_src 0
		.amdhsa_exception_fp_ieee_div_zero 0
		.amdhsa_exception_fp_ieee_overflow 0
		.amdhsa_exception_fp_ieee_underflow 0
		.amdhsa_exception_fp_ieee_inexact 0
		.amdhsa_exception_int_div_zero 0
	.end_amdhsa_kernel
	.section	.text._ZN9rocsparseL35bsr2csr_block_per_row_33_256_kernelILj1024ELj64ELj32EiliEEv20rocsparse_direction_T4_S2_21rocsparse_index_base_PKT2_PKT3_PKS2_S2_S3_PS4_PS7_PS2_,"axG",@progbits,_ZN9rocsparseL35bsr2csr_block_per_row_33_256_kernelILj1024ELj64ELj32EiliEEv20rocsparse_direction_T4_S2_21rocsparse_index_base_PKT2_PKT3_PKS2_S2_S3_PS4_PS7_PS2_,comdat
.Lfunc_end23:
	.size	_ZN9rocsparseL35bsr2csr_block_per_row_33_256_kernelILj1024ELj64ELj32EiliEEv20rocsparse_direction_T4_S2_21rocsparse_index_base_PKT2_PKT3_PKS2_S2_S3_PS4_PS7_PS2_, .Lfunc_end23-_ZN9rocsparseL35bsr2csr_block_per_row_33_256_kernelILj1024ELj64ELj32EiliEEv20rocsparse_direction_T4_S2_21rocsparse_index_base_PKT2_PKT3_PKS2_S2_S3_PS4_PS7_PS2_
                                        ; -- End function
	.set _ZN9rocsparseL35bsr2csr_block_per_row_33_256_kernelILj1024ELj64ELj32EiliEEv20rocsparse_direction_T4_S2_21rocsparse_index_base_PKT2_PKT3_PKS2_S2_S3_PS4_PS7_PS2_.num_vgpr, 32
	.set _ZN9rocsparseL35bsr2csr_block_per_row_33_256_kernelILj1024ELj64ELj32EiliEEv20rocsparse_direction_T4_S2_21rocsparse_index_base_PKT2_PKT3_PKS2_S2_S3_PS4_PS7_PS2_.num_agpr, 0
	.set _ZN9rocsparseL35bsr2csr_block_per_row_33_256_kernelILj1024ELj64ELj32EiliEEv20rocsparse_direction_T4_S2_21rocsparse_index_base_PKT2_PKT3_PKS2_S2_S3_PS4_PS7_PS2_.numbered_sgpr, 32
	.set _ZN9rocsparseL35bsr2csr_block_per_row_33_256_kernelILj1024ELj64ELj32EiliEEv20rocsparse_direction_T4_S2_21rocsparse_index_base_PKT2_PKT3_PKS2_S2_S3_PS4_PS7_PS2_.num_named_barrier, 0
	.set _ZN9rocsparseL35bsr2csr_block_per_row_33_256_kernelILj1024ELj64ELj32EiliEEv20rocsparse_direction_T4_S2_21rocsparse_index_base_PKT2_PKT3_PKS2_S2_S3_PS4_PS7_PS2_.private_seg_size, 0
	.set _ZN9rocsparseL35bsr2csr_block_per_row_33_256_kernelILj1024ELj64ELj32EiliEEv20rocsparse_direction_T4_S2_21rocsparse_index_base_PKT2_PKT3_PKS2_S2_S3_PS4_PS7_PS2_.uses_vcc, 1
	.set _ZN9rocsparseL35bsr2csr_block_per_row_33_256_kernelILj1024ELj64ELj32EiliEEv20rocsparse_direction_T4_S2_21rocsparse_index_base_PKT2_PKT3_PKS2_S2_S3_PS4_PS7_PS2_.uses_flat_scratch, 0
	.set _ZN9rocsparseL35bsr2csr_block_per_row_33_256_kernelILj1024ELj64ELj32EiliEEv20rocsparse_direction_T4_S2_21rocsparse_index_base_PKT2_PKT3_PKS2_S2_S3_PS4_PS7_PS2_.has_dyn_sized_stack, 0
	.set _ZN9rocsparseL35bsr2csr_block_per_row_33_256_kernelILj1024ELj64ELj32EiliEEv20rocsparse_direction_T4_S2_21rocsparse_index_base_PKT2_PKT3_PKS2_S2_S3_PS4_PS7_PS2_.has_recursion, 0
	.set _ZN9rocsparseL35bsr2csr_block_per_row_33_256_kernelILj1024ELj64ELj32EiliEEv20rocsparse_direction_T4_S2_21rocsparse_index_base_PKT2_PKT3_PKS2_S2_S3_PS4_PS7_PS2_.has_indirect_call, 0
	.section	.AMDGPU.csdata,"",@progbits
; Kernel info:
; codeLenInByte = 1108
; TotalNumSgprs: 34
; NumVgprs: 32
; ScratchSize: 0
; MemoryBound: 0
; FloatMode: 240
; IeeeMode: 1
; LDSByteSize: 0 bytes/workgroup (compile time only)
; SGPRBlocks: 0
; VGPRBlocks: 1
; NumSGPRsForWavesPerEU: 34
; NumVGPRsForWavesPerEU: 32
; NamedBarCnt: 0
; Occupancy: 16
; WaveLimiterHint : 1
; COMPUTE_PGM_RSRC2:SCRATCH_EN: 0
; COMPUTE_PGM_RSRC2:USER_SGPR: 2
; COMPUTE_PGM_RSRC2:TRAP_HANDLER: 0
; COMPUTE_PGM_RSRC2:TGID_X_EN: 1
; COMPUTE_PGM_RSRC2:TGID_Y_EN: 0
; COMPUTE_PGM_RSRC2:TGID_Z_EN: 0
; COMPUTE_PGM_RSRC2:TIDIG_COMP_CNT: 0
	.section	.text._ZN9rocsparseL35bsr2csr_block_per_row_33_256_kernelILj1024ELj128ELj32EiliEEv20rocsparse_direction_T4_S2_21rocsparse_index_base_PKT2_PKT3_PKS2_S2_S3_PS4_PS7_PS2_,"axG",@progbits,_ZN9rocsparseL35bsr2csr_block_per_row_33_256_kernelILj1024ELj128ELj32EiliEEv20rocsparse_direction_T4_S2_21rocsparse_index_base_PKT2_PKT3_PKS2_S2_S3_PS4_PS7_PS2_,comdat
	.globl	_ZN9rocsparseL35bsr2csr_block_per_row_33_256_kernelILj1024ELj128ELj32EiliEEv20rocsparse_direction_T4_S2_21rocsparse_index_base_PKT2_PKT3_PKS2_S2_S3_PS4_PS7_PS2_ ; -- Begin function _ZN9rocsparseL35bsr2csr_block_per_row_33_256_kernelILj1024ELj128ELj32EiliEEv20rocsparse_direction_T4_S2_21rocsparse_index_base_PKT2_PKT3_PKS2_S2_S3_PS4_PS7_PS2_
	.p2align	8
	.type	_ZN9rocsparseL35bsr2csr_block_per_row_33_256_kernelILj1024ELj128ELj32EiliEEv20rocsparse_direction_T4_S2_21rocsparse_index_base_PKT2_PKT3_PKS2_S2_S3_PS4_PS7_PS2_,@function
_ZN9rocsparseL35bsr2csr_block_per_row_33_256_kernelILj1024ELj128ELj32EiliEEv20rocsparse_direction_T4_S2_21rocsparse_index_base_PKT2_PKT3_PKS2_S2_S3_PS4_PS7_PS2_: ; @_ZN9rocsparseL35bsr2csr_block_per_row_33_256_kernelILj1024ELj128ELj32EiliEEv20rocsparse_direction_T4_S2_21rocsparse_index_base_PKT2_PKT3_PKS2_S2_S3_PS4_PS7_PS2_
; %bb.0:
	s_load_b64 s[2:3], s[0:1], 0x18
	s_bfe_u32 s4, ttmp6, 0x4000c
	s_and_b32 s5, ttmp6, 15
	s_add_co_i32 s4, s4, 1
	s_getreg_b32 s6, hwreg(HW_REG_IB_STS2, 6, 4)
	s_mul_i32 s4, ttmp9, s4
	s_clause 0x1
	s_load_b64 s[12:13], s[0:1], 0x28
	s_load_b64 s[26:27], s[0:1], 0x38
	s_add_co_i32 s5, s5, s4
	s_cmp_eq_u32 s6, 0
	s_mov_b32 s15, 0
	s_cselect_b32 s4, ttmp9, s5
	s_mov_b32 s17, s15
	s_ashr_i32 s5, s4, 31
	v_or_b32_e32 v1, s4, v0
	s_lshl_b64 s[6:7], s[4:5], 3
	s_wait_kmcnt 0x0
	s_add_nc_u64 s[2:3], s[2:3], s[6:7]
	s_load_b128 s[8:11], s[2:3], 0x0
	s_wait_xcnt 0x0
	s_mov_b32 s2, exec_lo
	s_mov_b32 s16, s13
	v_cmpx_eq_u32_e32 0, v1
	s_cbranch_execz .LBB24_2
; %bb.1:
	v_mov_b64_e32 v[2:3], s[16:17]
	v_mov_b32_e32 v1, 0
	global_store_b64 v1, v[2:3], s[26:27]
.LBB24_2:
	s_wait_xcnt 0x0
	s_or_b32 exec_lo, exec_lo, s2
	s_load_b32 s14, s[0:1], 0xc
	v_lshrrev_b32_e32 v6, 5, v0
	s_mul_i32 s22, s12, s12
	s_mov_b32 s23, s15
	s_mov_b32 s13, s15
	s_delay_alu instid0(VALU_DEP_1)
	v_cmp_gt_i32_e64 s2, s12, v6
	s_wait_kmcnt 0x0
	s_sub_nc_u64 s[18:19], s[8:9], s[14:15]
	s_sub_nc_u64 s[20:21], s[10:11], s[14:15]
	s_mul_u64 s[24:25], s[18:19], s[22:23]
	s_sub_nc_u64 s[6:7], s[20:21], s[18:19]
	s_add_nc_u64 s[30:31], s[24:25], s[16:17]
	s_mul_u64 s[28:29], s[6:7], s[12:13]
	s_delay_alu instid0(SALU_CYCLE_1)
	s_add_nc_u64 s[34:35], s[30:31], s[28:29]
	s_mul_i32 s30, s12, s4
	s_and_saveexec_b32 s3, s2
	s_cbranch_execz .LBB24_4
; %bb.3:
	v_mad_nc_u64_u32 v[2:3], s28, v6, s[34:35]
	v_add_nc_u32_e32 v1, s30, v6
	s_delay_alu instid0(VALU_DEP_2)
	v_mad_u32 v3, s29, v6, v3
	global_store_b64 v1, v[2:3], s[26:27] offset:8 scale_offset
.LBB24_4:
	s_wait_xcnt 0x0
	s_or_b32 exec_lo, exec_lo, s3
	v_or_b32_e32 v2, 32, v6
	s_delay_alu instid0(VALU_DEP_1)
	v_cmp_gt_i32_e64 s3, s12, v2
	s_and_saveexec_b32 s4, s3
	s_cbranch_execz .LBB24_6
; %bb.5:
	v_mad_nc_u64_u32 v[4:5], s28, v2, s[34:35]
	v_mov_b32_e32 v7, 0
	s_ashr_i32 s31, s30, 31
	s_delay_alu instid0(VALU_DEP_1) | instid1(SALU_CYCLE_1)
	v_add_nc_u64_e32 v[8:9], s[30:31], v[6:7]
	s_delay_alu instid0(VALU_DEP_3) | instskip(NEXT) | instid1(VALU_DEP_2)
	v_mad_u32 v5, s29, v2, v5
	v_lshl_add_u64 v[8:9], v[8:9], 3, s[26:27]
	global_store_b64 v[8:9], v[4:5], off offset:264
.LBB24_6:
	s_wait_xcnt 0x0
	s_or_b32 exec_lo, exec_lo, s4
	v_or_b32_e32 v4, 64, v6
	s_delay_alu instid0(VALU_DEP_1)
	v_cmp_gt_i32_e64 s4, s12, v4
	s_and_saveexec_b32 s5, s4
	s_cbranch_execz .LBB24_8
; %bb.7:
	v_mad_nc_u64_u32 v[8:9], s28, v4, s[34:35]
	v_mov_b32_e32 v7, 0
	s_ashr_i32 s31, s30, 31
	s_delay_alu instid0(VALU_DEP_1) | instid1(SALU_CYCLE_1)
	v_add_nc_u64_e32 v[10:11], s[30:31], v[6:7]
	s_delay_alu instid0(VALU_DEP_3) | instskip(NEXT) | instid1(VALU_DEP_2)
	v_mad_u32 v9, s29, v4, v9
	v_lshl_add_u64 v[10:11], v[10:11], 3, s[26:27]
	global_store_b64 v[10:11], v[8:9], off offset:520
.LBB24_8:
	;; [unrolled: 18-line block ×3, first 2 shown]
	s_wait_xcnt 0x0
	s_or_b32 exec_lo, exec_lo, s17
	v_cmp_lt_i64_e64 s10, s[8:9], s[10:11]
	s_and_b32 vcc_lo, exec_lo, s10
	s_cbranch_vccz .LBB24_45
; %bb.11:
	s_clause 0x2
	s_load_b64 s[10:11], s[0:1], 0x20
	s_load_b64 s[26:27], s[0:1], 0x30
	s_load_b32 s17, s[0:1], 0x0
	v_dual_mov_b32 v7, 0 :: v_dual_bitop2_b32 v0, 31, v0 bitop3:0x40
	s_clause 0x1
	s_load_b64 s[30:31], s[0:1], 0x10
	s_load_b64 s[28:29], s[0:1], 0x40
	v_mul_lo_u32 v8, v6, s12
	v_dual_mov_b32 v41, v7 :: v_dual_lshlrev_b32 v40, 2, v6
	v_mul_lo_u32 v10, v0, s12
	v_dual_mov_b32 v3, v7 :: v_dual_bitop2_b32 v48, 32, v0 bitop3:0x54
	v_dual_mov_b32 v13, v7 :: v_dual_bitop2_b32 v49, 64, v0 bitop3:0x54
	v_mul_u64_e32 v[14:15], s[6:7], v[6:7]
	v_dual_mov_b32 v9, v7 :: v_dual_mov_b32 v1, v7
	s_delay_alu instid0(VALU_DEP_4) | instskip(NEXT) | instid1(VALU_DEP_4)
	v_mul_u64_e32 v[18:19], s[6:7], v[2:3]
	v_mul_u64_e32 v[12:13], s[6:7], v[12:13]
	v_dual_mov_b32 v17, v7 :: v_dual_mov_b32 v21, v7
	v_dual_mov_b32 v35, v7 :: v_dual_lshlrev_b32 v34, 2, v0
	s_wait_kmcnt 0x0
	s_cmp_eq_u32 s17, 0
	v_or_b32_e32 v50, 0x60, v0
	s_cselect_b32 s0, -1, 0
	s_lshl_b32 s44, s12, 5
	s_delay_alu instid0(SALU_CYCLE_1) | instskip(SKIP_2) | instid1(VALU_DEP_3)
	v_dual_mov_b32 v5, v7 :: v_dual_add_nc_u32 v16, s44, v10
	v_dual_mov_b32 v23, v7 :: v_dual_add_nc_u32 v22, s44, v8
	v_mov_b32_e32 v11, v7
	v_mul_u64_e32 v[4:5], s[6:7], v[4:5]
	s_delay_alu instid0(VALU_DEP_3) | instskip(SKIP_1) | instid1(VALU_DEP_2)
	v_dual_add_nc_u32 v20, s44, v16 :: v_dual_add_nc_u32 v24, s44, v22
	v_dual_mov_b32 v25, v7 :: v_dual_mov_b32 v27, v7
	v_dual_mov_b32 v33, v7 :: v_dual_add_nc_u32 v32, s44, v20
	s_delay_alu instid0(VALU_DEP_3) | instskip(SKIP_1) | instid1(VALU_DEP_4)
	v_add_nc_u32_e32 v26, s44, v24
	v_lshl_add_u64 v[2:3], v[8:9], 2, v[34:35]
	v_lshl_add_u64 v[6:7], v[24:25], 2, v[34:35]
	v_cmp_gt_i32_e64 s6, s12, v49
	v_cmp_gt_i32_e64 s7, s12, v50
	v_lshl_add_u64 v[8:9], v[26:27], 2, v[34:35]
	v_cmp_gt_i32_e32 vcc_lo, s12, v0
	v_mad_nc_u64_u32 v[28:29], v14, s12, s[24:25]
	v_cmp_gt_i32_e64 s1, s12, v48
	s_and_b32 s34, s2, s6
	v_mad_nc_u64_u32 v[36:37], v18, s12, s[24:25]
	v_mad_nc_u64_u32 v[30:31], v12, s12, s[24:25]
	s_and_b32 s35, s2, s7
	s_and_b32 s38, s3, s6
	;; [unrolled: 1-line block ×6, first 2 shown]
	v_mad_u32 v29, v15, s12, v29
	s_and_b32 s46, s5, s7
	s_lshl_b64 s[6:7], s[8:9], 2
	v_mad_u32 v37, v19, s12, v37
	v_mad_u32 v31, v13, s12, v31
	v_lshl_add_u64 v[12:13], v[16:17], 2, v[40:41]
	s_lshl_b64 s[8:9], s[14:15], 2
	v_mad_nc_u64_u32 v[38:39], v4, s12, s[24:25]
	v_lshl_add_u64 v[10:11], v[10:11], 2, v[40:41]
	v_lshl_add_u64 v[32:33], v[32:33], 2, v[40:41]
	s_and_b32 s17, s2, vcc_lo
	v_add_nc_u64_e32 v[14:15], v[28:29], v[0:1]
	s_and_b32 s33, s2, s1
	s_and_b32 s36, s3, vcc_lo
	s_and_b32 s37, s3, s1
	v_add_nc_u64_e32 v[18:19], v[30:31], v[0:1]
	s_lshl_b64 s[2:3], s[24:25], 2
	s_sub_nc_u64 s[6:7], s[6:7], s[8:9]
	v_mad_u32 v39, v5, s12, v39
	v_lshl_add_u64 v[4:5], v[22:23], 2, v[34:35]
	v_add_nc_u64_e32 v[22:23], v[36:37], v[0:1]
	v_lshlrev_b64_e32 v[24:25], 2, v[14:15]
	v_lshlrev_b64_e32 v[26:27], 2, v[18:19]
	v_lshl_add_u64 v[14:15], v[20:21], 2, v[40:41]
	s_and_b32 s40, s4, vcc_lo
	s_and_b32 s41, s4, s1
	s_and_b32 s44, s5, vcc_lo
	v_lshlrev_b64_e32 v[28:29], 2, v[22:23]
	v_add_nc_u64_e32 v[18:19], s[26:27], v[24:25]
	v_add_nc_u64_e32 v[16:17], v[38:39], v[0:1]
	;; [unrolled: 1-line block ×4, first 2 shown]
	s_and_b32 s1, s5, s1
	s_add_nc_u64 s[2:3], s[30:31], s[2:3]
	v_add_nc_u64_e32 v[26:27], s[26:27], v[28:29]
	s_lshl_b64 s[4:5], s[22:23], 2
	v_lshlrev_b64_e32 v[30:31], 2, v[16:17]
	v_add_nc_u64_e32 v[16:17], s[28:29], v[24:25]
	v_add_nc_u64_e32 v[24:25], s[28:29], v[28:29]
	s_add_nc_u64 s[6:7], s[10:11], s[6:7]
	s_lshl_b64 s[8:9], s[12:13], 2
	s_mov_b64 s[10:11], 0
	s_delay_alu instid0(VALU_DEP_3)
	v_add_nc_u64_e32 v[28:29], s[26:27], v[30:31]
	v_add_nc_u64_e32 v[30:31], s[28:29], v[30:31]
	s_branch .LBB24_13
.LBB24_12:                              ;   in Loop: Header=BB24_13 Depth=1
	s_wait_xcnt 0x0
	s_or_b32 exec_lo, exec_lo, s13
	s_add_nc_u64 s[18:19], s[18:19], 1
	s_add_nc_u64 s[2:3], s[2:3], s[4:5]
	v_cmp_ge_i64_e64 s13, s[18:19], s[20:21]
	s_add_nc_u64 s[6:7], s[6:7], 4
	s_add_nc_u64 s[10:11], s[10:11], s[8:9]
	s_and_b32 vcc_lo, exec_lo, s13
	s_cbranch_vccnz .LBB24_45
.LBB24_13:                              ; =>This Inner Loop Header: Depth=1
	s_load_b32 s13, s[6:7], 0x0
	v_add_nc_u64_e32 v[42:43], s[10:11], v[16:17]
	v_add_nc_u64_e32 v[44:45], s[10:11], v[18:19]
	;; [unrolled: 1-line block ×4, first 2 shown]
	s_wait_kmcnt 0x0
	s_sub_co_i32 s13, s13, s14
	s_delay_alu instid0(SALU_CYCLE_1) | instskip(NEXT) | instid1(SALU_CYCLE_1)
	s_mul_i32 s13, s13, s12
	s_add_co_i32 s13, s13, s16
	s_delay_alu instid0(SALU_CYCLE_1)
	v_add_nc_u32_e32 v1, s13, v0
	s_and_saveexec_b32 s15, s17
	s_cbranch_execz .LBB24_15
; %bb.14:                               ;   in Loop: Header=BB24_13 Depth=1
	v_dual_cndmask_b32 v37, v35, v47, s0 :: v_dual_cndmask_b32 v36, v34, v46, s0
	global_load_b32 v36, v[36:37], off
	global_store_b32 v[42:43], v1, off
	s_wait_loadcnt 0x0
	global_store_b32 v[44:45], v36, off
.LBB24_15:                              ;   in Loop: Header=BB24_13 Depth=1
	s_wait_xcnt 0x0
	s_or_b32 exec_lo, exec_lo, s15
	v_add_nc_u64_e32 v[36:37], s[2:3], v[12:13]
	v_add_nc_u32_e32 v51, s13, v48
	s_and_saveexec_b32 s15, s33
	s_cbranch_execz .LBB24_17
; %bb.16:                               ;   in Loop: Header=BB24_13 Depth=1
	v_add_nc_u64_e32 v[38:39], 0x80, v[46:47]
	s_delay_alu instid0(VALU_DEP_1)
	v_dual_cndmask_b32 v39, v37, v39, s0 :: v_dual_cndmask_b32 v38, v36, v38, s0
	global_load_b32 v38, v[38:39], off
	global_store_b32 v[42:43], v51, off offset:128
	s_wait_loadcnt 0x0
	global_store_b32 v[44:45], v38, off offset:128
.LBB24_17:                              ;   in Loop: Header=BB24_13 Depth=1
	s_wait_xcnt 0x0
	s_or_b32 exec_lo, exec_lo, s15
	v_add_nc_u64_e32 v[38:39], s[2:3], v[14:15]
	v_add_nc_u32_e32 v52, s13, v49
	s_and_saveexec_b32 s15, s34
	s_cbranch_execz .LBB24_19
; %bb.18:                               ;   in Loop: Header=BB24_13 Depth=1
	v_add_nc_u64_e32 v[40:41], 0x100, v[46:47]
	s_delay_alu instid0(VALU_DEP_1)
	v_dual_cndmask_b32 v41, v39, v41, s0 :: v_dual_cndmask_b32 v40, v38, v40, s0
	global_load_b32 v40, v[40:41], off
	global_store_b32 v[42:43], v52, off offset:256
	s_wait_loadcnt 0x0
	global_store_b32 v[44:45], v40, off offset:256
.LBB24_19:                              ;   in Loop: Header=BB24_13 Depth=1
	s_wait_xcnt 0x0
	s_or_b32 exec_lo, exec_lo, s15
	v_add_nc_u64_e32 v[40:41], s[2:3], v[32:33]
	v_add_nc_u32_e32 v53, s13, v50
	s_and_saveexec_b32 s13, s35
	s_cbranch_execz .LBB24_21
; %bb.20:                               ;   in Loop: Header=BB24_13 Depth=1
	v_add_nc_u64_e32 v[46:47], 0x180, v[46:47]
	s_delay_alu instid0(VALU_DEP_1)
	v_dual_cndmask_b32 v47, v41, v47, s0 :: v_dual_cndmask_b32 v46, v40, v46, s0
	global_load_b32 v46, v[46:47], off
	global_store_b32 v[42:43], v53, off offset:384
	s_wait_loadcnt 0x0
	global_store_b32 v[44:45], v46, off offset:384
.LBB24_21:                              ;   in Loop: Header=BB24_13 Depth=1
	s_wait_xcnt 0x0
	s_or_b32 exec_lo, exec_lo, s13
	v_add_nc_u64_e32 v[42:43], s[10:11], v[24:25]
	v_add_nc_u64_e32 v[44:45], s[10:11], v[26:27]
	;; [unrolled: 1-line block ×3, first 2 shown]
	s_and_saveexec_b32 s13, s36
	s_cbranch_execnz .LBB24_35
; %bb.22:                               ;   in Loop: Header=BB24_13 Depth=1
	s_or_b32 exec_lo, exec_lo, s13
	s_and_saveexec_b32 s13, s37
	s_cbranch_execnz .LBB24_36
.LBB24_23:                              ;   in Loop: Header=BB24_13 Depth=1
	s_or_b32 exec_lo, exec_lo, s13
	s_and_saveexec_b32 s13, s38
	s_cbranch_execnz .LBB24_37
.LBB24_24:                              ;   in Loop: Header=BB24_13 Depth=1
	s_or_b32 exec_lo, exec_lo, s13
	s_and_saveexec_b32 s13, s39
	s_cbranch_execz .LBB24_26
.LBB24_25:                              ;   in Loop: Header=BB24_13 Depth=1
	v_add_nc_u64_e32 v[46:47], 0x180, v[46:47]
	v_add_nc_u64_e32 v[54:55], 0x80, v[40:41]
	s_delay_alu instid0(VALU_DEP_1)
	v_dual_cndmask_b32 v47, v55, v47, s0 :: v_dual_cndmask_b32 v46, v54, v46, s0
	global_load_b32 v46, v[46:47], off
	global_store_b32 v[42:43], v53, off offset:384
	s_wait_loadcnt 0x0
	global_store_b32 v[44:45], v46, off offset:384
.LBB24_26:                              ;   in Loop: Header=BB24_13 Depth=1
	s_wait_xcnt 0x0
	s_or_b32 exec_lo, exec_lo, s13
	v_add_nc_u64_e32 v[42:43], s[10:11], v[30:31]
	v_add_nc_u64_e32 v[44:45], s[10:11], v[28:29]
	;; [unrolled: 1-line block ×3, first 2 shown]
	s_and_saveexec_b32 s13, s40
	s_cbranch_execnz .LBB24_38
; %bb.27:                               ;   in Loop: Header=BB24_13 Depth=1
	s_or_b32 exec_lo, exec_lo, s13
	s_and_saveexec_b32 s13, s41
	s_cbranch_execnz .LBB24_39
.LBB24_28:                              ;   in Loop: Header=BB24_13 Depth=1
	s_or_b32 exec_lo, exec_lo, s13
	s_and_saveexec_b32 s13, s42
	s_cbranch_execnz .LBB24_40
.LBB24_29:                              ;   in Loop: Header=BB24_13 Depth=1
	s_or_b32 exec_lo, exec_lo, s13
	s_and_saveexec_b32 s13, s43
	s_cbranch_execz .LBB24_31
.LBB24_30:                              ;   in Loop: Header=BB24_13 Depth=1
	v_add_nc_u64_e32 v[46:47], 0x180, v[46:47]
	v_add_nc_u64_e32 v[54:55], 0x100, v[40:41]
	s_delay_alu instid0(VALU_DEP_1)
	v_dual_cndmask_b32 v47, v55, v47, s0 :: v_dual_cndmask_b32 v46, v54, v46, s0
	global_load_b32 v46, v[46:47], off
	global_store_b32 v[42:43], v53, off offset:384
	s_wait_loadcnt 0x0
	global_store_b32 v[44:45], v46, off offset:384
.LBB24_31:                              ;   in Loop: Header=BB24_13 Depth=1
	s_wait_xcnt 0x0
	s_or_b32 exec_lo, exec_lo, s13
	v_add_nc_u64_e32 v[42:43], s[10:11], v[22:23]
	v_add_nc_u64_e32 v[44:45], s[10:11], v[20:21]
	;; [unrolled: 1-line block ×3, first 2 shown]
	s_and_saveexec_b32 s13, s44
	s_cbranch_execnz .LBB24_41
; %bb.32:                               ;   in Loop: Header=BB24_13 Depth=1
	s_or_b32 exec_lo, exec_lo, s13
	s_and_saveexec_b32 s13, s1
	s_cbranch_execnz .LBB24_42
.LBB24_33:                              ;   in Loop: Header=BB24_13 Depth=1
	s_or_b32 exec_lo, exec_lo, s13
	s_and_saveexec_b32 s13, s45
	s_cbranch_execnz .LBB24_43
.LBB24_34:                              ;   in Loop: Header=BB24_13 Depth=1
	s_or_b32 exec_lo, exec_lo, s13
	s_and_saveexec_b32 s13, s46
	s_cbranch_execz .LBB24_12
	s_branch .LBB24_44
.LBB24_35:                              ;   in Loop: Header=BB24_13 Depth=1
	v_add_nc_u64_e32 v[54:55], 0x80, v[34:35]
	s_delay_alu instid0(VALU_DEP_1)
	v_dual_cndmask_b32 v55, v55, v47, s0 :: v_dual_cndmask_b32 v54, v54, v46, s0
	global_load_b32 v54, v[54:55], off
	global_store_b32 v[42:43], v1, off
	s_wait_loadcnt 0x0
	global_store_b32 v[44:45], v54, off
	s_wait_xcnt 0x0
	s_or_b32 exec_lo, exec_lo, s13
	s_and_saveexec_b32 s13, s37
	s_cbranch_execz .LBB24_23
.LBB24_36:                              ;   in Loop: Header=BB24_13 Depth=1
	s_delay_alu instid0(VALU_DEP_1)
	v_dual_cndmask_b32 v55, v37, v47, s0 :: v_dual_cndmask_b32 v54, v36, v46, s0
	global_load_b32 v54, v[54:55], off offset:128
	global_store_b32 v[42:43], v51, off offset:128
	s_wait_loadcnt 0x0
	global_store_b32 v[44:45], v54, off offset:128
	s_wait_xcnt 0x0
	s_or_b32 exec_lo, exec_lo, s13
	s_and_saveexec_b32 s13, s38
	s_cbranch_execz .LBB24_24
.LBB24_37:                              ;   in Loop: Header=BB24_13 Depth=1
	v_add_nc_u64_e32 v[54:55], 0x100, v[46:47]
	v_add_nc_u64_e32 v[56:57], 0x80, v[38:39]
	s_delay_alu instid0(VALU_DEP_1)
	v_dual_cndmask_b32 v55, v57, v55, s0 :: v_dual_cndmask_b32 v54, v56, v54, s0
	global_load_b32 v54, v[54:55], off
	global_store_b32 v[42:43], v52, off offset:256
	s_wait_loadcnt 0x0
	global_store_b32 v[44:45], v54, off offset:256
	s_wait_xcnt 0x0
	s_or_b32 exec_lo, exec_lo, s13
	s_and_saveexec_b32 s13, s39
	s_cbranch_execnz .LBB24_25
	s_branch .LBB24_26
.LBB24_38:                              ;   in Loop: Header=BB24_13 Depth=1
	v_add_nc_u64_e32 v[54:55], 0x100, v[34:35]
	s_delay_alu instid0(VALU_DEP_1)
	v_dual_cndmask_b32 v55, v55, v47, s0 :: v_dual_cndmask_b32 v54, v54, v46, s0
	global_load_b32 v54, v[54:55], off
	global_store_b32 v[42:43], v1, off
	s_wait_loadcnt 0x0
	global_store_b32 v[44:45], v54, off
	s_wait_xcnt 0x0
	s_or_b32 exec_lo, exec_lo, s13
	s_and_saveexec_b32 s13, s41
	s_cbranch_execz .LBB24_28
.LBB24_39:                              ;   in Loop: Header=BB24_13 Depth=1
	s_delay_alu instid0(VALU_DEP_1) | instskip(SKIP_1) | instid1(VALU_DEP_1)
	v_add_nc_u64_e32 v[54:55], 0x80, v[46:47]
	v_add_nc_u64_e32 v[56:57], 0x100, v[36:37]
	v_dual_cndmask_b32 v55, v57, v55, s0 :: v_dual_cndmask_b32 v54, v56, v54, s0
	global_load_b32 v54, v[54:55], off
	global_store_b32 v[42:43], v51, off offset:128
	s_wait_loadcnt 0x0
	global_store_b32 v[44:45], v54, off offset:128
	s_wait_xcnt 0x0
	s_or_b32 exec_lo, exec_lo, s13
	s_and_saveexec_b32 s13, s42
	s_cbranch_execz .LBB24_29
.LBB24_40:                              ;   in Loop: Header=BB24_13 Depth=1
	v_dual_cndmask_b32 v55, v39, v47, s0 :: v_dual_cndmask_b32 v54, v38, v46, s0
	global_load_b32 v54, v[54:55], off offset:256
	global_store_b32 v[42:43], v52, off offset:256
	s_wait_loadcnt 0x0
	global_store_b32 v[44:45], v54, off offset:256
	s_wait_xcnt 0x0
	s_or_b32 exec_lo, exec_lo, s13
	s_and_saveexec_b32 s13, s43
	s_cbranch_execnz .LBB24_30
	s_branch .LBB24_31
.LBB24_41:                              ;   in Loop: Header=BB24_13 Depth=1
	v_add_nc_u64_e32 v[34:35], 0x180, v[34:35]
	s_delay_alu instid0(VALU_DEP_1)
	v_dual_cndmask_b32 v35, v35, v47, s0 :: v_dual_cndmask_b32 v34, v34, v46, s0
	global_load_b32 v34, v[34:35], off
	global_store_b32 v[42:43], v1, off
	s_wait_loadcnt 0x0
	global_store_b32 v[44:45], v34, off
	s_wait_xcnt 0x0
	s_or_b32 exec_lo, exec_lo, s13
	s_and_saveexec_b32 s13, s1
	s_cbranch_execz .LBB24_33
.LBB24_42:                              ;   in Loop: Header=BB24_13 Depth=1
	s_delay_alu instid0(VALU_DEP_1) | instskip(SKIP_1) | instid1(VALU_DEP_1)
	v_add_nc_u64_e32 v[34:35], 0x80, v[46:47]
	v_add_nc_u64_e32 v[36:37], 0x180, v[36:37]
	v_dual_cndmask_b32 v35, v37, v35, s0 :: v_dual_cndmask_b32 v34, v36, v34, s0
	global_load_b32 v1, v[34:35], off
	global_store_b32 v[42:43], v51, off offset:128
	s_wait_loadcnt 0x0
	global_store_b32 v[44:45], v1, off offset:128
	s_wait_xcnt 0x0
	s_or_b32 exec_lo, exec_lo, s13
	s_and_saveexec_b32 s13, s45
	s_cbranch_execz .LBB24_34
.LBB24_43:                              ;   in Loop: Header=BB24_13 Depth=1
	v_add_nc_u64_e32 v[34:35], 0x100, v[46:47]
	v_add_nc_u64_e32 v[36:37], 0x180, v[38:39]
	s_delay_alu instid0(VALU_DEP_1)
	v_dual_cndmask_b32 v35, v37, v35, s0 :: v_dual_cndmask_b32 v34, v36, v34, s0
	global_load_b32 v1, v[34:35], off
	global_store_b32 v[42:43], v52, off offset:256
	s_wait_loadcnt 0x0
	global_store_b32 v[44:45], v1, off offset:256
	s_wait_xcnt 0x0
	s_or_b32 exec_lo, exec_lo, s13
	s_and_saveexec_b32 s13, s46
	s_cbranch_execz .LBB24_12
.LBB24_44:                              ;   in Loop: Header=BB24_13 Depth=1
	v_dual_cndmask_b32 v35, v41, v47, s0 :: v_dual_cndmask_b32 v34, v40, v46, s0
	global_load_b32 v1, v[34:35], off offset:384
	global_store_b32 v[42:43], v53, off offset:384
	s_wait_loadcnt 0x0
	global_store_b32 v[44:45], v1, off offset:384
	s_branch .LBB24_12
.LBB24_45:
	s_endpgm
	.section	.rodata,"a",@progbits
	.p2align	6, 0x0
	.amdhsa_kernel _ZN9rocsparseL35bsr2csr_block_per_row_33_256_kernelILj1024ELj128ELj32EiliEEv20rocsparse_direction_T4_S2_21rocsparse_index_base_PKT2_PKT3_PKS2_S2_S3_PS4_PS7_PS2_
		.amdhsa_group_segment_fixed_size 0
		.amdhsa_private_segment_fixed_size 0
		.amdhsa_kernarg_size 72
		.amdhsa_user_sgpr_count 2
		.amdhsa_user_sgpr_dispatch_ptr 0
		.amdhsa_user_sgpr_queue_ptr 0
		.amdhsa_user_sgpr_kernarg_segment_ptr 1
		.amdhsa_user_sgpr_dispatch_id 0
		.amdhsa_user_sgpr_kernarg_preload_length 0
		.amdhsa_user_sgpr_kernarg_preload_offset 0
		.amdhsa_user_sgpr_private_segment_size 0
		.amdhsa_wavefront_size32 1
		.amdhsa_uses_dynamic_stack 0
		.amdhsa_enable_private_segment 0
		.amdhsa_system_sgpr_workgroup_id_x 1
		.amdhsa_system_sgpr_workgroup_id_y 0
		.amdhsa_system_sgpr_workgroup_id_z 0
		.amdhsa_system_sgpr_workgroup_info 0
		.amdhsa_system_vgpr_workitem_id 0
		.amdhsa_next_free_vgpr 58
		.amdhsa_next_free_sgpr 47
		.amdhsa_named_barrier_count 0
		.amdhsa_reserve_vcc 1
		.amdhsa_float_round_mode_32 0
		.amdhsa_float_round_mode_16_64 0
		.amdhsa_float_denorm_mode_32 3
		.amdhsa_float_denorm_mode_16_64 3
		.amdhsa_fp16_overflow 0
		.amdhsa_memory_ordered 1
		.amdhsa_forward_progress 1
		.amdhsa_inst_pref_size 22
		.amdhsa_round_robin_scheduling 0
		.amdhsa_exception_fp_ieee_invalid_op 0
		.amdhsa_exception_fp_denorm_src 0
		.amdhsa_exception_fp_ieee_div_zero 0
		.amdhsa_exception_fp_ieee_overflow 0
		.amdhsa_exception_fp_ieee_underflow 0
		.amdhsa_exception_fp_ieee_inexact 0
		.amdhsa_exception_int_div_zero 0
	.end_amdhsa_kernel
	.section	.text._ZN9rocsparseL35bsr2csr_block_per_row_33_256_kernelILj1024ELj128ELj32EiliEEv20rocsparse_direction_T4_S2_21rocsparse_index_base_PKT2_PKT3_PKS2_S2_S3_PS4_PS7_PS2_,"axG",@progbits,_ZN9rocsparseL35bsr2csr_block_per_row_33_256_kernelILj1024ELj128ELj32EiliEEv20rocsparse_direction_T4_S2_21rocsparse_index_base_PKT2_PKT3_PKS2_S2_S3_PS4_PS7_PS2_,comdat
.Lfunc_end24:
	.size	_ZN9rocsparseL35bsr2csr_block_per_row_33_256_kernelILj1024ELj128ELj32EiliEEv20rocsparse_direction_T4_S2_21rocsparse_index_base_PKT2_PKT3_PKS2_S2_S3_PS4_PS7_PS2_, .Lfunc_end24-_ZN9rocsparseL35bsr2csr_block_per_row_33_256_kernelILj1024ELj128ELj32EiliEEv20rocsparse_direction_T4_S2_21rocsparse_index_base_PKT2_PKT3_PKS2_S2_S3_PS4_PS7_PS2_
                                        ; -- End function
	.set _ZN9rocsparseL35bsr2csr_block_per_row_33_256_kernelILj1024ELj128ELj32EiliEEv20rocsparse_direction_T4_S2_21rocsparse_index_base_PKT2_PKT3_PKS2_S2_S3_PS4_PS7_PS2_.num_vgpr, 58
	.set _ZN9rocsparseL35bsr2csr_block_per_row_33_256_kernelILj1024ELj128ELj32EiliEEv20rocsparse_direction_T4_S2_21rocsparse_index_base_PKT2_PKT3_PKS2_S2_S3_PS4_PS7_PS2_.num_agpr, 0
	.set _ZN9rocsparseL35bsr2csr_block_per_row_33_256_kernelILj1024ELj128ELj32EiliEEv20rocsparse_direction_T4_S2_21rocsparse_index_base_PKT2_PKT3_PKS2_S2_S3_PS4_PS7_PS2_.numbered_sgpr, 47
	.set _ZN9rocsparseL35bsr2csr_block_per_row_33_256_kernelILj1024ELj128ELj32EiliEEv20rocsparse_direction_T4_S2_21rocsparse_index_base_PKT2_PKT3_PKS2_S2_S3_PS4_PS7_PS2_.num_named_barrier, 0
	.set _ZN9rocsparseL35bsr2csr_block_per_row_33_256_kernelILj1024ELj128ELj32EiliEEv20rocsparse_direction_T4_S2_21rocsparse_index_base_PKT2_PKT3_PKS2_S2_S3_PS4_PS7_PS2_.private_seg_size, 0
	.set _ZN9rocsparseL35bsr2csr_block_per_row_33_256_kernelILj1024ELj128ELj32EiliEEv20rocsparse_direction_T4_S2_21rocsparse_index_base_PKT2_PKT3_PKS2_S2_S3_PS4_PS7_PS2_.uses_vcc, 1
	.set _ZN9rocsparseL35bsr2csr_block_per_row_33_256_kernelILj1024ELj128ELj32EiliEEv20rocsparse_direction_T4_S2_21rocsparse_index_base_PKT2_PKT3_PKS2_S2_S3_PS4_PS7_PS2_.uses_flat_scratch, 0
	.set _ZN9rocsparseL35bsr2csr_block_per_row_33_256_kernelILj1024ELj128ELj32EiliEEv20rocsparse_direction_T4_S2_21rocsparse_index_base_PKT2_PKT3_PKS2_S2_S3_PS4_PS7_PS2_.has_dyn_sized_stack, 0
	.set _ZN9rocsparseL35bsr2csr_block_per_row_33_256_kernelILj1024ELj128ELj32EiliEEv20rocsparse_direction_T4_S2_21rocsparse_index_base_PKT2_PKT3_PKS2_S2_S3_PS4_PS7_PS2_.has_recursion, 0
	.set _ZN9rocsparseL35bsr2csr_block_per_row_33_256_kernelILj1024ELj128ELj32EiliEEv20rocsparse_direction_T4_S2_21rocsparse_index_base_PKT2_PKT3_PKS2_S2_S3_PS4_PS7_PS2_.has_indirect_call, 0
	.section	.AMDGPU.csdata,"",@progbits
; Kernel info:
; codeLenInByte = 2696
; TotalNumSgprs: 49
; NumVgprs: 58
; ScratchSize: 0
; MemoryBound: 0
; FloatMode: 240
; IeeeMode: 1
; LDSByteSize: 0 bytes/workgroup (compile time only)
; SGPRBlocks: 0
; VGPRBlocks: 3
; NumSGPRsForWavesPerEU: 49
; NumVGPRsForWavesPerEU: 58
; NamedBarCnt: 0
; Occupancy: 16
; WaveLimiterHint : 1
; COMPUTE_PGM_RSRC2:SCRATCH_EN: 0
; COMPUTE_PGM_RSRC2:USER_SGPR: 2
; COMPUTE_PGM_RSRC2:TRAP_HANDLER: 0
; COMPUTE_PGM_RSRC2:TGID_X_EN: 1
; COMPUTE_PGM_RSRC2:TGID_Y_EN: 0
; COMPUTE_PGM_RSRC2:TGID_Z_EN: 0
; COMPUTE_PGM_RSRC2:TIDIG_COMP_CNT: 0
	.section	.text._ZN9rocsparseL35bsr2csr_block_per_row_33_256_kernelILj1024ELj256ELj32EiliEEv20rocsparse_direction_T4_S2_21rocsparse_index_base_PKT2_PKT3_PKS2_S2_S3_PS4_PS7_PS2_,"axG",@progbits,_ZN9rocsparseL35bsr2csr_block_per_row_33_256_kernelILj1024ELj256ELj32EiliEEv20rocsparse_direction_T4_S2_21rocsparse_index_base_PKT2_PKT3_PKS2_S2_S3_PS4_PS7_PS2_,comdat
	.globl	_ZN9rocsparseL35bsr2csr_block_per_row_33_256_kernelILj1024ELj256ELj32EiliEEv20rocsparse_direction_T4_S2_21rocsparse_index_base_PKT2_PKT3_PKS2_S2_S3_PS4_PS7_PS2_ ; -- Begin function _ZN9rocsparseL35bsr2csr_block_per_row_33_256_kernelILj1024ELj256ELj32EiliEEv20rocsparse_direction_T4_S2_21rocsparse_index_base_PKT2_PKT3_PKS2_S2_S3_PS4_PS7_PS2_
	.p2align	8
	.type	_ZN9rocsparseL35bsr2csr_block_per_row_33_256_kernelILj1024ELj256ELj32EiliEEv20rocsparse_direction_T4_S2_21rocsparse_index_base_PKT2_PKT3_PKS2_S2_S3_PS4_PS7_PS2_,@function
_ZN9rocsparseL35bsr2csr_block_per_row_33_256_kernelILj1024ELj256ELj32EiliEEv20rocsparse_direction_T4_S2_21rocsparse_index_base_PKT2_PKT3_PKS2_S2_S3_PS4_PS7_PS2_: ; @_ZN9rocsparseL35bsr2csr_block_per_row_33_256_kernelILj1024ELj256ELj32EiliEEv20rocsparse_direction_T4_S2_21rocsparse_index_base_PKT2_PKT3_PKS2_S2_S3_PS4_PS7_PS2_
; %bb.0:
	s_load_b64 s[2:3], s[0:1], 0x18
	s_bfe_u32 s4, ttmp6, 0x4000c
	s_and_b32 s5, ttmp6, 15
	s_add_co_i32 s4, s4, 1
	s_getreg_b32 s6, hwreg(HW_REG_IB_STS2, 6, 4)
	s_mul_i32 s4, ttmp9, s4
	s_clause 0x1
	s_load_b64 s[16:17], s[0:1], 0x28
	s_load_b64 s[10:11], s[0:1], 0x38
	s_add_co_i32 s5, s5, s4
	s_cmp_eq_u32 s6, 0
	s_mov_b32 s19, 0
	s_cselect_b32 s4, ttmp9, s5
	s_mov_b32 s21, s19
	s_ashr_i32 s5, s4, 31
	v_or_b32_e32 v1, s4, v0
	s_lshl_b64 s[6:7], s[4:5], 3
	s_wait_kmcnt 0x0
	s_add_nc_u64 s[2:3], s[2:3], s[6:7]
	s_load_b128 s[12:15], s[2:3], 0x0
	s_wait_xcnt 0x0
	s_mov_b32 s2, exec_lo
	s_mov_b32 s20, s17
	v_cmpx_eq_u32_e32 0, v1
	s_cbranch_execz .LBB25_2
; %bb.1:
	v_mov_b64_e32 v[2:3], s[20:21]
	v_mov_b32_e32 v1, 0
	global_store_b64 v1, v[2:3], s[10:11]
.LBB25_2:
	s_wait_xcnt 0x0
	s_or_b32 exec_lo, exec_lo, s2
	s_load_b32 s22, s[0:1], 0xc
	s_mov_b32 s23, s19
	v_lshrrev_b32_e32 v2, 5, v0
	s_mul_i32 s18, s16, s16
	s_mov_b32 s17, s19
	s_mul_i32 s34, s16, s4
	s_delay_alu instid0(VALU_DEP_1)
	v_cmp_gt_i32_e64 s2, s16, v2
	s_wait_kmcnt 0x0
	s_sub_nc_u64 s[24:25], s[12:13], s[22:23]
	s_sub_nc_u64 s[26:27], s[14:15], s[22:23]
	s_mul_u64 s[28:29], s[24:25], s[18:19]
	s_sub_nc_u64 s[40:41], s[26:27], s[24:25]
	s_add_nc_u64 s[6:7], s[28:29], s[20:21]
	s_mul_u64 s[30:31], s[40:41], s[16:17]
	s_delay_alu instid0(SALU_CYCLE_1)
	s_add_nc_u64 s[36:37], s[6:7], s[30:31]
	s_and_saveexec_b32 s3, s2
	s_cbranch_execz .LBB25_4
; %bb.3:
	v_mad_nc_u64_u32 v[4:5], s30, v2, s[36:37]
	v_add_nc_u32_e32 v1, s34, v2
	s_delay_alu instid0(VALU_DEP_2)
	v_mad_u32 v5, s31, v2, v5
	global_store_b64 v1, v[4:5], s[10:11] offset:8 scale_offset
.LBB25_4:
	s_wait_xcnt 0x0
	s_or_b32 exec_lo, exec_lo, s3
	v_or_b32_e32 v24, 32, v2
	s_delay_alu instid0(VALU_DEP_1)
	v_cmp_gt_i32_e64 s3, s16, v24
	s_and_saveexec_b32 s4, s3
	s_cbranch_execz .LBB25_6
; %bb.5:
	v_mad_nc_u64_u32 v[4:5], s30, v24, s[36:37]
	v_mov_b32_e32 v3, 0
	s_ashr_i32 s35, s34, 31
	s_delay_alu instid0(VALU_DEP_1) | instid1(SALU_CYCLE_1)
	v_add_nc_u64_e32 v[6:7], s[34:35], v[2:3]
	s_delay_alu instid0(VALU_DEP_3) | instskip(NEXT) | instid1(VALU_DEP_2)
	v_mad_u32 v5, s31, v24, v5
	v_lshl_add_u64 v[6:7], v[6:7], 3, s[10:11]
	global_store_b64 v[6:7], v[4:5], off offset:264
.LBB25_6:
	s_wait_xcnt 0x0
	s_or_b32 exec_lo, exec_lo, s4
	v_or_b32_e32 v28, 64, v2
	s_delay_alu instid0(VALU_DEP_1)
	v_cmp_gt_i32_e64 s4, s16, v28
	s_and_saveexec_b32 s5, s4
	s_cbranch_execz .LBB25_8
; %bb.7:
	v_mad_nc_u64_u32 v[4:5], s30, v28, s[36:37]
	v_mov_b32_e32 v3, 0
	s_ashr_i32 s35, s34, 31
	s_delay_alu instid0(VALU_DEP_1) | instid1(SALU_CYCLE_1)
	v_add_nc_u64_e32 v[6:7], s[34:35], v[2:3]
	s_delay_alu instid0(VALU_DEP_3) | instskip(NEXT) | instid1(VALU_DEP_2)
	v_mad_u32 v5, s31, v28, v5
	v_lshl_add_u64 v[6:7], v[6:7], 3, s[10:11]
	global_store_b64 v[6:7], v[4:5], off offset:520
.LBB25_8:
	;; [unrolled: 18-line block ×7, first 2 shown]
	s_wait_xcnt 0x0
	s_or_b32 exec_lo, exec_lo, s17
	v_cmp_lt_i64_e64 s10, s[12:13], s[14:15]
	s_and_b32 vcc_lo, exec_lo, s10
	s_cbranch_vccz .LBB25_149
; %bb.19:
	s_clause 0x2
	s_load_b64 s[30:31], s[0:1], 0x20
	s_load_b64 s[34:35], s[0:1], 0x30
	s_load_b32 s10, s[0:1], 0x0
	v_dual_mov_b32 v3, 0 :: v_dual_bitop2_b32 v0, 31, v0 bitop3:0x40
	s_clause 0x1
	s_load_b64 s[36:37], s[0:1], 0x10
	s_load_b64 s[38:39], s[0:1], 0x40
	v_mul_lo_u32 v4, v2, s16
	v_mul_lo_u32 v6, v0, s16
	v_dual_mov_b32 v31, v3 :: v_dual_mov_b32 v33, v3
	v_dual_mov_b32 v39, v3 :: v_dual_mov_b32 v41, v3
	;; [unrolled: 1-line block ×3, first 2 shown]
	v_mul_u64_e32 v[22:23], s[40:41], v[2:3]
	s_delay_alu instid0(VALU_DEP_4) | instskip(NEXT) | instid1(VALU_DEP_4)
	v_mul_u64_e32 v[32:33], s[40:41], v[32:33]
	v_mul_u64_e32 v[40:41], s[40:41], v[40:41]
	s_delay_alu instid0(VALU_DEP_4)
	v_mul_u64_e32 v[44:45], s[40:41], v[44:45]
	v_mul_u64_e32 v[46:47], s[40:41], v[46:47]
	v_dual_mov_b32 v9, v3 :: v_dual_bitop2_b32 v74, 32, v0 bitop3:0x54
	s_wait_kmcnt 0x0
	s_cmp_eq_u32 s10, 0
	v_dual_mov_b32 v11, v3 :: v_dual_bitop2_b32 v75, 64, v0 bitop3:0x54
	s_cselect_b32 s0, -1, 0
	s_lshl_b32 s91, s16, 5
	s_delay_alu instid0(SALU_CYCLE_1)
	v_dual_mov_b32 v17, v3 :: v_dual_add_nc_u32 v8, s91, v6
	v_mov_b32_e32 v19, v3
	v_or_b32_e32 v76, 0x60, v0
	v_or_b32_e32 v77, 0x80, v0
	;; [unrolled: 1-line block ×3, first 2 shown]
	v_dual_mov_b32 v25, v3 :: v_dual_add_nc_u32 v10, s91, v8
	v_or_b32_e32 v79, 0xc0, v0
	v_or_b32_e32 v80, 0xe0, v0
	v_cmp_gt_i32_e32 vcc_lo, s16, v0
	s_delay_alu instid0(VALU_DEP_4)
	v_add_nc_u32_e32 v12, s91, v10
	v_mul_u64_e32 v[24:25], s[40:41], v[24:25]
	v_cmp_gt_i32_e64 s1, s16, v74
	v_cmp_gt_i32_e64 s10, s16, v75
	;; [unrolled: 1-line block ×3, first 2 shown]
	v_add_nc_u32_e32 v14, s91, v12
	v_cmp_gt_i32_e64 s12, s16, v77
	v_cmp_gt_i32_e64 s13, s16, v78
	v_dual_mov_b32 v29, v3 :: v_dual_add_nc_u32 v26, s91, v4
	s_delay_alu instid0(VALU_DEP_4) | instskip(SKIP_2) | instid1(VALU_DEP_4)
	v_add_nc_u32_e32 v16, s91, v14
	v_cmp_gt_i32_e64 s14, s16, v79
	v_cmp_gt_i32_e64 s15, s16, v80
	v_add_nc_u32_e32 v30, s91, v26
	v_mul_u64_e32 v[28:29], s[40:41], v[28:29]
	v_dual_mov_b32 v27, v3 :: v_dual_add_nc_u32 v18, s91, v16
	v_dual_mov_b32 v1, v3 :: v_dual_mov_b32 v7, v3
	s_delay_alu instid0(VALU_DEP_4) | instskip(SKIP_1) | instid1(VALU_DEP_2)
	v_dual_mov_b32 v35, v3 :: v_dual_add_nc_u32 v34, s91, v30
	v_dual_mov_b32 v37, v3 :: v_dual_mov_b32 v13, v3
	v_dual_mov_b32 v15, v3 :: v_dual_add_nc_u32 v38, s91, v34
	v_dual_mov_b32 v21, v3 :: v_dual_mov_b32 v5, v3
	s_delay_alu instid0(VALU_DEP_3) | instskip(NEXT) | instid1(VALU_DEP_3)
	v_mul_u64_e32 v[36:37], s[40:41], v[36:37]
	v_dual_mov_b32 v43, v3 :: v_dual_add_nc_u32 v42, s91, v38
	v_add_nc_u32_e32 v20, s91, v18
	v_lshlrev_b32_e32 v2, 2, v2
	s_and_b32 s17, s2, vcc_lo
	s_delay_alu instid0(VALU_DEP_3) | instskip(SKIP_3) | instid1(VALU_DEP_1)
	v_dual_mov_b32 v49, v3 :: v_dual_add_nc_u32 v48, s91, v42
	s_and_b32 s21, s2, s1
	s_and_b32 s23, s2, s10
	;; [unrolled: 1-line block ×3, first 2 shown]
	v_dual_mov_b32 v51, v3 :: v_dual_add_nc_u32 v50, s91, v48
	s_and_b32 s42, s2, s12
	s_and_b32 s43, s2, s13
	s_and_b32 s44, s2, s14
	s_and_b32 s45, s2, s15
	s_and_b32 s46, s3, vcc_lo
	s_and_b32 s47, s3, s1
	s_and_b32 s48, s3, s10
	s_and_b32 s49, s3, s11
	s_and_b32 s50, s3, s12
	s_and_b32 s51, s3, s13
	s_and_b32 s52, s3, s14
	s_and_b32 s53, s3, s15
	s_and_b32 s54, s4, vcc_lo
	s_and_b32 s55, s4, s1
	s_and_b32 s56, s4, s10
	s_and_b32 s57, s4, s11
	;; [unrolled: 8-line block ×7, first 2 shown]
	s_and_b32 s12, s9, s12
	s_and_b32 s13, s9, s13
	;; [unrolled: 1-line block ×4, first 2 shown]
	s_mov_b64 s[2:3], s[24:25]
	s_branch .LBB25_21
.LBB25_20:                              ;   in Loop: Header=BB25_21 Depth=1
	s_wait_xcnt 0x0
	s_or_b32 exec_lo, exec_lo, s4
	s_add_nc_u64 s[2:3], s[2:3], 1
	s_delay_alu instid0(SALU_CYCLE_1)
	v_cmp_ge_i64_e64 s4, s[2:3], s[26:27]
	s_and_b32 vcc_lo, exec_lo, s4
	s_cbranch_vccnz .LBB25_149
.LBB25_21:                              ; =>This Inner Loop Header: Depth=1
	s_sub_nc_u64 s[4:5], s[2:3], s[24:25]
	s_lshl_b64 s[6:7], s[2:3], 2
	v_add_nc_u64_e32 v[52:53], s[4:5], v[22:23]
	s_add_nc_u64 s[6:7], s[30:31], s[6:7]
	s_load_b32 s15, s[6:7], 0x0
	s_wait_xcnt 0x0
	s_mul_u64 s[6:7], s[2:3], s[18:19]
	s_delay_alu instid0(SALU_CYCLE_1) | instskip(NEXT) | instid1(VALU_DEP_1)
	s_lshl_b64 s[6:7], s[6:7], 2
	v_mad_nc_u64_u32 v[54:55], v52, s16, s[28:29]
	s_add_nc_u64 s[6:7], s[36:37], s[6:7]
	s_delay_alu instid0(SALU_CYCLE_1) | instskip(NEXT) | instid1(VALU_DEP_2)
	v_lshl_add_u64 v[72:73], v[4:5], 2, s[6:7]
	v_mad_u32 v55, v53, s16, v55
	s_wait_kmcnt 0x0
	s_sub_co_i32 s15, s15, s22
	s_delay_alu instid0(SALU_CYCLE_1) | instskip(NEXT) | instid1(SALU_CYCLE_1)
	s_mul_i32 s15, s15, s16
	s_add_co_i32 s15, s15, s20
	s_delay_alu instid0(SALU_CYCLE_1) | instskip(NEXT) | instid1(VALU_DEP_2)
	v_add_nc_u32_e32 v81, s15, v0
	v_add_nc_u64_e32 v[52:53], v[54:55], v[0:1]
	v_add_nc_u64_e32 v[54:55], s[6:7], v[2:3]
	s_delay_alu instid0(VALU_DEP_2) | instskip(NEXT) | instid1(VALU_DEP_2)
	v_lshlrev_b64_e32 v[70:71], 2, v[52:53]
	v_lshl_add_u64 v[68:69], v[6:7], 2, v[54:55]
	v_lshlrev_b32_e32 v52, 2, v0
	s_and_saveexec_b32 s92, s17
	s_cbranch_execz .LBB25_23
; %bb.22:                               ;   in Loop: Header=BB25_21 Depth=1
	v_mov_b32_e32 v53, v3
	s_delay_alu instid0(VALU_DEP_4) | instskip(NEXT) | instid1(VALU_DEP_2)
	v_add_nc_u64_e32 v[58:59], s[34:35], v[70:71]
	v_add_nc_u64_e32 v[56:57], v[72:73], v[52:53]
	s_delay_alu instid0(VALU_DEP_1)
	v_dual_cndmask_b32 v57, v69, v57, s0 :: v_dual_cndmask_b32 v56, v68, v56, s0
	global_load_b32 v53, v[56:57], off
	s_wait_xcnt 0x0
	v_add_nc_u64_e32 v[56:57], s[38:39], v[70:71]
	global_store_b32 v[56:57], v81, off
	s_wait_loadcnt 0x0
	global_store_b32 v[58:59], v53, off
.LBB25_23:                              ;   in Loop: Header=BB25_21 Depth=1
	s_wait_xcnt 0x0
	s_or_b32 exec_lo, exec_lo, s92
	v_add_nc_u32_e32 v82, s15, v74
	v_lshl_add_u64 v[66:67], v[8:9], 2, v[54:55]
	s_and_saveexec_b32 s92, s21
	s_cbranch_execz .LBB25_25
; %bb.24:                               ;   in Loop: Header=BB25_21 Depth=1
	v_mov_b32_e32 v53, v3
	v_add_nc_u64_e32 v[58:59], s[34:35], v[70:71]
	s_delay_alu instid0(VALU_DEP_2) | instskip(NEXT) | instid1(VALU_DEP_1)
	v_add_nc_u64_e32 v[56:57], v[72:73], v[52:53]
	v_add_nc_u64_e32 v[56:57], 0x80, v[56:57]
	s_delay_alu instid0(VALU_DEP_1)
	v_dual_cndmask_b32 v57, v67, v57, s0 :: v_dual_cndmask_b32 v56, v66, v56, s0
	global_load_b32 v53, v[56:57], off
	s_wait_xcnt 0x0
	v_add_nc_u64_e32 v[56:57], s[38:39], v[70:71]
	global_store_b32 v[56:57], v82, off offset:128
	s_wait_loadcnt 0x0
	global_store_b32 v[58:59], v53, off offset:128
.LBB25_25:                              ;   in Loop: Header=BB25_21 Depth=1
	s_wait_xcnt 0x0
	s_or_b32 exec_lo, exec_lo, s92
	v_add_nc_u32_e32 v83, s15, v75
	v_lshl_add_u64 v[64:65], v[10:11], 2, v[54:55]
	s_and_saveexec_b32 s92, s23
	s_cbranch_execz .LBB25_27
; %bb.26:                               ;   in Loop: Header=BB25_21 Depth=1
	v_mov_b32_e32 v53, v3
	v_add_nc_u64_e32 v[58:59], s[34:35], v[70:71]
	s_delay_alu instid0(VALU_DEP_2) | instskip(NEXT) | instid1(VALU_DEP_1)
	v_add_nc_u64_e32 v[56:57], v[72:73], v[52:53]
	v_add_nc_u64_e32 v[56:57], 0x100, v[56:57]
	s_delay_alu instid0(VALU_DEP_1)
	v_dual_cndmask_b32 v57, v65, v57, s0 :: v_dual_cndmask_b32 v56, v64, v56, s0
	global_load_b32 v53, v[56:57], off
	s_wait_xcnt 0x0
	v_add_nc_u64_e32 v[56:57], s[38:39], v[70:71]
	global_store_b32 v[56:57], v83, off offset:256
	s_wait_loadcnt 0x0
	global_store_b32 v[58:59], v53, off offset:256
.LBB25_27:                              ;   in Loop: Header=BB25_21 Depth=1
	;; [unrolled: 21-line block ×6, first 2 shown]
	s_wait_xcnt 0x0
	s_or_b32 exec_lo, exec_lo, s92
	v_add_nc_u32_e32 v88, s15, v80
	v_lshl_add_u64 v[54:55], v[20:21], 2, v[54:55]
	s_and_saveexec_b32 s15, s45
	s_cbranch_execz .LBB25_37
; %bb.36:                               ;   in Loop: Header=BB25_21 Depth=1
	v_mov_b32_e32 v53, v3
	s_delay_alu instid0(VALU_DEP_1) | instskip(NEXT) | instid1(VALU_DEP_1)
	v_add_nc_u64_e32 v[72:73], v[72:73], v[52:53]
	v_add_nc_u64_e32 v[72:73], 0x380, v[72:73]
	s_delay_alu instid0(VALU_DEP_1)
	v_dual_cndmask_b32 v73, v55, v73, s0 :: v_dual_cndmask_b32 v72, v54, v72, s0
	global_load_b32 v53, v[72:73], off
	s_wait_xcnt 0x0
	v_add_nc_u64_e32 v[72:73], s[38:39], v[70:71]
	v_add_nc_u64_e32 v[70:71], s[34:35], v[70:71]
	global_store_b32 v[72:73], v88, off offset:896
	s_wait_loadcnt 0x0
	global_store_b32 v[70:71], v53, off offset:896
.LBB25_37:                              ;   in Loop: Header=BB25_21 Depth=1
	s_wait_xcnt 0x0
	s_or_b32 exec_lo, exec_lo, s15
	v_add_nc_u64_e32 v[70:71], s[4:5], v[24:25]
	s_delay_alu instid0(VALU_DEP_1) | instskip(NEXT) | instid1(VALU_DEP_1)
	v_mad_nc_u64_u32 v[72:73], v70, s16, s[28:29]
	v_mad_u32 v73, v71, s16, v73
	s_delay_alu instid0(VALU_DEP_1) | instskip(SKIP_1) | instid1(VALU_DEP_2)
	v_add_nc_u64_e32 v[70:71], v[72:73], v[0:1]
	v_lshl_add_u64 v[72:73], v[26:27], 2, s[6:7]
	v_lshlrev_b64_e32 v[70:71], 2, v[70:71]
	s_and_saveexec_b32 s15, s46
	s_cbranch_execnz .LBB25_99
; %bb.38:                               ;   in Loop: Header=BB25_21 Depth=1
	s_or_b32 exec_lo, exec_lo, s15
	s_and_saveexec_b32 s15, s47
	s_cbranch_execnz .LBB25_100
.LBB25_39:                              ;   in Loop: Header=BB25_21 Depth=1
	s_or_b32 exec_lo, exec_lo, s15
	s_and_saveexec_b32 s15, s48
	s_cbranch_execnz .LBB25_101
.LBB25_40:                              ;   in Loop: Header=BB25_21 Depth=1
	s_or_b32 exec_lo, exec_lo, s15
	s_and_saveexec_b32 s15, s49
	s_cbranch_execnz .LBB25_102
.LBB25_41:                              ;   in Loop: Header=BB25_21 Depth=1
	s_or_b32 exec_lo, exec_lo, s15
	s_and_saveexec_b32 s15, s50
	s_cbranch_execnz .LBB25_103
.LBB25_42:                              ;   in Loop: Header=BB25_21 Depth=1
	s_or_b32 exec_lo, exec_lo, s15
	s_and_saveexec_b32 s15, s51
	s_cbranch_execnz .LBB25_104
.LBB25_43:                              ;   in Loop: Header=BB25_21 Depth=1
	s_or_b32 exec_lo, exec_lo, s15
	s_and_saveexec_b32 s15, s52
	s_cbranch_execnz .LBB25_105
.LBB25_44:                              ;   in Loop: Header=BB25_21 Depth=1
	s_or_b32 exec_lo, exec_lo, s15
	s_and_saveexec_b32 s15, s53
	s_cbranch_execz .LBB25_46
.LBB25_45:                              ;   in Loop: Header=BB25_21 Depth=1
	v_add_nc_u64_e32 v[90:91], 0x80, v[54:55]
	v_mov_b32_e32 v53, v3
	s_delay_alu instid0(VALU_DEP_1) | instskip(NEXT) | instid1(VALU_DEP_1)
	v_add_nc_u64_e32 v[72:73], v[72:73], v[52:53]
	v_add_nc_u64_e32 v[72:73], 0x380, v[72:73]
	s_delay_alu instid0(VALU_DEP_1)
	v_dual_cndmask_b32 v73, v91, v73, s0 :: v_dual_cndmask_b32 v72, v90, v72, s0
	global_load_b32 v53, v[72:73], off
	s_wait_xcnt 0x0
	v_add_nc_u64_e32 v[72:73], s[38:39], v[70:71]
	v_add_nc_u64_e32 v[70:71], s[34:35], v[70:71]
	global_store_b32 v[72:73], v88, off offset:896
	s_wait_loadcnt 0x0
	global_store_b32 v[70:71], v53, off offset:896
.LBB25_46:                              ;   in Loop: Header=BB25_21 Depth=1
	s_wait_xcnt 0x0
	s_or_b32 exec_lo, exec_lo, s15
	v_add_nc_u64_e32 v[70:71], s[4:5], v[28:29]
	s_delay_alu instid0(VALU_DEP_1) | instskip(NEXT) | instid1(VALU_DEP_1)
	v_mad_nc_u64_u32 v[72:73], v70, s16, s[28:29]
	v_mad_u32 v73, v71, s16, v73
	s_delay_alu instid0(VALU_DEP_1) | instskip(SKIP_1) | instid1(VALU_DEP_2)
	v_add_nc_u64_e32 v[70:71], v[72:73], v[0:1]
	v_lshl_add_u64 v[72:73], v[30:31], 2, s[6:7]
	v_lshlrev_b64_e32 v[70:71], 2, v[70:71]
	s_and_saveexec_b32 s15, s54
	s_cbranch_execnz .LBB25_106
; %bb.47:                               ;   in Loop: Header=BB25_21 Depth=1
	s_or_b32 exec_lo, exec_lo, s15
	s_and_saveexec_b32 s15, s55
	s_cbranch_execnz .LBB25_107
.LBB25_48:                              ;   in Loop: Header=BB25_21 Depth=1
	s_or_b32 exec_lo, exec_lo, s15
	s_and_saveexec_b32 s15, s56
	s_cbranch_execnz .LBB25_108
.LBB25_49:                              ;   in Loop: Header=BB25_21 Depth=1
	s_or_b32 exec_lo, exec_lo, s15
	s_and_saveexec_b32 s15, s57
	s_cbranch_execnz .LBB25_109
.LBB25_50:                              ;   in Loop: Header=BB25_21 Depth=1
	s_or_b32 exec_lo, exec_lo, s15
	s_and_saveexec_b32 s15, s58
	s_cbranch_execnz .LBB25_110
.LBB25_51:                              ;   in Loop: Header=BB25_21 Depth=1
	s_or_b32 exec_lo, exec_lo, s15
	s_and_saveexec_b32 s15, s59
	s_cbranch_execnz .LBB25_111
.LBB25_52:                              ;   in Loop: Header=BB25_21 Depth=1
	s_or_b32 exec_lo, exec_lo, s15
	s_and_saveexec_b32 s15, s60
	s_cbranch_execnz .LBB25_112
.LBB25_53:                              ;   in Loop: Header=BB25_21 Depth=1
	s_or_b32 exec_lo, exec_lo, s15
	s_and_saveexec_b32 s15, s61
	s_cbranch_execz .LBB25_55
.LBB25_54:                              ;   in Loop: Header=BB25_21 Depth=1
	v_add_nc_u64_e32 v[90:91], 0x100, v[54:55]
	v_mov_b32_e32 v53, v3
	s_delay_alu instid0(VALU_DEP_1) | instskip(NEXT) | instid1(VALU_DEP_1)
	v_add_nc_u64_e32 v[72:73], v[72:73], v[52:53]
	v_add_nc_u64_e32 v[72:73], 0x380, v[72:73]
	s_delay_alu instid0(VALU_DEP_1)
	v_dual_cndmask_b32 v73, v91, v73, s0 :: v_dual_cndmask_b32 v72, v90, v72, s0
	global_load_b32 v53, v[72:73], off
	s_wait_xcnt 0x0
	v_add_nc_u64_e32 v[72:73], s[38:39], v[70:71]
	v_add_nc_u64_e32 v[70:71], s[34:35], v[70:71]
	global_store_b32 v[72:73], v88, off offset:896
	s_wait_loadcnt 0x0
	global_store_b32 v[70:71], v53, off offset:896
.LBB25_55:                              ;   in Loop: Header=BB25_21 Depth=1
	s_wait_xcnt 0x0
	s_or_b32 exec_lo, exec_lo, s15
	v_add_nc_u64_e32 v[70:71], s[4:5], v[32:33]
	s_delay_alu instid0(VALU_DEP_1) | instskip(NEXT) | instid1(VALU_DEP_1)
	v_mad_nc_u64_u32 v[72:73], v70, s16, s[28:29]
	v_mad_u32 v73, v71, s16, v73
	s_delay_alu instid0(VALU_DEP_1) | instskip(SKIP_1) | instid1(VALU_DEP_2)
	v_add_nc_u64_e32 v[70:71], v[72:73], v[0:1]
	v_lshl_add_u64 v[72:73], v[34:35], 2, s[6:7]
	v_lshlrev_b64_e32 v[70:71], 2, v[70:71]
	s_and_saveexec_b32 s15, s62
	s_cbranch_execnz .LBB25_113
; %bb.56:                               ;   in Loop: Header=BB25_21 Depth=1
	s_or_b32 exec_lo, exec_lo, s15
	s_and_saveexec_b32 s15, s63
	s_cbranch_execnz .LBB25_114
.LBB25_57:                              ;   in Loop: Header=BB25_21 Depth=1
	s_or_b32 exec_lo, exec_lo, s15
	s_and_saveexec_b32 s15, s64
	s_cbranch_execnz .LBB25_115
.LBB25_58:                              ;   in Loop: Header=BB25_21 Depth=1
	s_or_b32 exec_lo, exec_lo, s15
	s_and_saveexec_b32 s15, s65
	s_cbranch_execnz .LBB25_116
.LBB25_59:                              ;   in Loop: Header=BB25_21 Depth=1
	s_or_b32 exec_lo, exec_lo, s15
	s_and_saveexec_b32 s15, s66
	s_cbranch_execnz .LBB25_117
.LBB25_60:                              ;   in Loop: Header=BB25_21 Depth=1
	s_or_b32 exec_lo, exec_lo, s15
	s_and_saveexec_b32 s15, s67
	s_cbranch_execnz .LBB25_118
.LBB25_61:                              ;   in Loop: Header=BB25_21 Depth=1
	s_or_b32 exec_lo, exec_lo, s15
	s_and_saveexec_b32 s15, s68
	s_cbranch_execnz .LBB25_119
.LBB25_62:                              ;   in Loop: Header=BB25_21 Depth=1
	s_or_b32 exec_lo, exec_lo, s15
	s_and_saveexec_b32 s15, s69
	s_cbranch_execz .LBB25_64
.LBB25_63:                              ;   in Loop: Header=BB25_21 Depth=1
	v_add_nc_u64_e32 v[90:91], 0x180, v[54:55]
	v_mov_b32_e32 v53, v3
	s_delay_alu instid0(VALU_DEP_1) | instskip(NEXT) | instid1(VALU_DEP_1)
	v_add_nc_u64_e32 v[72:73], v[72:73], v[52:53]
	v_add_nc_u64_e32 v[72:73], 0x380, v[72:73]
	s_delay_alu instid0(VALU_DEP_1)
	v_dual_cndmask_b32 v73, v91, v73, s0 :: v_dual_cndmask_b32 v72, v90, v72, s0
	global_load_b32 v53, v[72:73], off
	s_wait_xcnt 0x0
	v_add_nc_u64_e32 v[72:73], s[38:39], v[70:71]
	v_add_nc_u64_e32 v[70:71], s[34:35], v[70:71]
	global_store_b32 v[72:73], v88, off offset:896
	s_wait_loadcnt 0x0
	global_store_b32 v[70:71], v53, off offset:896
.LBB25_64:                              ;   in Loop: Header=BB25_21 Depth=1
	s_wait_xcnt 0x0
	s_or_b32 exec_lo, exec_lo, s15
	v_add_nc_u64_e32 v[70:71], s[4:5], v[36:37]
	s_delay_alu instid0(VALU_DEP_1) | instskip(NEXT) | instid1(VALU_DEP_1)
	v_mad_nc_u64_u32 v[72:73], v70, s16, s[28:29]
	v_mad_u32 v73, v71, s16, v73
	s_delay_alu instid0(VALU_DEP_1) | instskip(SKIP_1) | instid1(VALU_DEP_2)
	v_add_nc_u64_e32 v[70:71], v[72:73], v[0:1]
	v_lshl_add_u64 v[72:73], v[38:39], 2, s[6:7]
	v_lshlrev_b64_e32 v[70:71], 2, v[70:71]
	s_and_saveexec_b32 s15, s70
	s_cbranch_execnz .LBB25_120
; %bb.65:                               ;   in Loop: Header=BB25_21 Depth=1
	s_or_b32 exec_lo, exec_lo, s15
	s_and_saveexec_b32 s15, s71
	s_cbranch_execnz .LBB25_121
.LBB25_66:                              ;   in Loop: Header=BB25_21 Depth=1
	s_or_b32 exec_lo, exec_lo, s15
	s_and_saveexec_b32 s15, s72
	s_cbranch_execnz .LBB25_122
.LBB25_67:                              ;   in Loop: Header=BB25_21 Depth=1
	s_or_b32 exec_lo, exec_lo, s15
	s_and_saveexec_b32 s15, s73
	s_cbranch_execnz .LBB25_123
.LBB25_68:                              ;   in Loop: Header=BB25_21 Depth=1
	s_or_b32 exec_lo, exec_lo, s15
	s_and_saveexec_b32 s15, s74
	s_cbranch_execnz .LBB25_124
.LBB25_69:                              ;   in Loop: Header=BB25_21 Depth=1
	s_or_b32 exec_lo, exec_lo, s15
	s_and_saveexec_b32 s15, s75
	s_cbranch_execnz .LBB25_125
.LBB25_70:                              ;   in Loop: Header=BB25_21 Depth=1
	s_or_b32 exec_lo, exec_lo, s15
	s_and_saveexec_b32 s15, s76
	s_cbranch_execnz .LBB25_126
.LBB25_71:                              ;   in Loop: Header=BB25_21 Depth=1
	s_or_b32 exec_lo, exec_lo, s15
	s_and_saveexec_b32 s15, s8
	s_cbranch_execz .LBB25_73
.LBB25_72:                              ;   in Loop: Header=BB25_21 Depth=1
	v_add_nc_u64_e32 v[90:91], 0x200, v[54:55]
	v_mov_b32_e32 v53, v3
	s_delay_alu instid0(VALU_DEP_1) | instskip(NEXT) | instid1(VALU_DEP_1)
	v_add_nc_u64_e32 v[72:73], v[72:73], v[52:53]
	v_add_nc_u64_e32 v[72:73], 0x380, v[72:73]
	s_delay_alu instid0(VALU_DEP_1)
	v_dual_cndmask_b32 v73, v91, v73, s0 :: v_dual_cndmask_b32 v72, v90, v72, s0
	global_load_b32 v53, v[72:73], off
	s_wait_xcnt 0x0
	v_add_nc_u64_e32 v[72:73], s[38:39], v[70:71]
	v_add_nc_u64_e32 v[70:71], s[34:35], v[70:71]
	global_store_b32 v[72:73], v88, off offset:896
	s_wait_loadcnt 0x0
	global_store_b32 v[70:71], v53, off offset:896
.LBB25_73:                              ;   in Loop: Header=BB25_21 Depth=1
	s_wait_xcnt 0x0
	s_or_b32 exec_lo, exec_lo, s15
	v_add_nc_u64_e32 v[70:71], s[4:5], v[40:41]
	s_delay_alu instid0(VALU_DEP_1) | instskip(NEXT) | instid1(VALU_DEP_1)
	v_mad_nc_u64_u32 v[72:73], v70, s16, s[28:29]
	v_mad_u32 v73, v71, s16, v73
	s_delay_alu instid0(VALU_DEP_1) | instskip(SKIP_1) | instid1(VALU_DEP_2)
	v_add_nc_u64_e32 v[70:71], v[72:73], v[0:1]
	v_lshl_add_u64 v[72:73], v[42:43], 2, s[6:7]
	v_lshlrev_b64_e32 v[70:71], 2, v[70:71]
	s_and_saveexec_b32 s15, s40
	s_cbranch_execnz .LBB25_127
; %bb.74:                               ;   in Loop: Header=BB25_21 Depth=1
	s_or_b32 exec_lo, exec_lo, s15
	s_and_saveexec_b32 s15, s41
	s_cbranch_execnz .LBB25_128
.LBB25_75:                              ;   in Loop: Header=BB25_21 Depth=1
	s_or_b32 exec_lo, exec_lo, s15
	s_and_saveexec_b32 s15, s77
	s_cbranch_execnz .LBB25_129
.LBB25_76:                              ;   in Loop: Header=BB25_21 Depth=1
	s_or_b32 exec_lo, exec_lo, s15
	s_and_saveexec_b32 s15, s78
	s_cbranch_execnz .LBB25_130
.LBB25_77:                              ;   in Loop: Header=BB25_21 Depth=1
	s_or_b32 exec_lo, exec_lo, s15
	s_and_saveexec_b32 s15, s79
	s_cbranch_execnz .LBB25_131
.LBB25_78:                              ;   in Loop: Header=BB25_21 Depth=1
	s_or_b32 exec_lo, exec_lo, s15
	s_and_saveexec_b32 s15, s80
	s_cbranch_execnz .LBB25_132
.LBB25_79:                              ;   in Loop: Header=BB25_21 Depth=1
	s_or_b32 exec_lo, exec_lo, s15
	s_and_saveexec_b32 s15, s81
	s_cbranch_execnz .LBB25_133
.LBB25_80:                              ;   in Loop: Header=BB25_21 Depth=1
	s_or_b32 exec_lo, exec_lo, s15
	s_and_saveexec_b32 s15, s82
	s_cbranch_execz .LBB25_82
.LBB25_81:                              ;   in Loop: Header=BB25_21 Depth=1
	v_add_nc_u64_e32 v[90:91], 0x280, v[54:55]
	v_mov_b32_e32 v53, v3
	s_delay_alu instid0(VALU_DEP_1) | instskip(NEXT) | instid1(VALU_DEP_1)
	v_add_nc_u64_e32 v[72:73], v[72:73], v[52:53]
	v_add_nc_u64_e32 v[72:73], 0x380, v[72:73]
	s_delay_alu instid0(VALU_DEP_1)
	v_dual_cndmask_b32 v73, v91, v73, s0 :: v_dual_cndmask_b32 v72, v90, v72, s0
	global_load_b32 v53, v[72:73], off
	s_wait_xcnt 0x0
	v_add_nc_u64_e32 v[72:73], s[38:39], v[70:71]
	v_add_nc_u64_e32 v[70:71], s[34:35], v[70:71]
	global_store_b32 v[72:73], v88, off offset:896
	s_wait_loadcnt 0x0
	global_store_b32 v[70:71], v53, off offset:896
.LBB25_82:                              ;   in Loop: Header=BB25_21 Depth=1
	s_wait_xcnt 0x0
	s_or_b32 exec_lo, exec_lo, s15
	v_add_nc_u64_e32 v[70:71], s[4:5], v[44:45]
	s_delay_alu instid0(VALU_DEP_1) | instskip(NEXT) | instid1(VALU_DEP_1)
	v_mad_nc_u64_u32 v[72:73], v70, s16, s[28:29]
	v_mad_u32 v73, v71, s16, v73
	s_delay_alu instid0(VALU_DEP_1) | instskip(SKIP_1) | instid1(VALU_DEP_2)
	v_add_nc_u64_e32 v[70:71], v[72:73], v[0:1]
	v_lshl_add_u64 v[72:73], v[48:49], 2, s[6:7]
	v_lshlrev_b64_e32 v[70:71], 2, v[70:71]
	s_and_saveexec_b32 s15, s83
	s_cbranch_execnz .LBB25_134
; %bb.83:                               ;   in Loop: Header=BB25_21 Depth=1
	s_or_b32 exec_lo, exec_lo, s15
	s_and_saveexec_b32 s15, s84
	s_cbranch_execnz .LBB25_135
.LBB25_84:                              ;   in Loop: Header=BB25_21 Depth=1
	s_or_b32 exec_lo, exec_lo, s15
	s_and_saveexec_b32 s15, s85
	s_cbranch_execnz .LBB25_136
.LBB25_85:                              ;   in Loop: Header=BB25_21 Depth=1
	s_or_b32 exec_lo, exec_lo, s15
	s_and_saveexec_b32 s15, s86
	s_cbranch_execnz .LBB25_137
.LBB25_86:                              ;   in Loop: Header=BB25_21 Depth=1
	s_or_b32 exec_lo, exec_lo, s15
	s_and_saveexec_b32 s15, s87
	s_cbranch_execnz .LBB25_138
.LBB25_87:                              ;   in Loop: Header=BB25_21 Depth=1
	s_or_b32 exec_lo, exec_lo, s15
	s_and_saveexec_b32 s15, s88
	s_cbranch_execnz .LBB25_139
.LBB25_88:                              ;   in Loop: Header=BB25_21 Depth=1
	s_or_b32 exec_lo, exec_lo, s15
	s_and_saveexec_b32 s15, s89
	s_cbranch_execnz .LBB25_140
.LBB25_89:                              ;   in Loop: Header=BB25_21 Depth=1
	s_or_b32 exec_lo, exec_lo, s15
	s_and_saveexec_b32 s15, s90
	s_cbranch_execz .LBB25_91
.LBB25_90:                              ;   in Loop: Header=BB25_21 Depth=1
	v_add_nc_u64_e32 v[90:91], 0x300, v[54:55]
	v_mov_b32_e32 v53, v3
	s_delay_alu instid0(VALU_DEP_1) | instskip(NEXT) | instid1(VALU_DEP_1)
	v_add_nc_u64_e32 v[72:73], v[72:73], v[52:53]
	v_add_nc_u64_e32 v[72:73], 0x380, v[72:73]
	s_delay_alu instid0(VALU_DEP_1)
	v_dual_cndmask_b32 v73, v91, v73, s0 :: v_dual_cndmask_b32 v72, v90, v72, s0
	global_load_b32 v53, v[72:73], off
	s_wait_xcnt 0x0
	v_add_nc_u64_e32 v[72:73], s[38:39], v[70:71]
	v_add_nc_u64_e32 v[70:71], s[34:35], v[70:71]
	global_store_b32 v[72:73], v88, off offset:896
	s_wait_loadcnt 0x0
	global_store_b32 v[70:71], v53, off offset:896
.LBB25_91:                              ;   in Loop: Header=BB25_21 Depth=1
	s_wait_xcnt 0x0
	s_or_b32 exec_lo, exec_lo, s15
	v_add_nc_u64_e32 v[70:71], s[4:5], v[46:47]
	s_delay_alu instid0(VALU_DEP_1) | instskip(NEXT) | instid1(VALU_DEP_1)
	v_mad_nc_u64_u32 v[72:73], v70, s16, s[28:29]
	v_mad_u32 v73, v71, s16, v73
	s_delay_alu instid0(VALU_DEP_1) | instskip(SKIP_1) | instid1(VALU_DEP_2)
	v_add_nc_u64_e32 v[70:71], v[72:73], v[0:1]
	v_lshl_add_u64 v[72:73], v[50:51], 2, s[6:7]
	v_lshlrev_b64_e32 v[70:71], 2, v[70:71]
	s_and_saveexec_b32 s4, s91
	s_cbranch_execnz .LBB25_141
; %bb.92:                               ;   in Loop: Header=BB25_21 Depth=1
	s_or_b32 exec_lo, exec_lo, s4
	s_and_saveexec_b32 s4, s1
	s_cbranch_execnz .LBB25_142
.LBB25_93:                              ;   in Loop: Header=BB25_21 Depth=1
	s_or_b32 exec_lo, exec_lo, s4
	s_and_saveexec_b32 s4, s10
	s_cbranch_execnz .LBB25_143
.LBB25_94:                              ;   in Loop: Header=BB25_21 Depth=1
	s_or_b32 exec_lo, exec_lo, s4
	s_and_saveexec_b32 s4, s11
	s_cbranch_execnz .LBB25_144
.LBB25_95:                              ;   in Loop: Header=BB25_21 Depth=1
	s_or_b32 exec_lo, exec_lo, s4
	s_and_saveexec_b32 s4, s12
	s_cbranch_execnz .LBB25_145
.LBB25_96:                              ;   in Loop: Header=BB25_21 Depth=1
	s_or_b32 exec_lo, exec_lo, s4
	s_and_saveexec_b32 s4, s13
	s_cbranch_execnz .LBB25_146
.LBB25_97:                              ;   in Loop: Header=BB25_21 Depth=1
	s_or_b32 exec_lo, exec_lo, s4
	s_and_saveexec_b32 s4, s14
	s_cbranch_execnz .LBB25_147
.LBB25_98:                              ;   in Loop: Header=BB25_21 Depth=1
	s_or_b32 exec_lo, exec_lo, s4
	s_and_saveexec_b32 s4, s9
	s_cbranch_execz .LBB25_20
	s_branch .LBB25_148
.LBB25_99:                              ;   in Loop: Header=BB25_21 Depth=1
	v_add_nc_u64_e32 v[90:91], 0x80, v[68:69]
	v_mov_b32_e32 v53, v3
	s_delay_alu instid0(VALU_DEP_1) | instskip(NEXT) | instid1(VALU_DEP_1)
	v_add_nc_u64_e32 v[92:93], v[72:73], v[52:53]
	v_dual_cndmask_b32 v91, v91, v93, s0 :: v_dual_cndmask_b32 v90, v90, v92, s0
	v_add_nc_u64_e32 v[92:93], s[34:35], v[70:71]
	global_load_b32 v53, v[90:91], off
	s_wait_xcnt 0x0
	v_add_nc_u64_e32 v[90:91], s[38:39], v[70:71]
	global_store_b32 v[90:91], v81, off
	s_wait_loadcnt 0x0
	global_store_b32 v[92:93], v53, off
	s_wait_xcnt 0x0
	s_or_b32 exec_lo, exec_lo, s15
	s_and_saveexec_b32 s15, s47
	s_cbranch_execz .LBB25_39
.LBB25_100:                             ;   in Loop: Header=BB25_21 Depth=1
	v_mov_b32_e32 v53, v3
	v_add_nc_u64_e32 v[92:93], s[34:35], v[70:71]
	s_delay_alu instid0(VALU_DEP_2) | instskip(NEXT) | instid1(VALU_DEP_1)
	v_add_nc_u64_e32 v[90:91], v[72:73], v[52:53]
	v_dual_cndmask_b32 v91, v67, v91, s0 :: v_dual_cndmask_b32 v90, v66, v90, s0
	global_load_b32 v53, v[90:91], off offset:128
	s_wait_xcnt 0x0
	v_add_nc_u64_e32 v[90:91], s[38:39], v[70:71]
	global_store_b32 v[90:91], v82, off offset:128
	s_wait_loadcnt 0x0
	global_store_b32 v[92:93], v53, off offset:128
	s_wait_xcnt 0x0
	s_or_b32 exec_lo, exec_lo, s15
	s_and_saveexec_b32 s15, s48
	s_cbranch_execz .LBB25_40
.LBB25_101:                             ;   in Loop: Header=BB25_21 Depth=1
	v_add_nc_u64_e32 v[92:93], 0x80, v[64:65]
	v_mov_b32_e32 v53, v3
	s_delay_alu instid0(VALU_DEP_1) | instskip(NEXT) | instid1(VALU_DEP_1)
	v_add_nc_u64_e32 v[90:91], v[72:73], v[52:53]
	v_add_nc_u64_e32 v[90:91], 0x100, v[90:91]
	s_delay_alu instid0(VALU_DEP_1)
	v_dual_cndmask_b32 v91, v93, v91, s0 :: v_dual_cndmask_b32 v90, v92, v90, s0
	v_add_nc_u64_e32 v[92:93], s[34:35], v[70:71]
	global_load_b32 v53, v[90:91], off
	s_wait_xcnt 0x0
	v_add_nc_u64_e32 v[90:91], s[38:39], v[70:71]
	global_store_b32 v[90:91], v83, off offset:256
	s_wait_loadcnt 0x0
	global_store_b32 v[92:93], v53, off offset:256
	s_wait_xcnt 0x0
	s_or_b32 exec_lo, exec_lo, s15
	s_and_saveexec_b32 s15, s49
	s_cbranch_execz .LBB25_41
.LBB25_102:                             ;   in Loop: Header=BB25_21 Depth=1
	v_add_nc_u64_e32 v[92:93], 0x80, v[62:63]
	v_mov_b32_e32 v53, v3
	s_delay_alu instid0(VALU_DEP_1) | instskip(NEXT) | instid1(VALU_DEP_1)
	v_add_nc_u64_e32 v[90:91], v[72:73], v[52:53]
	v_add_nc_u64_e32 v[90:91], 0x180, v[90:91]
	s_delay_alu instid0(VALU_DEP_1)
	v_dual_cndmask_b32 v91, v93, v91, s0 :: v_dual_cndmask_b32 v90, v92, v90, s0
	v_add_nc_u64_e32 v[92:93], s[34:35], v[70:71]
	global_load_b32 v53, v[90:91], off
	s_wait_xcnt 0x0
	v_add_nc_u64_e32 v[90:91], s[38:39], v[70:71]
	global_store_b32 v[90:91], v84, off offset:384
	s_wait_loadcnt 0x0
	global_store_b32 v[92:93], v53, off offset:384
	s_wait_xcnt 0x0
	s_or_b32 exec_lo, exec_lo, s15
	s_and_saveexec_b32 s15, s50
	s_cbranch_execz .LBB25_42
.LBB25_103:                             ;   in Loop: Header=BB25_21 Depth=1
	v_add_nc_u64_e32 v[92:93], 0x80, v[60:61]
	v_mov_b32_e32 v53, v3
	s_delay_alu instid0(VALU_DEP_1) | instskip(NEXT) | instid1(VALU_DEP_1)
	v_add_nc_u64_e32 v[90:91], v[72:73], v[52:53]
	v_add_nc_u64_e32 v[90:91], 0x200, v[90:91]
	s_delay_alu instid0(VALU_DEP_1)
	v_dual_cndmask_b32 v91, v93, v91, s0 :: v_dual_cndmask_b32 v90, v92, v90, s0
	v_add_nc_u64_e32 v[92:93], s[34:35], v[70:71]
	global_load_b32 v53, v[90:91], off
	s_wait_xcnt 0x0
	v_add_nc_u64_e32 v[90:91], s[38:39], v[70:71]
	global_store_b32 v[90:91], v85, off offset:512
	s_wait_loadcnt 0x0
	global_store_b32 v[92:93], v53, off offset:512
	s_wait_xcnt 0x0
	s_or_b32 exec_lo, exec_lo, s15
	s_and_saveexec_b32 s15, s51
	s_cbranch_execz .LBB25_43
.LBB25_104:                             ;   in Loop: Header=BB25_21 Depth=1
	v_add_nc_u64_e32 v[92:93], 0x80, v[58:59]
	v_mov_b32_e32 v53, v3
	s_delay_alu instid0(VALU_DEP_1) | instskip(NEXT) | instid1(VALU_DEP_1)
	v_add_nc_u64_e32 v[90:91], v[72:73], v[52:53]
	v_add_nc_u64_e32 v[90:91], 0x280, v[90:91]
	s_delay_alu instid0(VALU_DEP_1)
	v_dual_cndmask_b32 v91, v93, v91, s0 :: v_dual_cndmask_b32 v90, v92, v90, s0
	v_add_nc_u64_e32 v[92:93], s[34:35], v[70:71]
	global_load_b32 v53, v[90:91], off
	s_wait_xcnt 0x0
	v_add_nc_u64_e32 v[90:91], s[38:39], v[70:71]
	global_store_b32 v[90:91], v86, off offset:640
	s_wait_loadcnt 0x0
	global_store_b32 v[92:93], v53, off offset:640
	s_wait_xcnt 0x0
	s_or_b32 exec_lo, exec_lo, s15
	s_and_saveexec_b32 s15, s52
	s_cbranch_execz .LBB25_44
.LBB25_105:                             ;   in Loop: Header=BB25_21 Depth=1
	v_add_nc_u64_e32 v[92:93], 0x80, v[56:57]
	v_mov_b32_e32 v53, v3
	s_delay_alu instid0(VALU_DEP_1) | instskip(NEXT) | instid1(VALU_DEP_1)
	v_add_nc_u64_e32 v[90:91], v[72:73], v[52:53]
	v_add_nc_u64_e32 v[90:91], 0x300, v[90:91]
	s_delay_alu instid0(VALU_DEP_1)
	v_dual_cndmask_b32 v91, v93, v91, s0 :: v_dual_cndmask_b32 v90, v92, v90, s0
	v_add_nc_u64_e32 v[92:93], s[34:35], v[70:71]
	global_load_b32 v53, v[90:91], off
	s_wait_xcnt 0x0
	v_add_nc_u64_e32 v[90:91], s[38:39], v[70:71]
	global_store_b32 v[90:91], v87, off offset:768
	s_wait_loadcnt 0x0
	global_store_b32 v[92:93], v53, off offset:768
	s_wait_xcnt 0x0
	s_or_b32 exec_lo, exec_lo, s15
	s_and_saveexec_b32 s15, s53
	s_cbranch_execnz .LBB25_45
	s_branch .LBB25_46
.LBB25_106:                             ;   in Loop: Header=BB25_21 Depth=1
	v_add_nc_u64_e32 v[90:91], 0x100, v[68:69]
	v_mov_b32_e32 v53, v3
	s_delay_alu instid0(VALU_DEP_1) | instskip(NEXT) | instid1(VALU_DEP_1)
	v_add_nc_u64_e32 v[92:93], v[72:73], v[52:53]
	v_dual_cndmask_b32 v91, v91, v93, s0 :: v_dual_cndmask_b32 v90, v90, v92, s0
	v_add_nc_u64_e32 v[92:93], s[34:35], v[70:71]
	global_load_b32 v53, v[90:91], off
	s_wait_xcnt 0x0
	v_add_nc_u64_e32 v[90:91], s[38:39], v[70:71]
	global_store_b32 v[90:91], v81, off
	s_wait_loadcnt 0x0
	global_store_b32 v[92:93], v53, off
	s_wait_xcnt 0x0
	s_or_b32 exec_lo, exec_lo, s15
	s_and_saveexec_b32 s15, s55
	s_cbranch_execz .LBB25_48
.LBB25_107:                             ;   in Loop: Header=BB25_21 Depth=1
	v_add_nc_u64_e32 v[92:93], 0x100, v[66:67]
	v_mov_b32_e32 v53, v3
	s_delay_alu instid0(VALU_DEP_1) | instskip(NEXT) | instid1(VALU_DEP_1)
	v_add_nc_u64_e32 v[90:91], v[72:73], v[52:53]
	v_add_nc_u64_e32 v[90:91], 0x80, v[90:91]
	s_delay_alu instid0(VALU_DEP_1)
	v_dual_cndmask_b32 v91, v93, v91, s0 :: v_dual_cndmask_b32 v90, v92, v90, s0
	v_add_nc_u64_e32 v[92:93], s[34:35], v[70:71]
	global_load_b32 v53, v[90:91], off
	s_wait_xcnt 0x0
	v_add_nc_u64_e32 v[90:91], s[38:39], v[70:71]
	global_store_b32 v[90:91], v82, off offset:128
	s_wait_loadcnt 0x0
	global_store_b32 v[92:93], v53, off offset:128
	s_wait_xcnt 0x0
	s_or_b32 exec_lo, exec_lo, s15
	s_and_saveexec_b32 s15, s56
	s_cbranch_execz .LBB25_49
.LBB25_108:                             ;   in Loop: Header=BB25_21 Depth=1
	v_mov_b32_e32 v53, v3
	v_add_nc_u64_e32 v[92:93], s[34:35], v[70:71]
	s_delay_alu instid0(VALU_DEP_2) | instskip(NEXT) | instid1(VALU_DEP_1)
	v_add_nc_u64_e32 v[90:91], v[72:73], v[52:53]
	v_dual_cndmask_b32 v91, v65, v91, s0 :: v_dual_cndmask_b32 v90, v64, v90, s0
	global_load_b32 v53, v[90:91], off offset:256
	s_wait_xcnt 0x0
	v_add_nc_u64_e32 v[90:91], s[38:39], v[70:71]
	global_store_b32 v[90:91], v83, off offset:256
	s_wait_loadcnt 0x0
	global_store_b32 v[92:93], v53, off offset:256
	s_wait_xcnt 0x0
	s_or_b32 exec_lo, exec_lo, s15
	s_and_saveexec_b32 s15, s57
	s_cbranch_execz .LBB25_50
.LBB25_109:                             ;   in Loop: Header=BB25_21 Depth=1
	v_add_nc_u64_e32 v[92:93], 0x100, v[62:63]
	v_mov_b32_e32 v53, v3
	s_delay_alu instid0(VALU_DEP_1) | instskip(NEXT) | instid1(VALU_DEP_1)
	v_add_nc_u64_e32 v[90:91], v[72:73], v[52:53]
	v_add_nc_u64_e32 v[90:91], 0x180, v[90:91]
	s_delay_alu instid0(VALU_DEP_1)
	v_dual_cndmask_b32 v91, v93, v91, s0 :: v_dual_cndmask_b32 v90, v92, v90, s0
	v_add_nc_u64_e32 v[92:93], s[34:35], v[70:71]
	global_load_b32 v53, v[90:91], off
	s_wait_xcnt 0x0
	v_add_nc_u64_e32 v[90:91], s[38:39], v[70:71]
	global_store_b32 v[90:91], v84, off offset:384
	s_wait_loadcnt 0x0
	global_store_b32 v[92:93], v53, off offset:384
	s_wait_xcnt 0x0
	s_or_b32 exec_lo, exec_lo, s15
	s_and_saveexec_b32 s15, s58
	s_cbranch_execz .LBB25_51
.LBB25_110:                             ;   in Loop: Header=BB25_21 Depth=1
	v_add_nc_u64_e32 v[92:93], 0x100, v[60:61]
	v_mov_b32_e32 v53, v3
	s_delay_alu instid0(VALU_DEP_1) | instskip(NEXT) | instid1(VALU_DEP_1)
	v_add_nc_u64_e32 v[90:91], v[72:73], v[52:53]
	v_add_nc_u64_e32 v[90:91], 0x200, v[90:91]
	s_delay_alu instid0(VALU_DEP_1)
	v_dual_cndmask_b32 v91, v93, v91, s0 :: v_dual_cndmask_b32 v90, v92, v90, s0
	v_add_nc_u64_e32 v[92:93], s[34:35], v[70:71]
	global_load_b32 v53, v[90:91], off
	s_wait_xcnt 0x0
	v_add_nc_u64_e32 v[90:91], s[38:39], v[70:71]
	global_store_b32 v[90:91], v85, off offset:512
	s_wait_loadcnt 0x0
	global_store_b32 v[92:93], v53, off offset:512
	s_wait_xcnt 0x0
	s_or_b32 exec_lo, exec_lo, s15
	s_and_saveexec_b32 s15, s59
	s_cbranch_execz .LBB25_52
.LBB25_111:                             ;   in Loop: Header=BB25_21 Depth=1
	v_add_nc_u64_e32 v[92:93], 0x100, v[58:59]
	v_mov_b32_e32 v53, v3
	s_delay_alu instid0(VALU_DEP_1) | instskip(NEXT) | instid1(VALU_DEP_1)
	v_add_nc_u64_e32 v[90:91], v[72:73], v[52:53]
	v_add_nc_u64_e32 v[90:91], 0x280, v[90:91]
	s_delay_alu instid0(VALU_DEP_1)
	v_dual_cndmask_b32 v91, v93, v91, s0 :: v_dual_cndmask_b32 v90, v92, v90, s0
	v_add_nc_u64_e32 v[92:93], s[34:35], v[70:71]
	global_load_b32 v53, v[90:91], off
	s_wait_xcnt 0x0
	v_add_nc_u64_e32 v[90:91], s[38:39], v[70:71]
	global_store_b32 v[90:91], v86, off offset:640
	s_wait_loadcnt 0x0
	global_store_b32 v[92:93], v53, off offset:640
	s_wait_xcnt 0x0
	s_or_b32 exec_lo, exec_lo, s15
	s_and_saveexec_b32 s15, s60
	s_cbranch_execz .LBB25_53
.LBB25_112:                             ;   in Loop: Header=BB25_21 Depth=1
	v_add_nc_u64_e32 v[92:93], 0x100, v[56:57]
	v_mov_b32_e32 v53, v3
	s_delay_alu instid0(VALU_DEP_1) | instskip(NEXT) | instid1(VALU_DEP_1)
	v_add_nc_u64_e32 v[90:91], v[72:73], v[52:53]
	v_add_nc_u64_e32 v[90:91], 0x300, v[90:91]
	s_delay_alu instid0(VALU_DEP_1)
	v_dual_cndmask_b32 v91, v93, v91, s0 :: v_dual_cndmask_b32 v90, v92, v90, s0
	v_add_nc_u64_e32 v[92:93], s[34:35], v[70:71]
	global_load_b32 v53, v[90:91], off
	s_wait_xcnt 0x0
	v_add_nc_u64_e32 v[90:91], s[38:39], v[70:71]
	global_store_b32 v[90:91], v87, off offset:768
	s_wait_loadcnt 0x0
	global_store_b32 v[92:93], v53, off offset:768
	s_wait_xcnt 0x0
	s_or_b32 exec_lo, exec_lo, s15
	s_and_saveexec_b32 s15, s61
	s_cbranch_execnz .LBB25_54
	s_branch .LBB25_55
.LBB25_113:                             ;   in Loop: Header=BB25_21 Depth=1
	v_add_nc_u64_e32 v[90:91], 0x180, v[68:69]
	v_mov_b32_e32 v53, v3
	s_delay_alu instid0(VALU_DEP_1) | instskip(NEXT) | instid1(VALU_DEP_1)
	v_add_nc_u64_e32 v[92:93], v[72:73], v[52:53]
	v_dual_cndmask_b32 v91, v91, v93, s0 :: v_dual_cndmask_b32 v90, v90, v92, s0
	v_add_nc_u64_e32 v[92:93], s[34:35], v[70:71]
	global_load_b32 v53, v[90:91], off
	s_wait_xcnt 0x0
	v_add_nc_u64_e32 v[90:91], s[38:39], v[70:71]
	global_store_b32 v[90:91], v81, off
	s_wait_loadcnt 0x0
	global_store_b32 v[92:93], v53, off
	s_wait_xcnt 0x0
	s_or_b32 exec_lo, exec_lo, s15
	s_and_saveexec_b32 s15, s63
	s_cbranch_execz .LBB25_57
.LBB25_114:                             ;   in Loop: Header=BB25_21 Depth=1
	v_add_nc_u64_e32 v[92:93], 0x180, v[66:67]
	v_mov_b32_e32 v53, v3
	s_delay_alu instid0(VALU_DEP_1) | instskip(NEXT) | instid1(VALU_DEP_1)
	v_add_nc_u64_e32 v[90:91], v[72:73], v[52:53]
	v_add_nc_u64_e32 v[90:91], 0x80, v[90:91]
	s_delay_alu instid0(VALU_DEP_1)
	v_dual_cndmask_b32 v91, v93, v91, s0 :: v_dual_cndmask_b32 v90, v92, v90, s0
	v_add_nc_u64_e32 v[92:93], s[34:35], v[70:71]
	global_load_b32 v53, v[90:91], off
	s_wait_xcnt 0x0
	v_add_nc_u64_e32 v[90:91], s[38:39], v[70:71]
	global_store_b32 v[90:91], v82, off offset:128
	s_wait_loadcnt 0x0
	global_store_b32 v[92:93], v53, off offset:128
	s_wait_xcnt 0x0
	s_or_b32 exec_lo, exec_lo, s15
	s_and_saveexec_b32 s15, s64
	s_cbranch_execz .LBB25_58
.LBB25_115:                             ;   in Loop: Header=BB25_21 Depth=1
	v_add_nc_u64_e32 v[92:93], 0x180, v[64:65]
	v_mov_b32_e32 v53, v3
	s_delay_alu instid0(VALU_DEP_1) | instskip(NEXT) | instid1(VALU_DEP_1)
	v_add_nc_u64_e32 v[90:91], v[72:73], v[52:53]
	v_add_nc_u64_e32 v[90:91], 0x100, v[90:91]
	s_delay_alu instid0(VALU_DEP_1)
	v_dual_cndmask_b32 v91, v93, v91, s0 :: v_dual_cndmask_b32 v90, v92, v90, s0
	v_add_nc_u64_e32 v[92:93], s[34:35], v[70:71]
	global_load_b32 v53, v[90:91], off
	s_wait_xcnt 0x0
	v_add_nc_u64_e32 v[90:91], s[38:39], v[70:71]
	global_store_b32 v[90:91], v83, off offset:256
	s_wait_loadcnt 0x0
	global_store_b32 v[92:93], v53, off offset:256
	s_wait_xcnt 0x0
	s_or_b32 exec_lo, exec_lo, s15
	s_and_saveexec_b32 s15, s65
	s_cbranch_execz .LBB25_59
.LBB25_116:                             ;   in Loop: Header=BB25_21 Depth=1
	v_mov_b32_e32 v53, v3
	v_add_nc_u64_e32 v[92:93], s[34:35], v[70:71]
	s_delay_alu instid0(VALU_DEP_2) | instskip(NEXT) | instid1(VALU_DEP_1)
	v_add_nc_u64_e32 v[90:91], v[72:73], v[52:53]
	v_dual_cndmask_b32 v91, v63, v91, s0 :: v_dual_cndmask_b32 v90, v62, v90, s0
	global_load_b32 v53, v[90:91], off offset:384
	s_wait_xcnt 0x0
	v_add_nc_u64_e32 v[90:91], s[38:39], v[70:71]
	global_store_b32 v[90:91], v84, off offset:384
	s_wait_loadcnt 0x0
	global_store_b32 v[92:93], v53, off offset:384
	s_wait_xcnt 0x0
	s_or_b32 exec_lo, exec_lo, s15
	s_and_saveexec_b32 s15, s66
	s_cbranch_execz .LBB25_60
.LBB25_117:                             ;   in Loop: Header=BB25_21 Depth=1
	v_add_nc_u64_e32 v[92:93], 0x180, v[60:61]
	v_mov_b32_e32 v53, v3
	s_delay_alu instid0(VALU_DEP_1) | instskip(NEXT) | instid1(VALU_DEP_1)
	v_add_nc_u64_e32 v[90:91], v[72:73], v[52:53]
	v_add_nc_u64_e32 v[90:91], 0x200, v[90:91]
	s_delay_alu instid0(VALU_DEP_1)
	v_dual_cndmask_b32 v91, v93, v91, s0 :: v_dual_cndmask_b32 v90, v92, v90, s0
	v_add_nc_u64_e32 v[92:93], s[34:35], v[70:71]
	global_load_b32 v53, v[90:91], off
	s_wait_xcnt 0x0
	v_add_nc_u64_e32 v[90:91], s[38:39], v[70:71]
	global_store_b32 v[90:91], v85, off offset:512
	s_wait_loadcnt 0x0
	global_store_b32 v[92:93], v53, off offset:512
	s_wait_xcnt 0x0
	s_or_b32 exec_lo, exec_lo, s15
	s_and_saveexec_b32 s15, s67
	s_cbranch_execz .LBB25_61
.LBB25_118:                             ;   in Loop: Header=BB25_21 Depth=1
	v_add_nc_u64_e32 v[92:93], 0x180, v[58:59]
	v_mov_b32_e32 v53, v3
	s_delay_alu instid0(VALU_DEP_1) | instskip(NEXT) | instid1(VALU_DEP_1)
	v_add_nc_u64_e32 v[90:91], v[72:73], v[52:53]
	v_add_nc_u64_e32 v[90:91], 0x280, v[90:91]
	s_delay_alu instid0(VALU_DEP_1)
	v_dual_cndmask_b32 v91, v93, v91, s0 :: v_dual_cndmask_b32 v90, v92, v90, s0
	v_add_nc_u64_e32 v[92:93], s[34:35], v[70:71]
	global_load_b32 v53, v[90:91], off
	s_wait_xcnt 0x0
	v_add_nc_u64_e32 v[90:91], s[38:39], v[70:71]
	global_store_b32 v[90:91], v86, off offset:640
	s_wait_loadcnt 0x0
	global_store_b32 v[92:93], v53, off offset:640
	s_wait_xcnt 0x0
	s_or_b32 exec_lo, exec_lo, s15
	s_and_saveexec_b32 s15, s68
	s_cbranch_execz .LBB25_62
.LBB25_119:                             ;   in Loop: Header=BB25_21 Depth=1
	v_add_nc_u64_e32 v[92:93], 0x180, v[56:57]
	v_mov_b32_e32 v53, v3
	s_delay_alu instid0(VALU_DEP_1) | instskip(NEXT) | instid1(VALU_DEP_1)
	v_add_nc_u64_e32 v[90:91], v[72:73], v[52:53]
	v_add_nc_u64_e32 v[90:91], 0x300, v[90:91]
	s_delay_alu instid0(VALU_DEP_1)
	v_dual_cndmask_b32 v91, v93, v91, s0 :: v_dual_cndmask_b32 v90, v92, v90, s0
	v_add_nc_u64_e32 v[92:93], s[34:35], v[70:71]
	global_load_b32 v53, v[90:91], off
	s_wait_xcnt 0x0
	v_add_nc_u64_e32 v[90:91], s[38:39], v[70:71]
	global_store_b32 v[90:91], v87, off offset:768
	s_wait_loadcnt 0x0
	global_store_b32 v[92:93], v53, off offset:768
	s_wait_xcnt 0x0
	s_or_b32 exec_lo, exec_lo, s15
	s_and_saveexec_b32 s15, s69
	s_cbranch_execnz .LBB25_63
	s_branch .LBB25_64
.LBB25_120:                             ;   in Loop: Header=BB25_21 Depth=1
	v_add_nc_u64_e32 v[90:91], 0x200, v[68:69]
	v_mov_b32_e32 v53, v3
	s_delay_alu instid0(VALU_DEP_1) | instskip(NEXT) | instid1(VALU_DEP_1)
	v_add_nc_u64_e32 v[92:93], v[72:73], v[52:53]
	v_dual_cndmask_b32 v91, v91, v93, s0 :: v_dual_cndmask_b32 v90, v90, v92, s0
	v_add_nc_u64_e32 v[92:93], s[34:35], v[70:71]
	global_load_b32 v53, v[90:91], off
	s_wait_xcnt 0x0
	v_add_nc_u64_e32 v[90:91], s[38:39], v[70:71]
	global_store_b32 v[90:91], v81, off
	s_wait_loadcnt 0x0
	global_store_b32 v[92:93], v53, off
	s_wait_xcnt 0x0
	s_or_b32 exec_lo, exec_lo, s15
	s_and_saveexec_b32 s15, s71
	s_cbranch_execz .LBB25_66
.LBB25_121:                             ;   in Loop: Header=BB25_21 Depth=1
	v_add_nc_u64_e32 v[92:93], 0x200, v[66:67]
	v_mov_b32_e32 v53, v3
	s_delay_alu instid0(VALU_DEP_1) | instskip(NEXT) | instid1(VALU_DEP_1)
	v_add_nc_u64_e32 v[90:91], v[72:73], v[52:53]
	v_add_nc_u64_e32 v[90:91], 0x80, v[90:91]
	s_delay_alu instid0(VALU_DEP_1)
	v_dual_cndmask_b32 v91, v93, v91, s0 :: v_dual_cndmask_b32 v90, v92, v90, s0
	v_add_nc_u64_e32 v[92:93], s[34:35], v[70:71]
	global_load_b32 v53, v[90:91], off
	s_wait_xcnt 0x0
	v_add_nc_u64_e32 v[90:91], s[38:39], v[70:71]
	global_store_b32 v[90:91], v82, off offset:128
	s_wait_loadcnt 0x0
	global_store_b32 v[92:93], v53, off offset:128
	s_wait_xcnt 0x0
	s_or_b32 exec_lo, exec_lo, s15
	s_and_saveexec_b32 s15, s72
	s_cbranch_execz .LBB25_67
.LBB25_122:                             ;   in Loop: Header=BB25_21 Depth=1
	v_add_nc_u64_e32 v[92:93], 0x200, v[64:65]
	v_mov_b32_e32 v53, v3
	s_delay_alu instid0(VALU_DEP_1) | instskip(NEXT) | instid1(VALU_DEP_1)
	v_add_nc_u64_e32 v[90:91], v[72:73], v[52:53]
	v_add_nc_u64_e32 v[90:91], 0x100, v[90:91]
	s_delay_alu instid0(VALU_DEP_1)
	v_dual_cndmask_b32 v91, v93, v91, s0 :: v_dual_cndmask_b32 v90, v92, v90, s0
	v_add_nc_u64_e32 v[92:93], s[34:35], v[70:71]
	global_load_b32 v53, v[90:91], off
	s_wait_xcnt 0x0
	v_add_nc_u64_e32 v[90:91], s[38:39], v[70:71]
	global_store_b32 v[90:91], v83, off offset:256
	s_wait_loadcnt 0x0
	global_store_b32 v[92:93], v53, off offset:256
	s_wait_xcnt 0x0
	s_or_b32 exec_lo, exec_lo, s15
	s_and_saveexec_b32 s15, s73
	s_cbranch_execz .LBB25_68
.LBB25_123:                             ;   in Loop: Header=BB25_21 Depth=1
	v_add_nc_u64_e32 v[92:93], 0x200, v[62:63]
	v_mov_b32_e32 v53, v3
	s_delay_alu instid0(VALU_DEP_1) | instskip(NEXT) | instid1(VALU_DEP_1)
	v_add_nc_u64_e32 v[90:91], v[72:73], v[52:53]
	v_add_nc_u64_e32 v[90:91], 0x180, v[90:91]
	s_delay_alu instid0(VALU_DEP_1)
	v_dual_cndmask_b32 v91, v93, v91, s0 :: v_dual_cndmask_b32 v90, v92, v90, s0
	v_add_nc_u64_e32 v[92:93], s[34:35], v[70:71]
	global_load_b32 v53, v[90:91], off
	s_wait_xcnt 0x0
	v_add_nc_u64_e32 v[90:91], s[38:39], v[70:71]
	global_store_b32 v[90:91], v84, off offset:384
	s_wait_loadcnt 0x0
	global_store_b32 v[92:93], v53, off offset:384
	s_wait_xcnt 0x0
	s_or_b32 exec_lo, exec_lo, s15
	s_and_saveexec_b32 s15, s74
	s_cbranch_execz .LBB25_69
.LBB25_124:                             ;   in Loop: Header=BB25_21 Depth=1
	v_mov_b32_e32 v53, v3
	v_add_nc_u64_e32 v[92:93], s[34:35], v[70:71]
	s_delay_alu instid0(VALU_DEP_2) | instskip(NEXT) | instid1(VALU_DEP_1)
	v_add_nc_u64_e32 v[90:91], v[72:73], v[52:53]
	v_dual_cndmask_b32 v91, v61, v91, s0 :: v_dual_cndmask_b32 v90, v60, v90, s0
	global_load_b32 v53, v[90:91], off offset:512
	s_wait_xcnt 0x0
	v_add_nc_u64_e32 v[90:91], s[38:39], v[70:71]
	global_store_b32 v[90:91], v85, off offset:512
	s_wait_loadcnt 0x0
	global_store_b32 v[92:93], v53, off offset:512
	s_wait_xcnt 0x0
	s_or_b32 exec_lo, exec_lo, s15
	s_and_saveexec_b32 s15, s75
	s_cbranch_execz .LBB25_70
.LBB25_125:                             ;   in Loop: Header=BB25_21 Depth=1
	v_add_nc_u64_e32 v[92:93], 0x200, v[58:59]
	v_mov_b32_e32 v53, v3
	s_delay_alu instid0(VALU_DEP_1) | instskip(NEXT) | instid1(VALU_DEP_1)
	v_add_nc_u64_e32 v[90:91], v[72:73], v[52:53]
	v_add_nc_u64_e32 v[90:91], 0x280, v[90:91]
	s_delay_alu instid0(VALU_DEP_1)
	v_dual_cndmask_b32 v91, v93, v91, s0 :: v_dual_cndmask_b32 v90, v92, v90, s0
	v_add_nc_u64_e32 v[92:93], s[34:35], v[70:71]
	global_load_b32 v53, v[90:91], off
	s_wait_xcnt 0x0
	v_add_nc_u64_e32 v[90:91], s[38:39], v[70:71]
	global_store_b32 v[90:91], v86, off offset:640
	s_wait_loadcnt 0x0
	global_store_b32 v[92:93], v53, off offset:640
	s_wait_xcnt 0x0
	s_or_b32 exec_lo, exec_lo, s15
	s_and_saveexec_b32 s15, s76
	s_cbranch_execz .LBB25_71
.LBB25_126:                             ;   in Loop: Header=BB25_21 Depth=1
	v_add_nc_u64_e32 v[92:93], 0x200, v[56:57]
	v_mov_b32_e32 v53, v3
	s_delay_alu instid0(VALU_DEP_1) | instskip(NEXT) | instid1(VALU_DEP_1)
	v_add_nc_u64_e32 v[90:91], v[72:73], v[52:53]
	v_add_nc_u64_e32 v[90:91], 0x300, v[90:91]
	s_delay_alu instid0(VALU_DEP_1)
	v_dual_cndmask_b32 v91, v93, v91, s0 :: v_dual_cndmask_b32 v90, v92, v90, s0
	v_add_nc_u64_e32 v[92:93], s[34:35], v[70:71]
	global_load_b32 v53, v[90:91], off
	s_wait_xcnt 0x0
	v_add_nc_u64_e32 v[90:91], s[38:39], v[70:71]
	global_store_b32 v[90:91], v87, off offset:768
	s_wait_loadcnt 0x0
	global_store_b32 v[92:93], v53, off offset:768
	s_wait_xcnt 0x0
	s_or_b32 exec_lo, exec_lo, s15
	s_and_saveexec_b32 s15, s8
	s_cbranch_execnz .LBB25_72
	s_branch .LBB25_73
.LBB25_127:                             ;   in Loop: Header=BB25_21 Depth=1
	v_add_nc_u64_e32 v[90:91], 0x280, v[68:69]
	v_mov_b32_e32 v53, v3
	s_delay_alu instid0(VALU_DEP_1) | instskip(NEXT) | instid1(VALU_DEP_1)
	v_add_nc_u64_e32 v[92:93], v[72:73], v[52:53]
	v_dual_cndmask_b32 v91, v91, v93, s0 :: v_dual_cndmask_b32 v90, v90, v92, s0
	v_add_nc_u64_e32 v[92:93], s[34:35], v[70:71]
	global_load_b32 v53, v[90:91], off
	s_wait_xcnt 0x0
	v_add_nc_u64_e32 v[90:91], s[38:39], v[70:71]
	global_store_b32 v[90:91], v81, off
	s_wait_loadcnt 0x0
	global_store_b32 v[92:93], v53, off
	s_wait_xcnt 0x0
	s_or_b32 exec_lo, exec_lo, s15
	s_and_saveexec_b32 s15, s41
	s_cbranch_execz .LBB25_75
.LBB25_128:                             ;   in Loop: Header=BB25_21 Depth=1
	v_add_nc_u64_e32 v[92:93], 0x280, v[66:67]
	v_mov_b32_e32 v53, v3
	s_delay_alu instid0(VALU_DEP_1) | instskip(NEXT) | instid1(VALU_DEP_1)
	v_add_nc_u64_e32 v[90:91], v[72:73], v[52:53]
	v_add_nc_u64_e32 v[90:91], 0x80, v[90:91]
	s_delay_alu instid0(VALU_DEP_1)
	v_dual_cndmask_b32 v91, v93, v91, s0 :: v_dual_cndmask_b32 v90, v92, v90, s0
	v_add_nc_u64_e32 v[92:93], s[34:35], v[70:71]
	global_load_b32 v53, v[90:91], off
	s_wait_xcnt 0x0
	v_add_nc_u64_e32 v[90:91], s[38:39], v[70:71]
	global_store_b32 v[90:91], v82, off offset:128
	s_wait_loadcnt 0x0
	global_store_b32 v[92:93], v53, off offset:128
	s_wait_xcnt 0x0
	s_or_b32 exec_lo, exec_lo, s15
	s_and_saveexec_b32 s15, s77
	s_cbranch_execz .LBB25_76
.LBB25_129:                             ;   in Loop: Header=BB25_21 Depth=1
	v_add_nc_u64_e32 v[92:93], 0x280, v[64:65]
	v_mov_b32_e32 v53, v3
	s_delay_alu instid0(VALU_DEP_1) | instskip(NEXT) | instid1(VALU_DEP_1)
	v_add_nc_u64_e32 v[90:91], v[72:73], v[52:53]
	v_add_nc_u64_e32 v[90:91], 0x100, v[90:91]
	s_delay_alu instid0(VALU_DEP_1)
	v_dual_cndmask_b32 v91, v93, v91, s0 :: v_dual_cndmask_b32 v90, v92, v90, s0
	v_add_nc_u64_e32 v[92:93], s[34:35], v[70:71]
	global_load_b32 v53, v[90:91], off
	s_wait_xcnt 0x0
	v_add_nc_u64_e32 v[90:91], s[38:39], v[70:71]
	global_store_b32 v[90:91], v83, off offset:256
	s_wait_loadcnt 0x0
	global_store_b32 v[92:93], v53, off offset:256
	s_wait_xcnt 0x0
	s_or_b32 exec_lo, exec_lo, s15
	s_and_saveexec_b32 s15, s78
	s_cbranch_execz .LBB25_77
.LBB25_130:                             ;   in Loop: Header=BB25_21 Depth=1
	v_add_nc_u64_e32 v[92:93], 0x280, v[62:63]
	v_mov_b32_e32 v53, v3
	s_delay_alu instid0(VALU_DEP_1) | instskip(NEXT) | instid1(VALU_DEP_1)
	v_add_nc_u64_e32 v[90:91], v[72:73], v[52:53]
	v_add_nc_u64_e32 v[90:91], 0x180, v[90:91]
	s_delay_alu instid0(VALU_DEP_1)
	v_dual_cndmask_b32 v91, v93, v91, s0 :: v_dual_cndmask_b32 v90, v92, v90, s0
	v_add_nc_u64_e32 v[92:93], s[34:35], v[70:71]
	global_load_b32 v53, v[90:91], off
	s_wait_xcnt 0x0
	v_add_nc_u64_e32 v[90:91], s[38:39], v[70:71]
	global_store_b32 v[90:91], v84, off offset:384
	s_wait_loadcnt 0x0
	global_store_b32 v[92:93], v53, off offset:384
	s_wait_xcnt 0x0
	s_or_b32 exec_lo, exec_lo, s15
	s_and_saveexec_b32 s15, s79
	s_cbranch_execz .LBB25_78
.LBB25_131:                             ;   in Loop: Header=BB25_21 Depth=1
	v_add_nc_u64_e32 v[92:93], 0x280, v[60:61]
	v_mov_b32_e32 v53, v3
	s_delay_alu instid0(VALU_DEP_1) | instskip(NEXT) | instid1(VALU_DEP_1)
	v_add_nc_u64_e32 v[90:91], v[72:73], v[52:53]
	v_add_nc_u64_e32 v[90:91], 0x200, v[90:91]
	s_delay_alu instid0(VALU_DEP_1)
	v_dual_cndmask_b32 v91, v93, v91, s0 :: v_dual_cndmask_b32 v90, v92, v90, s0
	v_add_nc_u64_e32 v[92:93], s[34:35], v[70:71]
	global_load_b32 v53, v[90:91], off
	s_wait_xcnt 0x0
	v_add_nc_u64_e32 v[90:91], s[38:39], v[70:71]
	global_store_b32 v[90:91], v85, off offset:512
	s_wait_loadcnt 0x0
	global_store_b32 v[92:93], v53, off offset:512
	s_wait_xcnt 0x0
	s_or_b32 exec_lo, exec_lo, s15
	s_and_saveexec_b32 s15, s80
	s_cbranch_execz .LBB25_79
.LBB25_132:                             ;   in Loop: Header=BB25_21 Depth=1
	v_mov_b32_e32 v53, v3
	v_add_nc_u64_e32 v[92:93], s[34:35], v[70:71]
	s_delay_alu instid0(VALU_DEP_2) | instskip(NEXT) | instid1(VALU_DEP_1)
	v_add_nc_u64_e32 v[90:91], v[72:73], v[52:53]
	v_dual_cndmask_b32 v91, v59, v91, s0 :: v_dual_cndmask_b32 v90, v58, v90, s0
	global_load_b32 v53, v[90:91], off offset:640
	s_wait_xcnt 0x0
	v_add_nc_u64_e32 v[90:91], s[38:39], v[70:71]
	global_store_b32 v[90:91], v86, off offset:640
	s_wait_loadcnt 0x0
	global_store_b32 v[92:93], v53, off offset:640
	s_wait_xcnt 0x0
	s_or_b32 exec_lo, exec_lo, s15
	s_and_saveexec_b32 s15, s81
	s_cbranch_execz .LBB25_80
.LBB25_133:                             ;   in Loop: Header=BB25_21 Depth=1
	v_add_nc_u64_e32 v[92:93], 0x280, v[56:57]
	v_mov_b32_e32 v53, v3
	s_delay_alu instid0(VALU_DEP_1) | instskip(NEXT) | instid1(VALU_DEP_1)
	v_add_nc_u64_e32 v[90:91], v[72:73], v[52:53]
	v_add_nc_u64_e32 v[90:91], 0x300, v[90:91]
	s_delay_alu instid0(VALU_DEP_1)
	v_dual_cndmask_b32 v91, v93, v91, s0 :: v_dual_cndmask_b32 v90, v92, v90, s0
	v_add_nc_u64_e32 v[92:93], s[34:35], v[70:71]
	global_load_b32 v53, v[90:91], off
	s_wait_xcnt 0x0
	v_add_nc_u64_e32 v[90:91], s[38:39], v[70:71]
	global_store_b32 v[90:91], v87, off offset:768
	s_wait_loadcnt 0x0
	global_store_b32 v[92:93], v53, off offset:768
	s_wait_xcnt 0x0
	s_or_b32 exec_lo, exec_lo, s15
	s_and_saveexec_b32 s15, s82
	s_cbranch_execnz .LBB25_81
	s_branch .LBB25_82
.LBB25_134:                             ;   in Loop: Header=BB25_21 Depth=1
	v_add_nc_u64_e32 v[90:91], 0x300, v[68:69]
	v_mov_b32_e32 v53, v3
	s_delay_alu instid0(VALU_DEP_1) | instskip(NEXT) | instid1(VALU_DEP_1)
	v_add_nc_u64_e32 v[92:93], v[72:73], v[52:53]
	v_dual_cndmask_b32 v91, v91, v93, s0 :: v_dual_cndmask_b32 v90, v90, v92, s0
	v_add_nc_u64_e32 v[92:93], s[34:35], v[70:71]
	global_load_b32 v53, v[90:91], off
	s_wait_xcnt 0x0
	v_add_nc_u64_e32 v[90:91], s[38:39], v[70:71]
	global_store_b32 v[90:91], v81, off
	s_wait_loadcnt 0x0
	global_store_b32 v[92:93], v53, off
	s_wait_xcnt 0x0
	s_or_b32 exec_lo, exec_lo, s15
	s_and_saveexec_b32 s15, s84
	s_cbranch_execz .LBB25_84
.LBB25_135:                             ;   in Loop: Header=BB25_21 Depth=1
	v_add_nc_u64_e32 v[92:93], 0x300, v[66:67]
	v_mov_b32_e32 v53, v3
	s_delay_alu instid0(VALU_DEP_1) | instskip(NEXT) | instid1(VALU_DEP_1)
	v_add_nc_u64_e32 v[90:91], v[72:73], v[52:53]
	v_add_nc_u64_e32 v[90:91], 0x80, v[90:91]
	s_delay_alu instid0(VALU_DEP_1)
	v_dual_cndmask_b32 v91, v93, v91, s0 :: v_dual_cndmask_b32 v90, v92, v90, s0
	v_add_nc_u64_e32 v[92:93], s[34:35], v[70:71]
	global_load_b32 v53, v[90:91], off
	s_wait_xcnt 0x0
	v_add_nc_u64_e32 v[90:91], s[38:39], v[70:71]
	global_store_b32 v[90:91], v82, off offset:128
	s_wait_loadcnt 0x0
	global_store_b32 v[92:93], v53, off offset:128
	s_wait_xcnt 0x0
	s_or_b32 exec_lo, exec_lo, s15
	s_and_saveexec_b32 s15, s85
	s_cbranch_execz .LBB25_85
.LBB25_136:                             ;   in Loop: Header=BB25_21 Depth=1
	v_add_nc_u64_e32 v[92:93], 0x300, v[64:65]
	v_mov_b32_e32 v53, v3
	s_delay_alu instid0(VALU_DEP_1) | instskip(NEXT) | instid1(VALU_DEP_1)
	v_add_nc_u64_e32 v[90:91], v[72:73], v[52:53]
	v_add_nc_u64_e32 v[90:91], 0x100, v[90:91]
	s_delay_alu instid0(VALU_DEP_1)
	v_dual_cndmask_b32 v91, v93, v91, s0 :: v_dual_cndmask_b32 v90, v92, v90, s0
	v_add_nc_u64_e32 v[92:93], s[34:35], v[70:71]
	global_load_b32 v53, v[90:91], off
	s_wait_xcnt 0x0
	v_add_nc_u64_e32 v[90:91], s[38:39], v[70:71]
	global_store_b32 v[90:91], v83, off offset:256
	s_wait_loadcnt 0x0
	global_store_b32 v[92:93], v53, off offset:256
	s_wait_xcnt 0x0
	s_or_b32 exec_lo, exec_lo, s15
	s_and_saveexec_b32 s15, s86
	s_cbranch_execz .LBB25_86
.LBB25_137:                             ;   in Loop: Header=BB25_21 Depth=1
	v_add_nc_u64_e32 v[92:93], 0x300, v[62:63]
	v_mov_b32_e32 v53, v3
	s_delay_alu instid0(VALU_DEP_1) | instskip(NEXT) | instid1(VALU_DEP_1)
	v_add_nc_u64_e32 v[90:91], v[72:73], v[52:53]
	v_add_nc_u64_e32 v[90:91], 0x180, v[90:91]
	s_delay_alu instid0(VALU_DEP_1)
	v_dual_cndmask_b32 v91, v93, v91, s0 :: v_dual_cndmask_b32 v90, v92, v90, s0
	v_add_nc_u64_e32 v[92:93], s[34:35], v[70:71]
	global_load_b32 v53, v[90:91], off
	s_wait_xcnt 0x0
	v_add_nc_u64_e32 v[90:91], s[38:39], v[70:71]
	global_store_b32 v[90:91], v84, off offset:384
	s_wait_loadcnt 0x0
	global_store_b32 v[92:93], v53, off offset:384
	s_wait_xcnt 0x0
	s_or_b32 exec_lo, exec_lo, s15
	s_and_saveexec_b32 s15, s87
	s_cbranch_execz .LBB25_87
.LBB25_138:                             ;   in Loop: Header=BB25_21 Depth=1
	v_add_nc_u64_e32 v[92:93], 0x300, v[60:61]
	v_mov_b32_e32 v53, v3
	s_delay_alu instid0(VALU_DEP_1) | instskip(NEXT) | instid1(VALU_DEP_1)
	v_add_nc_u64_e32 v[90:91], v[72:73], v[52:53]
	v_add_nc_u64_e32 v[90:91], 0x200, v[90:91]
	s_delay_alu instid0(VALU_DEP_1)
	v_dual_cndmask_b32 v91, v93, v91, s0 :: v_dual_cndmask_b32 v90, v92, v90, s0
	v_add_nc_u64_e32 v[92:93], s[34:35], v[70:71]
	global_load_b32 v53, v[90:91], off
	s_wait_xcnt 0x0
	v_add_nc_u64_e32 v[90:91], s[38:39], v[70:71]
	global_store_b32 v[90:91], v85, off offset:512
	s_wait_loadcnt 0x0
	global_store_b32 v[92:93], v53, off offset:512
	s_wait_xcnt 0x0
	s_or_b32 exec_lo, exec_lo, s15
	s_and_saveexec_b32 s15, s88
	s_cbranch_execz .LBB25_88
.LBB25_139:                             ;   in Loop: Header=BB25_21 Depth=1
	v_add_nc_u64_e32 v[92:93], 0x300, v[58:59]
	v_mov_b32_e32 v53, v3
	s_delay_alu instid0(VALU_DEP_1) | instskip(NEXT) | instid1(VALU_DEP_1)
	v_add_nc_u64_e32 v[90:91], v[72:73], v[52:53]
	v_add_nc_u64_e32 v[90:91], 0x280, v[90:91]
	s_delay_alu instid0(VALU_DEP_1)
	v_dual_cndmask_b32 v91, v93, v91, s0 :: v_dual_cndmask_b32 v90, v92, v90, s0
	v_add_nc_u64_e32 v[92:93], s[34:35], v[70:71]
	global_load_b32 v53, v[90:91], off
	s_wait_xcnt 0x0
	v_add_nc_u64_e32 v[90:91], s[38:39], v[70:71]
	global_store_b32 v[90:91], v86, off offset:640
	s_wait_loadcnt 0x0
	global_store_b32 v[92:93], v53, off offset:640
	s_wait_xcnt 0x0
	s_or_b32 exec_lo, exec_lo, s15
	s_and_saveexec_b32 s15, s89
	s_cbranch_execz .LBB25_89
.LBB25_140:                             ;   in Loop: Header=BB25_21 Depth=1
	v_mov_b32_e32 v53, v3
	v_add_nc_u64_e32 v[92:93], s[34:35], v[70:71]
	s_delay_alu instid0(VALU_DEP_2) | instskip(NEXT) | instid1(VALU_DEP_1)
	v_add_nc_u64_e32 v[90:91], v[72:73], v[52:53]
	v_dual_cndmask_b32 v91, v57, v91, s0 :: v_dual_cndmask_b32 v90, v56, v90, s0
	global_load_b32 v53, v[90:91], off offset:768
	s_wait_xcnt 0x0
	v_add_nc_u64_e32 v[90:91], s[38:39], v[70:71]
	global_store_b32 v[90:91], v87, off offset:768
	s_wait_loadcnt 0x0
	global_store_b32 v[92:93], v53, off offset:768
	s_wait_xcnt 0x0
	s_or_b32 exec_lo, exec_lo, s15
	s_and_saveexec_b32 s15, s90
	s_cbranch_execnz .LBB25_90
	s_branch .LBB25_91
.LBB25_141:                             ;   in Loop: Header=BB25_21 Depth=1
	v_add_nc_u64_e32 v[68:69], 0x380, v[68:69]
	v_mov_b32_e32 v53, v3
	s_delay_alu instid0(VALU_DEP_1) | instskip(NEXT) | instid1(VALU_DEP_1)
	v_add_nc_u64_e32 v[90:91], v[72:73], v[52:53]
	v_dual_cndmask_b32 v69, v69, v91, s0 :: v_dual_cndmask_b32 v68, v68, v90, s0
	v_add_nc_u64_e32 v[90:91], s[34:35], v[70:71]
	global_load_b32 v53, v[68:69], off
	s_wait_xcnt 0x0
	v_add_nc_u64_e32 v[68:69], s[38:39], v[70:71]
	global_store_b32 v[68:69], v81, off
	s_wait_loadcnt 0x0
	global_store_b32 v[90:91], v53, off
	s_wait_xcnt 0x0
	s_or_b32 exec_lo, exec_lo, s4
	s_and_saveexec_b32 s4, s1
	s_cbranch_execz .LBB25_93
.LBB25_142:                             ;   in Loop: Header=BB25_21 Depth=1
	v_add_nc_u64_e32 v[66:67], 0x380, v[66:67]
	v_mov_b32_e32 v53, v3
	s_delay_alu instid0(VALU_DEP_1) | instskip(NEXT) | instid1(VALU_DEP_1)
	v_add_nc_u64_e32 v[68:69], v[72:73], v[52:53]
	v_add_nc_u64_e32 v[68:69], 0x80, v[68:69]
	s_delay_alu instid0(VALU_DEP_1)
	v_dual_cndmask_b32 v67, v67, v69, s0 :: v_dual_cndmask_b32 v66, v66, v68, s0
	v_add_nc_u64_e32 v[68:69], s[34:35], v[70:71]
	global_load_b32 v53, v[66:67], off
	s_wait_xcnt 0x0
	v_add_nc_u64_e32 v[66:67], s[38:39], v[70:71]
	global_store_b32 v[66:67], v82, off offset:128
	s_wait_loadcnt 0x0
	global_store_b32 v[68:69], v53, off offset:128
	s_wait_xcnt 0x0
	s_or_b32 exec_lo, exec_lo, s4
	s_and_saveexec_b32 s4, s10
	s_cbranch_execz .LBB25_94
.LBB25_143:                             ;   in Loop: Header=BB25_21 Depth=1
	v_add_nc_u64_e32 v[64:65], 0x380, v[64:65]
	v_mov_b32_e32 v53, v3
	s_delay_alu instid0(VALU_DEP_1) | instskip(NEXT) | instid1(VALU_DEP_1)
	v_add_nc_u64_e32 v[66:67], v[72:73], v[52:53]
	v_add_nc_u64_e32 v[66:67], 0x100, v[66:67]
	s_delay_alu instid0(VALU_DEP_1)
	v_dual_cndmask_b32 v65, v65, v67, s0 :: v_dual_cndmask_b32 v64, v64, v66, s0
	v_add_nc_u64_e32 v[66:67], s[34:35], v[70:71]
	global_load_b32 v53, v[64:65], off
	s_wait_xcnt 0x0
	v_add_nc_u64_e32 v[64:65], s[38:39], v[70:71]
	global_store_b32 v[64:65], v83, off offset:256
	s_wait_loadcnt 0x0
	global_store_b32 v[66:67], v53, off offset:256
	s_wait_xcnt 0x0
	s_or_b32 exec_lo, exec_lo, s4
	s_and_saveexec_b32 s4, s11
	s_cbranch_execz .LBB25_95
.LBB25_144:                             ;   in Loop: Header=BB25_21 Depth=1
	v_add_nc_u64_e32 v[62:63], 0x380, v[62:63]
	v_mov_b32_e32 v53, v3
	s_delay_alu instid0(VALU_DEP_1) | instskip(NEXT) | instid1(VALU_DEP_1)
	v_add_nc_u64_e32 v[64:65], v[72:73], v[52:53]
	v_add_nc_u64_e32 v[64:65], 0x180, v[64:65]
	s_delay_alu instid0(VALU_DEP_1)
	v_dual_cndmask_b32 v63, v63, v65, s0 :: v_dual_cndmask_b32 v62, v62, v64, s0
	v_add_nc_u64_e32 v[64:65], s[34:35], v[70:71]
	global_load_b32 v53, v[62:63], off
	s_wait_xcnt 0x0
	v_add_nc_u64_e32 v[62:63], s[38:39], v[70:71]
	global_store_b32 v[62:63], v84, off offset:384
	s_wait_loadcnt 0x0
	global_store_b32 v[64:65], v53, off offset:384
	s_wait_xcnt 0x0
	s_or_b32 exec_lo, exec_lo, s4
	s_and_saveexec_b32 s4, s12
	s_cbranch_execz .LBB25_96
.LBB25_145:                             ;   in Loop: Header=BB25_21 Depth=1
	v_add_nc_u64_e32 v[60:61], 0x380, v[60:61]
	v_mov_b32_e32 v53, v3
	s_delay_alu instid0(VALU_DEP_1) | instskip(NEXT) | instid1(VALU_DEP_1)
	v_add_nc_u64_e32 v[62:63], v[72:73], v[52:53]
	v_add_nc_u64_e32 v[62:63], 0x200, v[62:63]
	s_delay_alu instid0(VALU_DEP_1)
	v_dual_cndmask_b32 v61, v61, v63, s0 :: v_dual_cndmask_b32 v60, v60, v62, s0
	v_add_nc_u64_e32 v[62:63], s[34:35], v[70:71]
	global_load_b32 v53, v[60:61], off
	s_wait_xcnt 0x0
	v_add_nc_u64_e32 v[60:61], s[38:39], v[70:71]
	global_store_b32 v[60:61], v85, off offset:512
	s_wait_loadcnt 0x0
	global_store_b32 v[62:63], v53, off offset:512
	s_wait_xcnt 0x0
	s_or_b32 exec_lo, exec_lo, s4
	s_and_saveexec_b32 s4, s13
	s_cbranch_execz .LBB25_97
.LBB25_146:                             ;   in Loop: Header=BB25_21 Depth=1
	v_add_nc_u64_e32 v[58:59], 0x380, v[58:59]
	v_mov_b32_e32 v53, v3
	s_delay_alu instid0(VALU_DEP_1) | instskip(NEXT) | instid1(VALU_DEP_1)
	v_add_nc_u64_e32 v[60:61], v[72:73], v[52:53]
	v_add_nc_u64_e32 v[60:61], 0x280, v[60:61]
	s_delay_alu instid0(VALU_DEP_1)
	v_dual_cndmask_b32 v59, v59, v61, s0 :: v_dual_cndmask_b32 v58, v58, v60, s0
	v_add_nc_u64_e32 v[60:61], s[34:35], v[70:71]
	global_load_b32 v53, v[58:59], off
	s_wait_xcnt 0x0
	v_add_nc_u64_e32 v[58:59], s[38:39], v[70:71]
	global_store_b32 v[58:59], v86, off offset:640
	s_wait_loadcnt 0x0
	global_store_b32 v[60:61], v53, off offset:640
	s_wait_xcnt 0x0
	s_or_b32 exec_lo, exec_lo, s4
	s_and_saveexec_b32 s4, s14
	s_cbranch_execz .LBB25_98
.LBB25_147:                             ;   in Loop: Header=BB25_21 Depth=1
	v_add_nc_u64_e32 v[56:57], 0x380, v[56:57]
	v_mov_b32_e32 v53, v3
	s_delay_alu instid0(VALU_DEP_1) | instskip(NEXT) | instid1(VALU_DEP_1)
	v_add_nc_u64_e32 v[58:59], v[72:73], v[52:53]
	v_add_nc_u64_e32 v[58:59], 0x300, v[58:59]
	s_delay_alu instid0(VALU_DEP_1)
	v_dual_cndmask_b32 v57, v57, v59, s0 :: v_dual_cndmask_b32 v56, v56, v58, s0
	v_add_nc_u64_e32 v[58:59], s[34:35], v[70:71]
	global_load_b32 v53, v[56:57], off
	s_wait_xcnt 0x0
	v_add_nc_u64_e32 v[56:57], s[38:39], v[70:71]
	global_store_b32 v[56:57], v87, off offset:768
	s_wait_loadcnt 0x0
	global_store_b32 v[58:59], v53, off offset:768
	s_wait_xcnt 0x0
	s_or_b32 exec_lo, exec_lo, s4
	s_and_saveexec_b32 s4, s9
	s_cbranch_execz .LBB25_20
.LBB25_148:                             ;   in Loop: Header=BB25_21 Depth=1
	v_mov_b32_e32 v53, v3
	s_delay_alu instid0(VALU_DEP_1) | instskip(NEXT) | instid1(VALU_DEP_1)
	v_add_nc_u64_e32 v[52:53], v[72:73], v[52:53]
	v_dual_cndmask_b32 v53, v55, v53, s0 :: v_dual_cndmask_b32 v52, v54, v52, s0
	v_add_nc_u64_e32 v[54:55], s[34:35], v[70:71]
	global_load_b32 v56, v[52:53], off offset:896
	s_wait_xcnt 0x0
	v_add_nc_u64_e32 v[52:53], s[38:39], v[70:71]
	global_store_b32 v[52:53], v88, off offset:896
	s_wait_loadcnt 0x0
	global_store_b32 v[54:55], v56, off offset:896
	s_branch .LBB25_20
.LBB25_149:
	s_sendmsg sendmsg(MSG_DEALLOC_VGPRS)
	s_endpgm
	.section	.rodata,"a",@progbits
	.p2align	6, 0x0
	.amdhsa_kernel _ZN9rocsparseL35bsr2csr_block_per_row_33_256_kernelILj1024ELj256ELj32EiliEEv20rocsparse_direction_T4_S2_21rocsparse_index_base_PKT2_PKT3_PKS2_S2_S3_PS4_PS7_PS2_
		.amdhsa_group_segment_fixed_size 0
		.amdhsa_private_segment_fixed_size 0
		.amdhsa_kernarg_size 72
		.amdhsa_user_sgpr_count 2
		.amdhsa_user_sgpr_dispatch_ptr 0
		.amdhsa_user_sgpr_queue_ptr 0
		.amdhsa_user_sgpr_kernarg_segment_ptr 1
		.amdhsa_user_sgpr_dispatch_id 0
		.amdhsa_user_sgpr_kernarg_preload_length 0
		.amdhsa_user_sgpr_kernarg_preload_offset 0
		.amdhsa_user_sgpr_private_segment_size 0
		.amdhsa_wavefront_size32 1
		.amdhsa_uses_dynamic_stack 0
		.amdhsa_enable_private_segment 0
		.amdhsa_system_sgpr_workgroup_id_x 1
		.amdhsa_system_sgpr_workgroup_id_y 0
		.amdhsa_system_sgpr_workgroup_id_z 0
		.amdhsa_system_sgpr_workgroup_info 0
		.amdhsa_system_vgpr_workitem_id 0
		.amdhsa_next_free_vgpr 94
		.amdhsa_next_free_sgpr 93
		.amdhsa_named_barrier_count 0
		.amdhsa_reserve_vcc 1
		.amdhsa_float_round_mode_32 0
		.amdhsa_float_round_mode_16_64 0
		.amdhsa_float_denorm_mode_32 3
		.amdhsa_float_denorm_mode_16_64 3
		.amdhsa_fp16_overflow 0
		.amdhsa_memory_ordered 1
		.amdhsa_forward_progress 1
		.amdhsa_inst_pref_size 76
		.amdhsa_round_robin_scheduling 0
		.amdhsa_exception_fp_ieee_invalid_op 0
		.amdhsa_exception_fp_denorm_src 0
		.amdhsa_exception_fp_ieee_div_zero 0
		.amdhsa_exception_fp_ieee_overflow 0
		.amdhsa_exception_fp_ieee_underflow 0
		.amdhsa_exception_fp_ieee_inexact 0
		.amdhsa_exception_int_div_zero 0
	.end_amdhsa_kernel
	.section	.text._ZN9rocsparseL35bsr2csr_block_per_row_33_256_kernelILj1024ELj256ELj32EiliEEv20rocsparse_direction_T4_S2_21rocsparse_index_base_PKT2_PKT3_PKS2_S2_S3_PS4_PS7_PS2_,"axG",@progbits,_ZN9rocsparseL35bsr2csr_block_per_row_33_256_kernelILj1024ELj256ELj32EiliEEv20rocsparse_direction_T4_S2_21rocsparse_index_base_PKT2_PKT3_PKS2_S2_S3_PS4_PS7_PS2_,comdat
.Lfunc_end25:
	.size	_ZN9rocsparseL35bsr2csr_block_per_row_33_256_kernelILj1024ELj256ELj32EiliEEv20rocsparse_direction_T4_S2_21rocsparse_index_base_PKT2_PKT3_PKS2_S2_S3_PS4_PS7_PS2_, .Lfunc_end25-_ZN9rocsparseL35bsr2csr_block_per_row_33_256_kernelILj1024ELj256ELj32EiliEEv20rocsparse_direction_T4_S2_21rocsparse_index_base_PKT2_PKT3_PKS2_S2_S3_PS4_PS7_PS2_
                                        ; -- End function
	.set _ZN9rocsparseL35bsr2csr_block_per_row_33_256_kernelILj1024ELj256ELj32EiliEEv20rocsparse_direction_T4_S2_21rocsparse_index_base_PKT2_PKT3_PKS2_S2_S3_PS4_PS7_PS2_.num_vgpr, 94
	.set _ZN9rocsparseL35bsr2csr_block_per_row_33_256_kernelILj1024ELj256ELj32EiliEEv20rocsparse_direction_T4_S2_21rocsparse_index_base_PKT2_PKT3_PKS2_S2_S3_PS4_PS7_PS2_.num_agpr, 0
	.set _ZN9rocsparseL35bsr2csr_block_per_row_33_256_kernelILj1024ELj256ELj32EiliEEv20rocsparse_direction_T4_S2_21rocsparse_index_base_PKT2_PKT3_PKS2_S2_S3_PS4_PS7_PS2_.numbered_sgpr, 93
	.set _ZN9rocsparseL35bsr2csr_block_per_row_33_256_kernelILj1024ELj256ELj32EiliEEv20rocsparse_direction_T4_S2_21rocsparse_index_base_PKT2_PKT3_PKS2_S2_S3_PS4_PS7_PS2_.num_named_barrier, 0
	.set _ZN9rocsparseL35bsr2csr_block_per_row_33_256_kernelILj1024ELj256ELj32EiliEEv20rocsparse_direction_T4_S2_21rocsparse_index_base_PKT2_PKT3_PKS2_S2_S3_PS4_PS7_PS2_.private_seg_size, 0
	.set _ZN9rocsparseL35bsr2csr_block_per_row_33_256_kernelILj1024ELj256ELj32EiliEEv20rocsparse_direction_T4_S2_21rocsparse_index_base_PKT2_PKT3_PKS2_S2_S3_PS4_PS7_PS2_.uses_vcc, 1
	.set _ZN9rocsparseL35bsr2csr_block_per_row_33_256_kernelILj1024ELj256ELj32EiliEEv20rocsparse_direction_T4_S2_21rocsparse_index_base_PKT2_PKT3_PKS2_S2_S3_PS4_PS7_PS2_.uses_flat_scratch, 0
	.set _ZN9rocsparseL35bsr2csr_block_per_row_33_256_kernelILj1024ELj256ELj32EiliEEv20rocsparse_direction_T4_S2_21rocsparse_index_base_PKT2_PKT3_PKS2_S2_S3_PS4_PS7_PS2_.has_dyn_sized_stack, 0
	.set _ZN9rocsparseL35bsr2csr_block_per_row_33_256_kernelILj1024ELj256ELj32EiliEEv20rocsparse_direction_T4_S2_21rocsparse_index_base_PKT2_PKT3_PKS2_S2_S3_PS4_PS7_PS2_.has_recursion, 0
	.set _ZN9rocsparseL35bsr2csr_block_per_row_33_256_kernelILj1024ELj256ELj32EiliEEv20rocsparse_direction_T4_S2_21rocsparse_index_base_PKT2_PKT3_PKS2_S2_S3_PS4_PS7_PS2_.has_indirect_call, 0
	.section	.AMDGPU.csdata,"",@progbits
; Kernel info:
; codeLenInByte = 9688
; TotalNumSgprs: 95
; NumVgprs: 94
; ScratchSize: 0
; MemoryBound: 0
; FloatMode: 240
; IeeeMode: 1
; LDSByteSize: 0 bytes/workgroup (compile time only)
; SGPRBlocks: 0
; VGPRBlocks: 5
; NumSGPRsForWavesPerEU: 95
; NumVGPRsForWavesPerEU: 94
; NamedBarCnt: 0
; Occupancy: 10
; WaveLimiterHint : 1
; COMPUTE_PGM_RSRC2:SCRATCH_EN: 0
; COMPUTE_PGM_RSRC2:USER_SGPR: 2
; COMPUTE_PGM_RSRC2:TRAP_HANDLER: 0
; COMPUTE_PGM_RSRC2:TGID_X_EN: 1
; COMPUTE_PGM_RSRC2:TGID_Y_EN: 0
; COMPUTE_PGM_RSRC2:TGID_Z_EN: 0
; COMPUTE_PGM_RSRC2:TIDIG_COMP_CNT: 0
	.section	.text._ZN9rocsparseL35bsr2csr_block_dim_equals_one_kernelILj1024EiilEEvT2_S1_21rocsparse_index_base_PKT0_PKT1_PKS1_S2_PS3_PS6_PS1_,"axG",@progbits,_ZN9rocsparseL35bsr2csr_block_dim_equals_one_kernelILj1024EiilEEvT2_S1_21rocsparse_index_base_PKT0_PKT1_PKS1_S2_PS3_PS6_PS1_,comdat
	.globl	_ZN9rocsparseL35bsr2csr_block_dim_equals_one_kernelILj1024EiilEEvT2_S1_21rocsparse_index_base_PKT0_PKT1_PKS1_S2_PS3_PS6_PS1_ ; -- Begin function _ZN9rocsparseL35bsr2csr_block_dim_equals_one_kernelILj1024EiilEEvT2_S1_21rocsparse_index_base_PKT0_PKT1_PKS1_S2_PS3_PS6_PS1_
	.p2align	8
	.type	_ZN9rocsparseL35bsr2csr_block_dim_equals_one_kernelILj1024EiilEEvT2_S1_21rocsparse_index_base_PKT0_PKT1_PKS1_S2_PS3_PS6_PS1_,@function
_ZN9rocsparseL35bsr2csr_block_dim_equals_one_kernelILj1024EiilEEvT2_S1_21rocsparse_index_base_PKT0_PKT1_PKS1_S2_PS3_PS6_PS1_: ; @_ZN9rocsparseL35bsr2csr_block_dim_equals_one_kernelILj1024EiilEEvT2_S1_21rocsparse_index_base_PKT0_PKT1_PKS1_S2_PS3_PS6_PS1_
; %bb.0:
	s_clause 0x3
	s_load_b32 s2, s[0:1], 0x10
	s_load_b64 s[16:17], s[0:1], 0x20
	s_load_b32 s4, s[0:1], 0x30
	s_load_b64 s[12:13], s[0:1], 0x0
	s_bfe_u32 s3, ttmp6, 0x4000c
	s_and_b32 s5, ttmp6, 15
	s_add_co_i32 s3, s3, 1
	s_getreg_b32 s6, hwreg(HW_REG_IB_STS2, 6, 4)
	s_mul_i32 s3, ttmp9, s3
	v_mov_b32_e32 v1, 0
	s_add_co_i32 s5, s5, s3
	s_cmp_eq_u32 s6, 0
	s_cselect_b32 s3, ttmp9, s5
	s_delay_alu instid0(SALU_CYCLE_1) | instskip(SKIP_2) | instid1(VALU_DEP_1)
	v_lshl_or_b32 v0, s3, 10, v0
	s_mov_b32 s3, exec_lo
	s_wait_kmcnt 0x0
	v_cmpx_gt_i64_e64 s[12:13], v[0:1]
	s_cbranch_execz .LBB26_6
; %bb.1:
	s_mov_b32 s5, exec_lo
                                        ; implicit-def: $sgpr8
	v_cmpx_ne_u32_e32 0, v0
	s_xor_b32 s5, exec_lo, s5
; %bb.2:
	s_sub_co_i32 s8, s4, s2
; %bb.3:
	s_or_saveexec_b32 s5, s5
	s_load_b64 s[6:7], s[0:1], 0x40
	v_mov_b32_e32 v2, s8
	s_xor_b32 exec_lo, exec_lo, s5
	s_cbranch_execz .LBB26_5
; %bb.4:
	s_load_b32 s8, s[16:17], 0x0
	s_sub_co_i32 s9, s4, s2
	s_delay_alu instid0(SALU_CYCLE_1) | instskip(SKIP_2) | instid1(SALU_CYCLE_1)
	v_mov_b32_e32 v2, s9
	s_wait_kmcnt 0x0
	s_add_co_i32 s8, s9, s8
	v_dual_mov_b32 v3, 0 :: v_dual_mov_b32 v4, s8
	global_store_b32 v3, v4, s[6:7]
.LBB26_5:
	s_wait_xcnt 0x0
	s_or_b32 exec_lo, exec_lo, s5
	v_lshlrev_b64_e32 v[4:5], 2, v[0:1]
	s_delay_alu instid0(VALU_DEP_1)
	v_add_nc_u64_e32 v[6:7], s[16:17], v[4:5]
	s_wait_kmcnt 0x0
	v_add_nc_u64_e32 v[4:5], s[6:7], v[4:5]
	global_load_b32 v3, v[6:7], off offset:4
	s_wait_loadcnt 0x0
	v_add_nc_u32_e32 v2, v2, v3
	global_store_b32 v[4:5], v2, off offset:4
.LBB26_6:
	s_wait_xcnt 0x0
	s_or_b32 exec_lo, exec_lo, s3
	s_lshl_b64 s[12:13], s[12:13], 2
	s_clause 0x3
	s_load_b64 s[6:7], s[0:1], 0x48
	s_load_b64 s[8:9], s[0:1], 0x18
	;; [unrolled: 1-line block ×4, first 2 shown]
	s_add_nc_u64 s[12:13], s[16:17], s[12:13]
	s_clause 0x1
	s_load_b32 s3, s[12:13], 0x0
	s_load_b32 s5, s[16:17], 0x0
	s_wait_kmcnt 0x0
	s_sub_co_i32 s12, s3, s5
	s_mov_b32 s3, exec_lo
	s_ashr_i32 s13, s12, 31
	s_delay_alu instid0(SALU_CYCLE_1)
	v_cmpx_gt_i64_e64 s[12:13], v[0:1]
	s_cbranch_execz .LBB26_9
; %bb.7:
	s_load_b32 s16, s[0:1], 0x50
	s_mov_b32 s3, 0
	v_lshlrev_b64_e32 v[2:3], 2, v[0:1]
	v_lshlrev_b64_e32 v[4:5], 3, v[0:1]
	s_mov_b32 s5, s3
	s_mov_b32 s18, s3
	s_wait_xcnt 0x0
	s_sub_nc_u64 s[0:1], s[4:5], s[2:3]
	s_wait_kmcnt 0x0
	s_lshl_b32 s2, s16, 10
	s_delay_alu instid0(SALU_CYCLE_1)
	s_lshl_b64 s[4:5], s[2:3], 2
	s_lshl_b64 s[16:17], s[2:3], 3
.LBB26_8:                               ; =>This Inner Loop Header: Depth=1
	v_add_nc_u64_e32 v[6:7], s[10:11], v[4:5]
	v_add_nc_u64_e32 v[8:9], s[8:9], v[2:3]
	;; [unrolled: 1-line block ×3, first 2 shown]
	global_load_b64 v[10:11], v[6:7], off
	global_load_b32 v12, v[8:9], off
	s_wait_xcnt 0x1
	v_add_nc_u64_e32 v[6:7], s[6:7], v[4:5]
	v_cmp_le_i64_e32 vcc_lo, s[12:13], v[0:1]
	s_wait_xcnt 0x0
	v_add_nc_u64_e32 v[8:9], s[14:15], v[2:3]
	v_add_nc_u64_e32 v[2:3], s[4:5], v[2:3]
	;; [unrolled: 1-line block ×3, first 2 shown]
	s_or_b32 s18, vcc_lo, s18
	s_wait_loadcnt 0x1
	v_add_nc_u64_e32 v[10:11], s[0:1], v[10:11]
	s_wait_loadcnt 0x0
	global_store_b32 v[8:9], v12, off
	global_store_b64 v[6:7], v[10:11], off
	s_wait_xcnt 0x0
	s_and_not1_b32 exec_lo, exec_lo, s18
	s_cbranch_execnz .LBB26_8
.LBB26_9:
	s_endpgm
	.section	.rodata,"a",@progbits
	.p2align	6, 0x0
	.amdhsa_kernel _ZN9rocsparseL35bsr2csr_block_dim_equals_one_kernelILj1024EiilEEvT2_S1_21rocsparse_index_base_PKT0_PKT1_PKS1_S2_PS3_PS6_PS1_
		.amdhsa_group_segment_fixed_size 0
		.amdhsa_private_segment_fixed_size 0
		.amdhsa_kernarg_size 336
		.amdhsa_user_sgpr_count 2
		.amdhsa_user_sgpr_dispatch_ptr 0
		.amdhsa_user_sgpr_queue_ptr 0
		.amdhsa_user_sgpr_kernarg_segment_ptr 1
		.amdhsa_user_sgpr_dispatch_id 0
		.amdhsa_user_sgpr_kernarg_preload_length 0
		.amdhsa_user_sgpr_kernarg_preload_offset 0
		.amdhsa_user_sgpr_private_segment_size 0
		.amdhsa_wavefront_size32 1
		.amdhsa_uses_dynamic_stack 0
		.amdhsa_enable_private_segment 0
		.amdhsa_system_sgpr_workgroup_id_x 1
		.amdhsa_system_sgpr_workgroup_id_y 0
		.amdhsa_system_sgpr_workgroup_id_z 0
		.amdhsa_system_sgpr_workgroup_info 0
		.amdhsa_system_vgpr_workitem_id 0
		.amdhsa_next_free_vgpr 13
		.amdhsa_next_free_sgpr 19
		.amdhsa_named_barrier_count 0
		.amdhsa_reserve_vcc 1
		.amdhsa_float_round_mode_32 0
		.amdhsa_float_round_mode_16_64 0
		.amdhsa_float_denorm_mode_32 3
		.amdhsa_float_denorm_mode_16_64 3
		.amdhsa_fp16_overflow 0
		.amdhsa_memory_ordered 1
		.amdhsa_forward_progress 1
		.amdhsa_inst_pref_size 5
		.amdhsa_round_robin_scheduling 0
		.amdhsa_exception_fp_ieee_invalid_op 0
		.amdhsa_exception_fp_denorm_src 0
		.amdhsa_exception_fp_ieee_div_zero 0
		.amdhsa_exception_fp_ieee_overflow 0
		.amdhsa_exception_fp_ieee_underflow 0
		.amdhsa_exception_fp_ieee_inexact 0
		.amdhsa_exception_int_div_zero 0
	.end_amdhsa_kernel
	.section	.text._ZN9rocsparseL35bsr2csr_block_dim_equals_one_kernelILj1024EiilEEvT2_S1_21rocsparse_index_base_PKT0_PKT1_PKS1_S2_PS3_PS6_PS1_,"axG",@progbits,_ZN9rocsparseL35bsr2csr_block_dim_equals_one_kernelILj1024EiilEEvT2_S1_21rocsparse_index_base_PKT0_PKT1_PKS1_S2_PS3_PS6_PS1_,comdat
.Lfunc_end26:
	.size	_ZN9rocsparseL35bsr2csr_block_dim_equals_one_kernelILj1024EiilEEvT2_S1_21rocsparse_index_base_PKT0_PKT1_PKS1_S2_PS3_PS6_PS1_, .Lfunc_end26-_ZN9rocsparseL35bsr2csr_block_dim_equals_one_kernelILj1024EiilEEvT2_S1_21rocsparse_index_base_PKT0_PKT1_PKS1_S2_PS3_PS6_PS1_
                                        ; -- End function
	.set _ZN9rocsparseL35bsr2csr_block_dim_equals_one_kernelILj1024EiilEEvT2_S1_21rocsparse_index_base_PKT0_PKT1_PKS1_S2_PS3_PS6_PS1_.num_vgpr, 13
	.set _ZN9rocsparseL35bsr2csr_block_dim_equals_one_kernelILj1024EiilEEvT2_S1_21rocsparse_index_base_PKT0_PKT1_PKS1_S2_PS3_PS6_PS1_.num_agpr, 0
	.set _ZN9rocsparseL35bsr2csr_block_dim_equals_one_kernelILj1024EiilEEvT2_S1_21rocsparse_index_base_PKT0_PKT1_PKS1_S2_PS3_PS6_PS1_.numbered_sgpr, 19
	.set _ZN9rocsparseL35bsr2csr_block_dim_equals_one_kernelILj1024EiilEEvT2_S1_21rocsparse_index_base_PKT0_PKT1_PKS1_S2_PS3_PS6_PS1_.num_named_barrier, 0
	.set _ZN9rocsparseL35bsr2csr_block_dim_equals_one_kernelILj1024EiilEEvT2_S1_21rocsparse_index_base_PKT0_PKT1_PKS1_S2_PS3_PS6_PS1_.private_seg_size, 0
	.set _ZN9rocsparseL35bsr2csr_block_dim_equals_one_kernelILj1024EiilEEvT2_S1_21rocsparse_index_base_PKT0_PKT1_PKS1_S2_PS3_PS6_PS1_.uses_vcc, 1
	.set _ZN9rocsparseL35bsr2csr_block_dim_equals_one_kernelILj1024EiilEEvT2_S1_21rocsparse_index_base_PKT0_PKT1_PKS1_S2_PS3_PS6_PS1_.uses_flat_scratch, 0
	.set _ZN9rocsparseL35bsr2csr_block_dim_equals_one_kernelILj1024EiilEEvT2_S1_21rocsparse_index_base_PKT0_PKT1_PKS1_S2_PS3_PS6_PS1_.has_dyn_sized_stack, 0
	.set _ZN9rocsparseL35bsr2csr_block_dim_equals_one_kernelILj1024EiilEEvT2_S1_21rocsparse_index_base_PKT0_PKT1_PKS1_S2_PS3_PS6_PS1_.has_recursion, 0
	.set _ZN9rocsparseL35bsr2csr_block_dim_equals_one_kernelILj1024EiilEEvT2_S1_21rocsparse_index_base_PKT0_PKT1_PKS1_S2_PS3_PS6_PS1_.has_indirect_call, 0
	.section	.AMDGPU.csdata,"",@progbits
; Kernel info:
; codeLenInByte = 536
; TotalNumSgprs: 21
; NumVgprs: 13
; ScratchSize: 0
; MemoryBound: 0
; FloatMode: 240
; IeeeMode: 1
; LDSByteSize: 0 bytes/workgroup (compile time only)
; SGPRBlocks: 0
; VGPRBlocks: 0
; NumSGPRsForWavesPerEU: 21
; NumVGPRsForWavesPerEU: 13
; NamedBarCnt: 0
; Occupancy: 16
; WaveLimiterHint : 0
; COMPUTE_PGM_RSRC2:SCRATCH_EN: 0
; COMPUTE_PGM_RSRC2:USER_SGPR: 2
; COMPUTE_PGM_RSRC2:TRAP_HANDLER: 0
; COMPUTE_PGM_RSRC2:TGID_X_EN: 1
; COMPUTE_PGM_RSRC2:TGID_Y_EN: 0
; COMPUTE_PGM_RSRC2:TGID_Z_EN: 0
; COMPUTE_PGM_RSRC2:TIDIG_COMP_CNT: 0
	.section	.text._ZN9rocsparseL32bsr2csr_block_per_row_2_7_kernelILj256ELj2EiilEEv20rocsparse_direction_T3_S2_21rocsparse_index_base_PKT1_PKT2_PKS2_S2_S3_PS4_PS7_PS2_,"axG",@progbits,_ZN9rocsparseL32bsr2csr_block_per_row_2_7_kernelILj256ELj2EiilEEv20rocsparse_direction_T3_S2_21rocsparse_index_base_PKT1_PKT2_PKS2_S2_S3_PS4_PS7_PS2_,comdat
	.globl	_ZN9rocsparseL32bsr2csr_block_per_row_2_7_kernelILj256ELj2EiilEEv20rocsparse_direction_T3_S2_21rocsparse_index_base_PKT1_PKT2_PKS2_S2_S3_PS4_PS7_PS2_ ; -- Begin function _ZN9rocsparseL32bsr2csr_block_per_row_2_7_kernelILj256ELj2EiilEEv20rocsparse_direction_T3_S2_21rocsparse_index_base_PKT1_PKT2_PKS2_S2_S3_PS4_PS7_PS2_
	.p2align	8
	.type	_ZN9rocsparseL32bsr2csr_block_per_row_2_7_kernelILj256ELj2EiilEEv20rocsparse_direction_T3_S2_21rocsparse_index_base_PKT1_PKT2_PKS2_S2_S3_PS4_PS7_PS2_,@function
_ZN9rocsparseL32bsr2csr_block_per_row_2_7_kernelILj256ELj2EiilEEv20rocsparse_direction_T3_S2_21rocsparse_index_base_PKT1_PKT2_PKS2_S2_S3_PS4_PS7_PS2_: ; @_ZN9rocsparseL32bsr2csr_block_per_row_2_7_kernelILj256ELj2EiilEEv20rocsparse_direction_T3_S2_21rocsparse_index_base_PKT1_PKT2_PKS2_S2_S3_PS4_PS7_PS2_
; %bb.0:
	s_load_b64 s[4:5], s[0:1], 0x28
	s_bfe_u32 s2, ttmp6, 0x4000c
	s_and_b32 s3, ttmp6, 15
	s_add_co_i32 s2, s2, 1
	s_getreg_b32 s6, hwreg(HW_REG_IB_STS2, 6, 4)
	s_mul_i32 s2, ttmp9, s2
	s_mov_b32 s7, 0
	s_add_co_i32 s3, s3, s2
	s_cmp_eq_u32 s6, 0
	s_clause 0x1
	s_load_b32 s2, s[0:1], 0x40
	s_load_b64 s[8:9], s[0:1], 0x50
	s_cselect_b32 s6, ttmp9, s3
	s_mov_b32 s3, exec_lo
	s_lshl_b64 s[10:11], s[6:7], 2
	v_or_b32_e32 v1, s6, v0
	s_wait_kmcnt 0x0
	s_add_nc_u64 s[4:5], s[4:5], s[10:11]
	s_load_b64 s[14:15], s[4:5], 0x0
	s_delay_alu instid0(VALU_DEP_1)
	v_cmpx_eq_u32_e32 0, v1
	s_cbranch_execz .LBB27_2
; %bb.1:
	v_dual_mov_b32 v1, 0 :: v_dual_mov_b32 v2, s2
	global_store_b32 v1, v2, s[8:9]
.LBB27_2:
	s_wait_xcnt 0x0
	s_or_b32 exec_lo, exec_lo, s3
	s_load_b32 s4, s[0:1], 0x18
	v_dual_lshrrev_b32 v0, 1, v0 :: v_dual_bitop2_b32 v8, 1, v0 bitop3:0x40
	s_lshl_b64 s[6:7], s[6:7], 3
	s_delay_alu instid0(SALU_CYCLE_1)
	s_add_nc_u64 s[6:7], s[8:9], s[6:7]
	s_wait_kmcnt 0x0
	s_sub_co_i32 s3, s14, s4
	s_sub_co_i32 s15, s15, s4
	s_lshl_b32 s10, s3, 2
	s_sub_co_i32 s5, s15, s3
	v_add_nc_u32_e32 v9, s3, v0
	s_lshl_b32 s5, s5, 1
	s_mov_b32 s3, exec_lo
	v_mul_lo_u32 v2, s5, v8
	s_add_co_i32 s5, s5, s2
	s_delay_alu instid0(VALU_DEP_1) | instid1(SALU_CYCLE_1)
	v_add3_u32 v1, s5, s10, v2
	global_store_b32 v8, v1, s[6:7] offset:4 scale_offset
	s_wait_xcnt 0x0
	v_cmpx_gt_i32_e64 s15, v9
	s_cbranch_execz .LBB27_5
; %bb.3:
	s_clause 0x4
	s_load_b64 s[6:7], s[0:1], 0x30
	s_load_b64 s[8:9], s[0:1], 0x48
	s_load_b32 s3, s[0:1], 0x0
	s_load_b64 s[10:11], s[0:1], 0x20
	s_load_b64 s[12:13], s[0:1], 0x58
	v_dual_lshlrev_b32 v3, 1, v0 :: v_dual_mov_b32 v1, 0
	v_dual_lshlrev_b32 v0, 3, v8 :: v_dual_lshlrev_b32 v6, 2, v9
	s_mov_b32 s5, 0
	s_wait_xcnt 0x0
	s_mov_b32 s1, s5
	s_wait_kmcnt 0x0
	s_cmp_eq_u32 s3, 0
	s_mov_b32 s3, s5
	s_cselect_b32 vcc_lo, -1, 0
	s_lshl_b32 s0, s14, 2
	s_delay_alu instid0(SALU_CYCLE_1) | instskip(SKIP_2) | instid1(VALU_DEP_2)
	v_add3_u32 v4, v2, s0, v3
	s_lshl_b32 s0, s4, 2
	v_add_nc_u64_e32 v[2:3], s[10:11], v[0:1]
	v_subrev_nc_u32_e32 v4, s0, v4
.LBB27_4:                               ; =>This Inner Loop Header: Depth=1
	v_dual_mov_b32 v7, v1 :: v_dual_add_nc_u32 v0, v8, v6
	global_load_b64 v[10:11], v9, s[6:7] scale_offset
	s_wait_xcnt 0x0
	v_add_nc_u32_e32 v9, 0x80, v9
	v_ashrrev_i32_e32 v5, 31, v4
	v_lshl_add_u64 v[14:15], v[0:1], 2, s[10:11]
	v_lshl_add_u64 v[12:13], v[6:7], 2, v[2:3]
	v_add_nc_u32_e32 v6, 0x200, v6
	v_cmp_le_i32_e64 s0, s15, v9
	s_delay_alu instid0(VALU_DEP_4) | instskip(NEXT) | instid1(VALU_DEP_4)
	v_add_nc_u64_e32 v[18:19], 8, v[14:15]
	v_add_nc_u64_e32 v[16:17], 4, v[12:13]
	v_dual_cndmask_b32 v13, v15, v13 :: v_dual_cndmask_b32 v12, v14, v12
	s_or_b32 s1, s0, s1
	s_delay_alu instid0(VALU_DEP_2)
	v_dual_cndmask_b32 v15, v19, v17 :: v_dual_cndmask_b32 v14, v18, v16
	v_lshl_add_u64 v[18:19], v[4:5], 2, s[8:9]
	global_load_b32 v16, v[12:13], off
	global_load_b32 v17, v[14:15], off
	s_wait_xcnt 0x0
	v_lshl_add_u64 v[14:15], v[4:5], 3, s[12:13]
	v_add_nc_u32_e32 v4, 0x100, v4
	s_wait_loadcnt 0x2
	v_sub_nc_u64_e64 v[10:11], v[10:11], s[4:5]
	s_delay_alu instid0(VALU_DEP_1) | instskip(NEXT) | instid1(VALU_DEP_1)
	v_lshl_add_u64 v[10:11], v[10:11], 1, s[2:3]
	v_add_nc_u64_e32 v[12:13], 1, v[10:11]
	global_store_b128 v[14:15], v[10:13], off
	s_wait_loadcnt 0x0
	global_store_b64 v[18:19], v[16:17], off
	s_wait_xcnt 0x0
	s_and_not1_b32 exec_lo, exec_lo, s1
	s_cbranch_execnz .LBB27_4
.LBB27_5:
	s_endpgm
	.section	.rodata,"a",@progbits
	.p2align	6, 0x0
	.amdhsa_kernel _ZN9rocsparseL32bsr2csr_block_per_row_2_7_kernelILj256ELj2EiilEEv20rocsparse_direction_T3_S2_21rocsparse_index_base_PKT1_PKT2_PKS2_S2_S3_PS4_PS7_PS2_
		.amdhsa_group_segment_fixed_size 0
		.amdhsa_private_segment_fixed_size 0
		.amdhsa_kernarg_size 96
		.amdhsa_user_sgpr_count 2
		.amdhsa_user_sgpr_dispatch_ptr 0
		.amdhsa_user_sgpr_queue_ptr 0
		.amdhsa_user_sgpr_kernarg_segment_ptr 1
		.amdhsa_user_sgpr_dispatch_id 0
		.amdhsa_user_sgpr_kernarg_preload_length 0
		.amdhsa_user_sgpr_kernarg_preload_offset 0
		.amdhsa_user_sgpr_private_segment_size 0
		.amdhsa_wavefront_size32 1
		.amdhsa_uses_dynamic_stack 0
		.amdhsa_enable_private_segment 0
		.amdhsa_system_sgpr_workgroup_id_x 1
		.amdhsa_system_sgpr_workgroup_id_y 0
		.amdhsa_system_sgpr_workgroup_id_z 0
		.amdhsa_system_sgpr_workgroup_info 0
		.amdhsa_system_vgpr_workitem_id 0
		.amdhsa_next_free_vgpr 20
		.amdhsa_next_free_sgpr 16
		.amdhsa_named_barrier_count 0
		.amdhsa_reserve_vcc 1
		.amdhsa_float_round_mode_32 0
		.amdhsa_float_round_mode_16_64 0
		.amdhsa_float_denorm_mode_32 3
		.amdhsa_float_denorm_mode_16_64 3
		.amdhsa_fp16_overflow 0
		.amdhsa_memory_ordered 1
		.amdhsa_forward_progress 1
		.amdhsa_inst_pref_size 5
		.amdhsa_round_robin_scheduling 0
		.amdhsa_exception_fp_ieee_invalid_op 0
		.amdhsa_exception_fp_denorm_src 0
		.amdhsa_exception_fp_ieee_div_zero 0
		.amdhsa_exception_fp_ieee_overflow 0
		.amdhsa_exception_fp_ieee_underflow 0
		.amdhsa_exception_fp_ieee_inexact 0
		.amdhsa_exception_int_div_zero 0
	.end_amdhsa_kernel
	.section	.text._ZN9rocsparseL32bsr2csr_block_per_row_2_7_kernelILj256ELj2EiilEEv20rocsparse_direction_T3_S2_21rocsparse_index_base_PKT1_PKT2_PKS2_S2_S3_PS4_PS7_PS2_,"axG",@progbits,_ZN9rocsparseL32bsr2csr_block_per_row_2_7_kernelILj256ELj2EiilEEv20rocsparse_direction_T3_S2_21rocsparse_index_base_PKT1_PKT2_PKS2_S2_S3_PS4_PS7_PS2_,comdat
.Lfunc_end27:
	.size	_ZN9rocsparseL32bsr2csr_block_per_row_2_7_kernelILj256ELj2EiilEEv20rocsparse_direction_T3_S2_21rocsparse_index_base_PKT1_PKT2_PKS2_S2_S3_PS4_PS7_PS2_, .Lfunc_end27-_ZN9rocsparseL32bsr2csr_block_per_row_2_7_kernelILj256ELj2EiilEEv20rocsparse_direction_T3_S2_21rocsparse_index_base_PKT1_PKT2_PKS2_S2_S3_PS4_PS7_PS2_
                                        ; -- End function
	.set _ZN9rocsparseL32bsr2csr_block_per_row_2_7_kernelILj256ELj2EiilEEv20rocsparse_direction_T3_S2_21rocsparse_index_base_PKT1_PKT2_PKS2_S2_S3_PS4_PS7_PS2_.num_vgpr, 20
	.set _ZN9rocsparseL32bsr2csr_block_per_row_2_7_kernelILj256ELj2EiilEEv20rocsparse_direction_T3_S2_21rocsparse_index_base_PKT1_PKT2_PKS2_S2_S3_PS4_PS7_PS2_.num_agpr, 0
	.set _ZN9rocsparseL32bsr2csr_block_per_row_2_7_kernelILj256ELj2EiilEEv20rocsparse_direction_T3_S2_21rocsparse_index_base_PKT1_PKT2_PKS2_S2_S3_PS4_PS7_PS2_.numbered_sgpr, 16
	.set _ZN9rocsparseL32bsr2csr_block_per_row_2_7_kernelILj256ELj2EiilEEv20rocsparse_direction_T3_S2_21rocsparse_index_base_PKT1_PKT2_PKS2_S2_S3_PS4_PS7_PS2_.num_named_barrier, 0
	.set _ZN9rocsparseL32bsr2csr_block_per_row_2_7_kernelILj256ELj2EiilEEv20rocsparse_direction_T3_S2_21rocsparse_index_base_PKT1_PKT2_PKS2_S2_S3_PS4_PS7_PS2_.private_seg_size, 0
	.set _ZN9rocsparseL32bsr2csr_block_per_row_2_7_kernelILj256ELj2EiilEEv20rocsparse_direction_T3_S2_21rocsparse_index_base_PKT1_PKT2_PKS2_S2_S3_PS4_PS7_PS2_.uses_vcc, 1
	.set _ZN9rocsparseL32bsr2csr_block_per_row_2_7_kernelILj256ELj2EiilEEv20rocsparse_direction_T3_S2_21rocsparse_index_base_PKT1_PKT2_PKS2_S2_S3_PS4_PS7_PS2_.uses_flat_scratch, 0
	.set _ZN9rocsparseL32bsr2csr_block_per_row_2_7_kernelILj256ELj2EiilEEv20rocsparse_direction_T3_S2_21rocsparse_index_base_PKT1_PKT2_PKS2_S2_S3_PS4_PS7_PS2_.has_dyn_sized_stack, 0
	.set _ZN9rocsparseL32bsr2csr_block_per_row_2_7_kernelILj256ELj2EiilEEv20rocsparse_direction_T3_S2_21rocsparse_index_base_PKT1_PKT2_PKS2_S2_S3_PS4_PS7_PS2_.has_recursion, 0
	.set _ZN9rocsparseL32bsr2csr_block_per_row_2_7_kernelILj256ELj2EiilEEv20rocsparse_direction_T3_S2_21rocsparse_index_base_PKT1_PKT2_PKS2_S2_S3_PS4_PS7_PS2_.has_indirect_call, 0
	.section	.AMDGPU.csdata,"",@progbits
; Kernel info:
; codeLenInByte = 604
; TotalNumSgprs: 18
; NumVgprs: 20
; ScratchSize: 0
; MemoryBound: 0
; FloatMode: 240
; IeeeMode: 1
; LDSByteSize: 0 bytes/workgroup (compile time only)
; SGPRBlocks: 0
; VGPRBlocks: 1
; NumSGPRsForWavesPerEU: 18
; NumVGPRsForWavesPerEU: 20
; NamedBarCnt: 0
; Occupancy: 16
; WaveLimiterHint : 0
; COMPUTE_PGM_RSRC2:SCRATCH_EN: 0
; COMPUTE_PGM_RSRC2:USER_SGPR: 2
; COMPUTE_PGM_RSRC2:TRAP_HANDLER: 0
; COMPUTE_PGM_RSRC2:TGID_X_EN: 1
; COMPUTE_PGM_RSRC2:TGID_Y_EN: 0
; COMPUTE_PGM_RSRC2:TGID_Z_EN: 0
; COMPUTE_PGM_RSRC2:TIDIG_COMP_CNT: 0
	.section	.text._ZN9rocsparseL32bsr2csr_block_per_row_2_7_kernelILj256ELj3EiilEEv20rocsparse_direction_T3_S2_21rocsparse_index_base_PKT1_PKT2_PKS2_S2_S3_PS4_PS7_PS2_,"axG",@progbits,_ZN9rocsparseL32bsr2csr_block_per_row_2_7_kernelILj256ELj3EiilEEv20rocsparse_direction_T3_S2_21rocsparse_index_base_PKT1_PKT2_PKS2_S2_S3_PS4_PS7_PS2_,comdat
	.globl	_ZN9rocsparseL32bsr2csr_block_per_row_2_7_kernelILj256ELj3EiilEEv20rocsparse_direction_T3_S2_21rocsparse_index_base_PKT1_PKT2_PKS2_S2_S3_PS4_PS7_PS2_ ; -- Begin function _ZN9rocsparseL32bsr2csr_block_per_row_2_7_kernelILj256ELj3EiilEEv20rocsparse_direction_T3_S2_21rocsparse_index_base_PKT1_PKT2_PKS2_S2_S3_PS4_PS7_PS2_
	.p2align	8
	.type	_ZN9rocsparseL32bsr2csr_block_per_row_2_7_kernelILj256ELj3EiilEEv20rocsparse_direction_T3_S2_21rocsparse_index_base_PKT1_PKT2_PKS2_S2_S3_PS4_PS7_PS2_,@function
_ZN9rocsparseL32bsr2csr_block_per_row_2_7_kernelILj256ELj3EiilEEv20rocsparse_direction_T3_S2_21rocsparse_index_base_PKT1_PKT2_PKS2_S2_S3_PS4_PS7_PS2_: ; @_ZN9rocsparseL32bsr2csr_block_per_row_2_7_kernelILj256ELj3EiilEEv20rocsparse_direction_T3_S2_21rocsparse_index_base_PKT1_PKT2_PKS2_S2_S3_PS4_PS7_PS2_
; %bb.0:
	s_clause 0x1
	s_load_b32 s2, s[0:1], 0x40
	s_load_b64 s[6:7], s[0:1], 0x50
	s_bfe_u32 s3, ttmp6, 0x4000c
	s_and_b32 s4, ttmp6, 15
	s_add_co_i32 s3, s3, 1
	s_getreg_b32 s5, hwreg(HW_REG_IB_STS2, 6, 4)
	s_mul_i32 s3, ttmp9, s3
	s_mov_b32 s9, 0
	s_add_co_i32 s4, s4, s3
	s_cmp_eq_u32 s5, 0
	s_mov_b32 s3, exec_lo
	s_cselect_b32 s8, ttmp9, s4
	s_delay_alu instid0(SALU_CYCLE_1) | instskip(NEXT) | instid1(VALU_DEP_1)
	v_or_b32_e32 v1, s8, v0
	v_cmpx_eq_u32_e32 0, v1
	s_cbranch_execz .LBB28_2
; %bb.1:
	s_wait_kmcnt 0x0
	v_dual_mov_b32 v1, 0 :: v_dual_mov_b32 v2, s2
	global_store_b32 v1, v2, s[6:7]
.LBB28_2:
	s_wait_xcnt 0x0
	s_or_b32 exec_lo, exec_lo, s3
	v_and_b32_e32 v4, 3, v0
	s_mov_b32 s3, exec_lo
	s_delay_alu instid0(VALU_DEP_1)
	v_cmpx_ne_u32_e32 3, v4
	s_cbranch_execz .LBB28_6
; %bb.3:
	s_clause 0x1
	s_load_b64 s[10:11], s[0:1], 0x28
	s_load_b32 s4, s[0:1], 0x18
	s_lshl_b64 s[12:13], s[8:9], 2
	v_lshrrev_b32_e32 v2, 2, v0
	s_mul_u64 s[8:9], s[8:9], 12
	s_wait_kmcnt 0x0
	s_add_nc_u64 s[6:7], s[6:7], s[8:9]
	s_add_nc_u64 s[10:11], s[10:11], s[12:13]
	s_load_b64 s[12:13], s[10:11], 0x0
	s_wait_kmcnt 0x0
	s_sub_co_i32 s3, s12, s4
	s_sub_co_i32 s13, s13, s4
	v_add_nc_u32_e32 v8, s3, v2
	s_sub_co_i32 s5, s13, s3
	s_mul_i32 s10, s3, 9
	s_mul_i32 s5, s5, 3
	s_delay_alu instid0(SALU_CYCLE_1) | instskip(SKIP_2) | instid1(VALU_DEP_2)
	v_mul_lo_u32 v5, s5, v4
	s_add_co_i32 s5, s5, s2
	v_cmp_gt_i32_e32 vcc_lo, s13, v8
	v_add3_u32 v0, s5, s10, v5
	global_store_b32 v4, v0, s[6:7] offset:4 scale_offset
	s_wait_xcnt 0x0
	s_and_b32 exec_lo, exec_lo, vcc_lo
	s_cbranch_execz .LBB28_6
; %bb.4:
	s_clause 0x4
	s_load_b64 s[6:7], s[0:1], 0x48
	s_load_b64 s[14:15], s[0:1], 0x20
	s_load_b32 s3, s[0:1], 0x0
	s_load_b64 s[8:9], s[0:1], 0x30
	s_load_b64 s[10:11], s[0:1], 0x58
	v_dual_mov_b32 v1, 0 :: v_dual_lshlrev_b32 v0, 2, v4
	v_mul_u32_u24_e32 v6, 3, v2
	s_wait_xcnt 0x0
	s_mul_i32 s0, s12, 9
	s_mov_b32 s5, 0
	s_delay_alu instid0(SALU_CYCLE_1)
	s_mov_b32 s1, s5
	v_add3_u32 v6, v5, s0, v6
	s_mul_i32 s0, s4, 9
	s_delay_alu instid0(VALU_DEP_1) | instid1(SALU_CYCLE_1)
	v_subrev_nc_u32_e32 v6, s0, v6
	s_wait_kmcnt 0x0
	v_add_nc_u64_e32 v[2:3], s[14:15], v[0:1]
	v_lshlrev_b32_e32 v0, 3, v4
	s_cmp_eq_u32 s3, 0
	s_mov_b32 s3, s5
	s_cselect_b32 vcc_lo, -1, 0
	s_delay_alu instid0(VALU_DEP_1)
	v_add_nc_u64_e32 v[4:5], v[2:3], v[0:1]
	v_lshl_add_u32 v0, v8, 3, v8
.LBB28_5:                               ; =>This Inner Loop Header: Depth=1
	global_load_b64 v[10:11], v8, s[8:9] scale_offset
	v_lshlrev_b64_e32 v[12:13], 2, v[0:1]
	s_wait_xcnt 0x0
	v_dual_ashrrev_i32 v7, 31, v6 :: v_dual_add_nc_u32 v8, 64, v8
	v_add_nc_u32_e32 v0, 0x240, v0
	s_delay_alu instid0(VALU_DEP_2) | instskip(NEXT) | instid1(VALU_DEP_4)
	v_cmp_le_i32_e64 s0, s13, v8
	v_add_nc_u64_e32 v[14:15], v[4:5], v[12:13]
	v_add_nc_u64_e32 v[12:13], v[2:3], v[12:13]
	s_or_b32 s1, s0, s1
	s_delay_alu instid0(VALU_DEP_2) | instskip(NEXT) | instid1(VALU_DEP_2)
	v_add_nc_u64_e32 v[16:17], 4, v[14:15]
	v_add_nc_u64_e32 v[18:19], 12, v[12:13]
	v_add_nc_u64_e32 v[20:21], 8, v[14:15]
	v_add_nc_u64_e32 v[22:23], 24, v[12:13]
	v_dual_cndmask_b32 v13, v13, v15 :: v_dual_cndmask_b32 v12, v12, v14
	s_delay_alu instid0(VALU_DEP_4) | instskip(NEXT) | instid1(VALU_DEP_3)
	v_dual_cndmask_b32 v19, v19, v17 :: v_dual_cndmask_b32 v18, v18, v16
	v_dual_cndmask_b32 v21, v23, v21 :: v_dual_cndmask_b32 v20, v22, v20
	global_load_b32 v14, v[12:13], off
	global_load_b32 v15, v[18:19], off
	global_load_b32 v16, v[20:21], off
	s_wait_xcnt 0x0
	v_lshl_add_u64 v[20:21], v[6:7], 3, s[10:11]
	v_lshl_add_u64 v[22:23], v[6:7], 2, s[6:7]
	s_wait_loadcnt 0x3
	v_sub_nc_u64_e64 v[12:13], v[10:11], s[4:5]
	s_delay_alu instid0(VALU_DEP_1) | instskip(NEXT) | instid1(VALU_DEP_1)
	v_mad_nc_u64_u32 v[10:11], v12, 3, s[2:3]
	v_mad_u32 v11, v13, 3, v11
	s_delay_alu instid0(VALU_DEP_1)
	v_add_nc_u64_e32 v[18:19], 2, v[10:11]
	v_add_nc_u64_e32 v[12:13], 1, v[10:11]
	s_wait_loadcnt 0x0
	global_store_b96 v[22:23], v[14:16], off
	s_clause 0x1
	global_store_b64 v6, v[18:19], s[10:11] offset:16 scale_offset
	global_store_b128 v[20:21], v[10:13], off
	s_wait_xcnt 0x1
	v_add_nc_u32_e32 v6, 0xc0, v6
	s_wait_xcnt 0x0
	s_and_not1_b32 exec_lo, exec_lo, s1
	s_cbranch_execnz .LBB28_5
.LBB28_6:
	s_endpgm
	.section	.rodata,"a",@progbits
	.p2align	6, 0x0
	.amdhsa_kernel _ZN9rocsparseL32bsr2csr_block_per_row_2_7_kernelILj256ELj3EiilEEv20rocsparse_direction_T3_S2_21rocsparse_index_base_PKT1_PKT2_PKS2_S2_S3_PS4_PS7_PS2_
		.amdhsa_group_segment_fixed_size 0
		.amdhsa_private_segment_fixed_size 0
		.amdhsa_kernarg_size 96
		.amdhsa_user_sgpr_count 2
		.amdhsa_user_sgpr_dispatch_ptr 0
		.amdhsa_user_sgpr_queue_ptr 0
		.amdhsa_user_sgpr_kernarg_segment_ptr 1
		.amdhsa_user_sgpr_dispatch_id 0
		.amdhsa_user_sgpr_kernarg_preload_length 0
		.amdhsa_user_sgpr_kernarg_preload_offset 0
		.amdhsa_user_sgpr_private_segment_size 0
		.amdhsa_wavefront_size32 1
		.amdhsa_uses_dynamic_stack 0
		.amdhsa_enable_private_segment 0
		.amdhsa_system_sgpr_workgroup_id_x 1
		.amdhsa_system_sgpr_workgroup_id_y 0
		.amdhsa_system_sgpr_workgroup_id_z 0
		.amdhsa_system_sgpr_workgroup_info 0
		.amdhsa_system_vgpr_workitem_id 0
		.amdhsa_next_free_vgpr 24
		.amdhsa_next_free_sgpr 16
		.amdhsa_named_barrier_count 0
		.amdhsa_reserve_vcc 1
		.amdhsa_float_round_mode_32 0
		.amdhsa_float_round_mode_16_64 0
		.amdhsa_float_denorm_mode_32 3
		.amdhsa_float_denorm_mode_16_64 3
		.amdhsa_fp16_overflow 0
		.amdhsa_memory_ordered 1
		.amdhsa_forward_progress 1
		.amdhsa_inst_pref_size 6
		.amdhsa_round_robin_scheduling 0
		.amdhsa_exception_fp_ieee_invalid_op 0
		.amdhsa_exception_fp_denorm_src 0
		.amdhsa_exception_fp_ieee_div_zero 0
		.amdhsa_exception_fp_ieee_overflow 0
		.amdhsa_exception_fp_ieee_underflow 0
		.amdhsa_exception_fp_ieee_inexact 0
		.amdhsa_exception_int_div_zero 0
	.end_amdhsa_kernel
	.section	.text._ZN9rocsparseL32bsr2csr_block_per_row_2_7_kernelILj256ELj3EiilEEv20rocsparse_direction_T3_S2_21rocsparse_index_base_PKT1_PKT2_PKS2_S2_S3_PS4_PS7_PS2_,"axG",@progbits,_ZN9rocsparseL32bsr2csr_block_per_row_2_7_kernelILj256ELj3EiilEEv20rocsparse_direction_T3_S2_21rocsparse_index_base_PKT1_PKT2_PKS2_S2_S3_PS4_PS7_PS2_,comdat
.Lfunc_end28:
	.size	_ZN9rocsparseL32bsr2csr_block_per_row_2_7_kernelILj256ELj3EiilEEv20rocsparse_direction_T3_S2_21rocsparse_index_base_PKT1_PKT2_PKS2_S2_S3_PS4_PS7_PS2_, .Lfunc_end28-_ZN9rocsparseL32bsr2csr_block_per_row_2_7_kernelILj256ELj3EiilEEv20rocsparse_direction_T3_S2_21rocsparse_index_base_PKT1_PKT2_PKS2_S2_S3_PS4_PS7_PS2_
                                        ; -- End function
	.set _ZN9rocsparseL32bsr2csr_block_per_row_2_7_kernelILj256ELj3EiilEEv20rocsparse_direction_T3_S2_21rocsparse_index_base_PKT1_PKT2_PKS2_S2_S3_PS4_PS7_PS2_.num_vgpr, 24
	.set _ZN9rocsparseL32bsr2csr_block_per_row_2_7_kernelILj256ELj3EiilEEv20rocsparse_direction_T3_S2_21rocsparse_index_base_PKT1_PKT2_PKS2_S2_S3_PS4_PS7_PS2_.num_agpr, 0
	.set _ZN9rocsparseL32bsr2csr_block_per_row_2_7_kernelILj256ELj3EiilEEv20rocsparse_direction_T3_S2_21rocsparse_index_base_PKT1_PKT2_PKS2_S2_S3_PS4_PS7_PS2_.numbered_sgpr, 16
	.set _ZN9rocsparseL32bsr2csr_block_per_row_2_7_kernelILj256ELj3EiilEEv20rocsparse_direction_T3_S2_21rocsparse_index_base_PKT1_PKT2_PKS2_S2_S3_PS4_PS7_PS2_.num_named_barrier, 0
	.set _ZN9rocsparseL32bsr2csr_block_per_row_2_7_kernelILj256ELj3EiilEEv20rocsparse_direction_T3_S2_21rocsparse_index_base_PKT1_PKT2_PKS2_S2_S3_PS4_PS7_PS2_.private_seg_size, 0
	.set _ZN9rocsparseL32bsr2csr_block_per_row_2_7_kernelILj256ELj3EiilEEv20rocsparse_direction_T3_S2_21rocsparse_index_base_PKT1_PKT2_PKS2_S2_S3_PS4_PS7_PS2_.uses_vcc, 1
	.set _ZN9rocsparseL32bsr2csr_block_per_row_2_7_kernelILj256ELj3EiilEEv20rocsparse_direction_T3_S2_21rocsparse_index_base_PKT1_PKT2_PKS2_S2_S3_PS4_PS7_PS2_.uses_flat_scratch, 0
	.set _ZN9rocsparseL32bsr2csr_block_per_row_2_7_kernelILj256ELj3EiilEEv20rocsparse_direction_T3_S2_21rocsparse_index_base_PKT1_PKT2_PKS2_S2_S3_PS4_PS7_PS2_.has_dyn_sized_stack, 0
	.set _ZN9rocsparseL32bsr2csr_block_per_row_2_7_kernelILj256ELj3EiilEEv20rocsparse_direction_T3_S2_21rocsparse_index_base_PKT1_PKT2_PKS2_S2_S3_PS4_PS7_PS2_.has_recursion, 0
	.set _ZN9rocsparseL32bsr2csr_block_per_row_2_7_kernelILj256ELj3EiilEEv20rocsparse_direction_T3_S2_21rocsparse_index_base_PKT1_PKT2_PKS2_S2_S3_PS4_PS7_PS2_.has_indirect_call, 0
	.section	.AMDGPU.csdata,"",@progbits
; Kernel info:
; codeLenInByte = 684
; TotalNumSgprs: 18
; NumVgprs: 24
; ScratchSize: 0
; MemoryBound: 0
; FloatMode: 240
; IeeeMode: 1
; LDSByteSize: 0 bytes/workgroup (compile time only)
; SGPRBlocks: 0
; VGPRBlocks: 1
; NumSGPRsForWavesPerEU: 18
; NumVGPRsForWavesPerEU: 24
; NamedBarCnt: 0
; Occupancy: 16
; WaveLimiterHint : 0
; COMPUTE_PGM_RSRC2:SCRATCH_EN: 0
; COMPUTE_PGM_RSRC2:USER_SGPR: 2
; COMPUTE_PGM_RSRC2:TRAP_HANDLER: 0
; COMPUTE_PGM_RSRC2:TGID_X_EN: 1
; COMPUTE_PGM_RSRC2:TGID_Y_EN: 0
; COMPUTE_PGM_RSRC2:TGID_Z_EN: 0
; COMPUTE_PGM_RSRC2:TIDIG_COMP_CNT: 0
	.section	.text._ZN9rocsparseL32bsr2csr_block_per_row_2_7_kernelILj256ELj4EiilEEv20rocsparse_direction_T3_S2_21rocsparse_index_base_PKT1_PKT2_PKS2_S2_S3_PS4_PS7_PS2_,"axG",@progbits,_ZN9rocsparseL32bsr2csr_block_per_row_2_7_kernelILj256ELj4EiilEEv20rocsparse_direction_T3_S2_21rocsparse_index_base_PKT1_PKT2_PKS2_S2_S3_PS4_PS7_PS2_,comdat
	.globl	_ZN9rocsparseL32bsr2csr_block_per_row_2_7_kernelILj256ELj4EiilEEv20rocsparse_direction_T3_S2_21rocsparse_index_base_PKT1_PKT2_PKS2_S2_S3_PS4_PS7_PS2_ ; -- Begin function _ZN9rocsparseL32bsr2csr_block_per_row_2_7_kernelILj256ELj4EiilEEv20rocsparse_direction_T3_S2_21rocsparse_index_base_PKT1_PKT2_PKS2_S2_S3_PS4_PS7_PS2_
	.p2align	8
	.type	_ZN9rocsparseL32bsr2csr_block_per_row_2_7_kernelILj256ELj4EiilEEv20rocsparse_direction_T3_S2_21rocsparse_index_base_PKT1_PKT2_PKS2_S2_S3_PS4_PS7_PS2_,@function
_ZN9rocsparseL32bsr2csr_block_per_row_2_7_kernelILj256ELj4EiilEEv20rocsparse_direction_T3_S2_21rocsparse_index_base_PKT1_PKT2_PKS2_S2_S3_PS4_PS7_PS2_: ; @_ZN9rocsparseL32bsr2csr_block_per_row_2_7_kernelILj256ELj4EiilEEv20rocsparse_direction_T3_S2_21rocsparse_index_base_PKT1_PKT2_PKS2_S2_S3_PS4_PS7_PS2_
; %bb.0:
	s_load_b64 s[4:5], s[0:1], 0x28
	s_bfe_u32 s2, ttmp6, 0x4000c
	s_and_b32 s3, ttmp6, 15
	s_add_co_i32 s2, s2, 1
	s_getreg_b32 s6, hwreg(HW_REG_IB_STS2, 6, 4)
	s_mul_i32 s2, ttmp9, s2
	s_mov_b32 s7, 0
	s_add_co_i32 s3, s3, s2
	s_cmp_eq_u32 s6, 0
	s_clause 0x1
	s_load_b32 s2, s[0:1], 0x40
	s_load_b64 s[8:9], s[0:1], 0x50
	s_cselect_b32 s6, ttmp9, s3
	s_mov_b32 s3, exec_lo
	s_lshl_b64 s[10:11], s[6:7], 2
	v_or_b32_e32 v1, s6, v0
	s_wait_kmcnt 0x0
	s_add_nc_u64 s[4:5], s[4:5], s[10:11]
	s_load_b64 s[14:15], s[4:5], 0x0
	s_delay_alu instid0(VALU_DEP_1)
	v_cmpx_eq_u32_e32 0, v1
	s_cbranch_execz .LBB29_2
; %bb.1:
	v_dual_mov_b32 v1, 0 :: v_dual_mov_b32 v2, s2
	global_store_b32 v1, v2, s[8:9]
.LBB29_2:
	s_wait_xcnt 0x0
	s_or_b32 exec_lo, exec_lo, s3
	s_load_b32 s4, s[0:1], 0x18
	v_dual_lshrrev_b32 v0, 2, v0 :: v_dual_bitop2_b32 v8, 3, v0 bitop3:0x40
	s_lshl_b64 s[6:7], s[6:7], 4
	s_delay_alu instid0(SALU_CYCLE_1)
	s_add_nc_u64 s[6:7], s[8:9], s[6:7]
	s_wait_kmcnt 0x0
	s_sub_co_i32 s3, s14, s4
	s_sub_co_i32 s15, s15, s4
	s_lshl_b32 s10, s3, 4
	s_sub_co_i32 s5, s15, s3
	v_add_nc_u32_e32 v9, s3, v0
	s_lshl_b32 s5, s5, 2
	s_mov_b32 s3, exec_lo
	v_mul_lo_u32 v2, s5, v8
	s_add_co_i32 s5, s5, s2
	s_delay_alu instid0(VALU_DEP_1) | instid1(SALU_CYCLE_1)
	v_add3_u32 v1, s5, s10, v2
	global_store_b32 v8, v1, s[6:7] offset:4 scale_offset
	s_wait_xcnt 0x0
	v_cmpx_gt_i32_e64 s15, v9
	s_cbranch_execz .LBB29_5
; %bb.3:
	s_clause 0x4
	s_load_b64 s[6:7], s[0:1], 0x30
	s_load_b64 s[8:9], s[0:1], 0x48
	s_load_b32 s3, s[0:1], 0x0
	s_load_b64 s[10:11], s[0:1], 0x20
	s_load_b64 s[12:13], s[0:1], 0x58
	v_dual_lshlrev_b32 v3, 2, v0 :: v_dual_mov_b32 v1, 0
	v_dual_lshlrev_b32 v0, 4, v8 :: v_dual_lshlrev_b32 v6, 4, v9
	s_mov_b32 s5, 0
	s_wait_xcnt 0x0
	s_mov_b32 s1, s5
	s_wait_kmcnt 0x0
	s_cmp_eq_u32 s3, 0
	s_mov_b32 s3, s5
	s_cselect_b32 vcc_lo, -1, 0
	s_lshl_b32 s0, s14, 4
	s_delay_alu instid0(SALU_CYCLE_1) | instskip(SKIP_2) | instid1(VALU_DEP_2)
	v_add3_u32 v4, v2, s0, v3
	s_lshl_b32 s0, s4, 4
	v_add_nc_u64_e32 v[2:3], s[10:11], v[0:1]
	v_subrev_nc_u32_e32 v4, s0, v4
.LBB29_4:                               ; =>This Inner Loop Header: Depth=1
	v_dual_mov_b32 v7, v1 :: v_dual_add_nc_u32 v0, v8, v6
	global_load_b64 v[14:15], v9, s[6:7] scale_offset
	s_wait_xcnt 0x0
	v_dual_ashrrev_i32 v5, 31, v4 :: v_dual_add_nc_u32 v9, 64, v9
	v_lshl_add_u64 v[10:11], v[6:7], 2, v[2:3]
	v_lshl_add_u64 v[12:13], v[0:1], 2, s[10:11]
	v_add_nc_u32_e32 v6, 0x400, v6
	s_delay_alu instid0(VALU_DEP_4) | instskip(NEXT) | instid1(VALU_DEP_4)
	v_cmp_le_i32_e64 s0, s15, v9
	v_add_nc_u64_e32 v[16:17], 4, v[10:11]
	s_delay_alu instid0(VALU_DEP_4)
	v_add_nc_u64_e32 v[18:19], 16, v[12:13]
	v_add_nc_u64_e32 v[20:21], 8, v[10:11]
	;; [unrolled: 1-line block ×5, first 2 shown]
	v_dual_cndmask_b32 v29, v13, v11 :: v_dual_cndmask_b32 v28, v12, v10
	v_dual_cndmask_b32 v17, v19, v17 :: v_dual_cndmask_b32 v16, v18, v16
	;; [unrolled: 1-line block ×3, first 2 shown]
	s_delay_alu instid0(VALU_DEP_4)
	v_dual_cndmask_b32 v21, v27, v25 :: v_dual_cndmask_b32 v20, v26, v24
	global_load_b32 v10, v[28:29], off
	global_load_b32 v11, v[16:17], off
	global_load_b32 v12, v[18:19], off
	global_load_b32 v13, v[20:21], off
	v_lshl_add_u64 v[22:23], v[4:5], 3, s[12:13]
	v_lshl_add_u64 v[24:25], v[4:5], 2, s[8:9]
	v_add_nc_u32_e32 v4, 0x100, v4
	s_or_b32 s1, s0, s1
	s_wait_loadcnt 0x4
	v_sub_nc_u64_e64 v[14:15], v[14:15], s[4:5]
	s_delay_alu instid0(VALU_DEP_1) | instskip(SKIP_1) | instid1(VALU_DEP_1)
	v_lshl_add_u64 v[14:15], v[14:15], 2, s[2:3]
	s_wait_xcnt 0x2
	v_add_nc_u64_e32 v[16:17], 1, v[14:15]
	s_wait_xcnt 0x1
	v_add_nc_u64_e32 v[18:19], 2, v[14:15]
	;; [unrolled: 2-line block ×3, first 2 shown]
	s_clause 0x1
	global_store_b128 v[22:23], v[14:17], off
	global_store_b128 v[22:23], v[18:21], off offset:16
	s_wait_loadcnt 0x0
	global_store_b128 v[24:25], v[10:13], off
	s_wait_xcnt 0x0
	s_and_not1_b32 exec_lo, exec_lo, s1
	s_cbranch_execnz .LBB29_4
.LBB29_5:
	s_endpgm
	.section	.rodata,"a",@progbits
	.p2align	6, 0x0
	.amdhsa_kernel _ZN9rocsparseL32bsr2csr_block_per_row_2_7_kernelILj256ELj4EiilEEv20rocsparse_direction_T3_S2_21rocsparse_index_base_PKT1_PKT2_PKS2_S2_S3_PS4_PS7_PS2_
		.amdhsa_group_segment_fixed_size 0
		.amdhsa_private_segment_fixed_size 0
		.amdhsa_kernarg_size 96
		.amdhsa_user_sgpr_count 2
		.amdhsa_user_sgpr_dispatch_ptr 0
		.amdhsa_user_sgpr_queue_ptr 0
		.amdhsa_user_sgpr_kernarg_segment_ptr 1
		.amdhsa_user_sgpr_dispatch_id 0
		.amdhsa_user_sgpr_kernarg_preload_length 0
		.amdhsa_user_sgpr_kernarg_preload_offset 0
		.amdhsa_user_sgpr_private_segment_size 0
		.amdhsa_wavefront_size32 1
		.amdhsa_uses_dynamic_stack 0
		.amdhsa_enable_private_segment 0
		.amdhsa_system_sgpr_workgroup_id_x 1
		.amdhsa_system_sgpr_workgroup_id_y 0
		.amdhsa_system_sgpr_workgroup_id_z 0
		.amdhsa_system_sgpr_workgroup_info 0
		.amdhsa_system_vgpr_workitem_id 0
		.amdhsa_next_free_vgpr 30
		.amdhsa_next_free_sgpr 16
		.amdhsa_named_barrier_count 0
		.amdhsa_reserve_vcc 1
		.amdhsa_float_round_mode_32 0
		.amdhsa_float_round_mode_16_64 0
		.amdhsa_float_denorm_mode_32 3
		.amdhsa_float_denorm_mode_16_64 3
		.amdhsa_fp16_overflow 0
		.amdhsa_memory_ordered 1
		.amdhsa_forward_progress 1
		.amdhsa_inst_pref_size 6
		.amdhsa_round_robin_scheduling 0
		.amdhsa_exception_fp_ieee_invalid_op 0
		.amdhsa_exception_fp_denorm_src 0
		.amdhsa_exception_fp_ieee_div_zero 0
		.amdhsa_exception_fp_ieee_overflow 0
		.amdhsa_exception_fp_ieee_underflow 0
		.amdhsa_exception_fp_ieee_inexact 0
		.amdhsa_exception_int_div_zero 0
	.end_amdhsa_kernel
	.section	.text._ZN9rocsparseL32bsr2csr_block_per_row_2_7_kernelILj256ELj4EiilEEv20rocsparse_direction_T3_S2_21rocsparse_index_base_PKT1_PKT2_PKS2_S2_S3_PS4_PS7_PS2_,"axG",@progbits,_ZN9rocsparseL32bsr2csr_block_per_row_2_7_kernelILj256ELj4EiilEEv20rocsparse_direction_T3_S2_21rocsparse_index_base_PKT1_PKT2_PKS2_S2_S3_PS4_PS7_PS2_,comdat
.Lfunc_end29:
	.size	_ZN9rocsparseL32bsr2csr_block_per_row_2_7_kernelILj256ELj4EiilEEv20rocsparse_direction_T3_S2_21rocsparse_index_base_PKT1_PKT2_PKS2_S2_S3_PS4_PS7_PS2_, .Lfunc_end29-_ZN9rocsparseL32bsr2csr_block_per_row_2_7_kernelILj256ELj4EiilEEv20rocsparse_direction_T3_S2_21rocsparse_index_base_PKT1_PKT2_PKS2_S2_S3_PS4_PS7_PS2_
                                        ; -- End function
	.set _ZN9rocsparseL32bsr2csr_block_per_row_2_7_kernelILj256ELj4EiilEEv20rocsparse_direction_T3_S2_21rocsparse_index_base_PKT1_PKT2_PKS2_S2_S3_PS4_PS7_PS2_.num_vgpr, 30
	.set _ZN9rocsparseL32bsr2csr_block_per_row_2_7_kernelILj256ELj4EiilEEv20rocsparse_direction_T3_S2_21rocsparse_index_base_PKT1_PKT2_PKS2_S2_S3_PS4_PS7_PS2_.num_agpr, 0
	.set _ZN9rocsparseL32bsr2csr_block_per_row_2_7_kernelILj256ELj4EiilEEv20rocsparse_direction_T3_S2_21rocsparse_index_base_PKT1_PKT2_PKS2_S2_S3_PS4_PS7_PS2_.numbered_sgpr, 16
	.set _ZN9rocsparseL32bsr2csr_block_per_row_2_7_kernelILj256ELj4EiilEEv20rocsparse_direction_T3_S2_21rocsparse_index_base_PKT1_PKT2_PKS2_S2_S3_PS4_PS7_PS2_.num_named_barrier, 0
	.set _ZN9rocsparseL32bsr2csr_block_per_row_2_7_kernelILj256ELj4EiilEEv20rocsparse_direction_T3_S2_21rocsparse_index_base_PKT1_PKT2_PKS2_S2_S3_PS4_PS7_PS2_.private_seg_size, 0
	.set _ZN9rocsparseL32bsr2csr_block_per_row_2_7_kernelILj256ELj4EiilEEv20rocsparse_direction_T3_S2_21rocsparse_index_base_PKT1_PKT2_PKS2_S2_S3_PS4_PS7_PS2_.uses_vcc, 1
	.set _ZN9rocsparseL32bsr2csr_block_per_row_2_7_kernelILj256ELj4EiilEEv20rocsparse_direction_T3_S2_21rocsparse_index_base_PKT1_PKT2_PKS2_S2_S3_PS4_PS7_PS2_.uses_flat_scratch, 0
	.set _ZN9rocsparseL32bsr2csr_block_per_row_2_7_kernelILj256ELj4EiilEEv20rocsparse_direction_T3_S2_21rocsparse_index_base_PKT1_PKT2_PKS2_S2_S3_PS4_PS7_PS2_.has_dyn_sized_stack, 0
	.set _ZN9rocsparseL32bsr2csr_block_per_row_2_7_kernelILj256ELj4EiilEEv20rocsparse_direction_T3_S2_21rocsparse_index_base_PKT1_PKT2_PKS2_S2_S3_PS4_PS7_PS2_.has_recursion, 0
	.set _ZN9rocsparseL32bsr2csr_block_per_row_2_7_kernelILj256ELj4EiilEEv20rocsparse_direction_T3_S2_21rocsparse_index_base_PKT1_PKT2_PKS2_S2_S3_PS4_PS7_PS2_.has_indirect_call, 0
	.section	.AMDGPU.csdata,"",@progbits
; Kernel info:
; codeLenInByte = 696
; TotalNumSgprs: 18
; NumVgprs: 30
; ScratchSize: 0
; MemoryBound: 0
; FloatMode: 240
; IeeeMode: 1
; LDSByteSize: 0 bytes/workgroup (compile time only)
; SGPRBlocks: 0
; VGPRBlocks: 1
; NumSGPRsForWavesPerEU: 18
; NumVGPRsForWavesPerEU: 30
; NamedBarCnt: 0
; Occupancy: 16
; WaveLimiterHint : 0
; COMPUTE_PGM_RSRC2:SCRATCH_EN: 0
; COMPUTE_PGM_RSRC2:USER_SGPR: 2
; COMPUTE_PGM_RSRC2:TRAP_HANDLER: 0
; COMPUTE_PGM_RSRC2:TGID_X_EN: 1
; COMPUTE_PGM_RSRC2:TGID_Y_EN: 0
; COMPUTE_PGM_RSRC2:TGID_Z_EN: 0
; COMPUTE_PGM_RSRC2:TIDIG_COMP_CNT: 0
	.section	.text._ZN9rocsparseL32bsr2csr_block_per_row_2_7_kernelILj256ELj5EiilEEv20rocsparse_direction_T3_S2_21rocsparse_index_base_PKT1_PKT2_PKS2_S2_S3_PS4_PS7_PS2_,"axG",@progbits,_ZN9rocsparseL32bsr2csr_block_per_row_2_7_kernelILj256ELj5EiilEEv20rocsparse_direction_T3_S2_21rocsparse_index_base_PKT1_PKT2_PKS2_S2_S3_PS4_PS7_PS2_,comdat
	.globl	_ZN9rocsparseL32bsr2csr_block_per_row_2_7_kernelILj256ELj5EiilEEv20rocsparse_direction_T3_S2_21rocsparse_index_base_PKT1_PKT2_PKS2_S2_S3_PS4_PS7_PS2_ ; -- Begin function _ZN9rocsparseL32bsr2csr_block_per_row_2_7_kernelILj256ELj5EiilEEv20rocsparse_direction_T3_S2_21rocsparse_index_base_PKT1_PKT2_PKS2_S2_S3_PS4_PS7_PS2_
	.p2align	8
	.type	_ZN9rocsparseL32bsr2csr_block_per_row_2_7_kernelILj256ELj5EiilEEv20rocsparse_direction_T3_S2_21rocsparse_index_base_PKT1_PKT2_PKS2_S2_S3_PS4_PS7_PS2_,@function
_ZN9rocsparseL32bsr2csr_block_per_row_2_7_kernelILj256ELj5EiilEEv20rocsparse_direction_T3_S2_21rocsparse_index_base_PKT1_PKT2_PKS2_S2_S3_PS4_PS7_PS2_: ; @_ZN9rocsparseL32bsr2csr_block_per_row_2_7_kernelILj256ELj5EiilEEv20rocsparse_direction_T3_S2_21rocsparse_index_base_PKT1_PKT2_PKS2_S2_S3_PS4_PS7_PS2_
; %bb.0:
	s_clause 0x1
	s_load_b32 s2, s[0:1], 0x40
	s_load_b64 s[6:7], s[0:1], 0x50
	s_bfe_u32 s3, ttmp6, 0x4000c
	s_and_b32 s4, ttmp6, 15
	s_add_co_i32 s3, s3, 1
	s_getreg_b32 s5, hwreg(HW_REG_IB_STS2, 6, 4)
	s_mul_i32 s3, ttmp9, s3
	s_mov_b32 s9, 0
	s_add_co_i32 s4, s4, s3
	s_cmp_eq_u32 s5, 0
	s_mov_b32 s3, exec_lo
	s_cselect_b32 s8, ttmp9, s4
	s_delay_alu instid0(SALU_CYCLE_1) | instskip(NEXT) | instid1(VALU_DEP_1)
	v_or_b32_e32 v1, s8, v0
	v_cmpx_eq_u32_e32 0, v1
	s_cbranch_execz .LBB30_2
; %bb.1:
	s_wait_kmcnt 0x0
	v_dual_mov_b32 v1, 0 :: v_dual_mov_b32 v2, s2
	global_store_b32 v1, v2, s[6:7]
.LBB30_2:
	s_wait_xcnt 0x0
	s_or_b32 exec_lo, exec_lo, s3
	v_and_b32_e32 v4, 7, v0
	s_mov_b32 s3, exec_lo
	s_delay_alu instid0(VALU_DEP_1)
	v_cmpx_gt_u32_e32 5, v4
	s_cbranch_execz .LBB30_6
; %bb.3:
	s_clause 0x1
	s_load_b64 s[10:11], s[0:1], 0x28
	s_load_b32 s4, s[0:1], 0x18
	s_lshl_b64 s[12:13], s[8:9], 2
	v_lshrrev_b32_e32 v5, 3, v0
	s_mul_u64 s[8:9], s[8:9], 20
	s_wait_kmcnt 0x0
	s_add_nc_u64 s[6:7], s[6:7], s[8:9]
	s_add_nc_u64 s[10:11], s[10:11], s[12:13]
	s_load_b64 s[12:13], s[10:11], 0x0
	s_wait_kmcnt 0x0
	s_sub_co_i32 s3, s12, s4
	s_sub_co_i32 s13, s13, s4
	v_add_nc_u32_e32 v8, s3, v5
	s_sub_co_i32 s5, s13, s3
	s_mul_i32 s10, s3, 25
	s_mul_i32 s5, s5, 5
	s_delay_alu instid0(SALU_CYCLE_1) | instskip(SKIP_2) | instid1(VALU_DEP_2)
	v_mul_lo_u32 v6, s5, v4
	s_add_co_i32 s5, s5, s2
	v_cmp_gt_i32_e32 vcc_lo, s13, v8
	v_add3_u32 v0, s5, s10, v6
	global_store_b32 v4, v0, s[6:7] offset:4 scale_offset
	s_wait_xcnt 0x0
	s_and_b32 exec_lo, exec_lo, vcc_lo
	s_cbranch_execz .LBB30_6
; %bb.4:
	s_clause 0x2
	s_load_b64 s[6:7], s[0:1], 0x48
	s_load_b64 s[14:15], s[0:1], 0x20
	s_load_b32 s3, s[0:1], 0x0
	v_dual_mov_b32 v1, 0 :: v_dual_lshlrev_b32 v0, 2, v4
	s_clause 0x1
	s_load_b64 s[8:9], s[0:1], 0x30
	s_load_b64 s[10:11], s[0:1], 0x58
	v_mul_u32_u24_e32 v7, 5, v5
	s_wait_xcnt 0x0
	s_mul_i32 s0, s12, 25
	s_mov_b32 s5, 0
	s_delay_alu instid0(SALU_CYCLE_1)
	s_mov_b32 s1, s5
	v_add3_u32 v6, v6, s0, v7
	s_mul_i32 s0, s4, 25
	s_delay_alu instid0(VALU_DEP_1) | instid1(SALU_CYCLE_1)
	v_subrev_nc_u32_e32 v6, s0, v6
	s_wait_kmcnt 0x0
	v_add_nc_u64_e32 v[2:3], s[14:15], v[0:1]
	v_lshlrev_b32_e32 v0, 4, v4
	s_cmp_eq_u32 s3, 0
	s_mov_b32 s3, s5
	s_cselect_b32 vcc_lo, -1, 0
	s_delay_alu instid0(VALU_DEP_1)
	v_add_nc_u64_e32 v[4:5], v[2:3], v[0:1]
	v_mul_lo_u32 v0, v8, 25
.LBB30_5:                               ; =>This Inner Loop Header: Depth=1
	global_load_b64 v[14:15], v8, s[8:9] scale_offset
	v_lshlrev_b64_e32 v[10:11], 2, v[0:1]
	s_wait_xcnt 0x0
	v_dual_ashrrev_i32 v7, 31, v6 :: v_dual_add_nc_u32 v8, 32, v8
	v_add_nc_u32_e32 v0, 0x320, v0
	s_delay_alu instid0(VALU_DEP_2) | instskip(NEXT) | instid1(VALU_DEP_4)
	v_cmp_le_i32_e64 s0, s13, v8
	v_add_nc_u64_e32 v[12:13], v[2:3], v[10:11]
	v_add_nc_u64_e32 v[10:11], v[4:5], v[10:11]
	s_or_b32 s1, s0, s1
	s_delay_alu instid0(VALU_DEP_2) | instskip(NEXT) | instid1(VALU_DEP_2)
	v_add_nc_u64_e32 v[20:21], 20, v[12:13]
	v_add_nc_u64_e32 v[18:19], 4, v[10:11]
	;; [unrolled: 1-line block ×6, first 2 shown]
	v_dual_cndmask_b32 v17, v13, v11 :: v_dual_cndmask_b32 v16, v12, v10
	v_add_nc_u64_e32 v[30:31], 12, v[10:11]
	v_add_nc_u64_e32 v[12:13], 60, v[12:13]
	global_load_b32 v10, v[16:17], off
	s_wait_xcnt 0x0
	v_dual_cndmask_b32 v17, v21, v19 :: v_dual_cndmask_b32 v16, v20, v18
	v_dual_cndmask_b32 v19, v25, v23 :: v_dual_cndmask_b32 v20, v28, v26
	;; [unrolled: 1-line block ×4, first 2 shown]
	global_load_b32 v9, v[20:21], off
	global_load_b32 v11, v[16:17], off
	;; [unrolled: 1-line block ×4, first 2 shown]
	s_wait_xcnt 0x0
	v_lshl_add_u64 v[22:23], v[6:7], 3, s[10:11]
	v_lshl_add_u64 v[24:25], v[6:7], 2, s[6:7]
	s_wait_loadcnt 0x5
	v_sub_nc_u64_e64 v[16:17], v[14:15], s[4:5]
	s_delay_alu instid0(VALU_DEP_1) | instskip(NEXT) | instid1(VALU_DEP_1)
	v_mad_nc_u64_u32 v[14:15], v16, 5, s[2:3]
	v_mad_u32 v15, v17, 5, v15
	s_delay_alu instid0(VALU_DEP_1)
	v_add_nc_u64_e32 v[26:27], 4, v[14:15]
	v_add_nc_u64_e32 v[16:17], 1, v[14:15]
	;; [unrolled: 1-line block ×4, first 2 shown]
	global_store_b64 v6, v[26:27], s[10:11] offset:32 scale_offset
	s_wait_loadcnt 0x3
	global_store_b32 v6, v9, s[6:7] offset:16 scale_offset
	s_wait_xcnt 0x0
	v_add_nc_u32_e32 v6, 0xa0, v6
	s_wait_loadcnt 0x0
	global_store_b128 v[24:25], v[10:13], off
	s_clause 0x1
	global_store_b128 v[22:23], v[14:17], off
	global_store_b128 v[22:23], v[18:21], off offset:16
	s_wait_xcnt 0x0
	s_and_not1_b32 exec_lo, exec_lo, s1
	s_cbranch_execnz .LBB30_5
.LBB30_6:
	s_endpgm
	.section	.rodata,"a",@progbits
	.p2align	6, 0x0
	.amdhsa_kernel _ZN9rocsparseL32bsr2csr_block_per_row_2_7_kernelILj256ELj5EiilEEv20rocsparse_direction_T3_S2_21rocsparse_index_base_PKT1_PKT2_PKS2_S2_S3_PS4_PS7_PS2_
		.amdhsa_group_segment_fixed_size 0
		.amdhsa_private_segment_fixed_size 0
		.amdhsa_kernarg_size 96
		.amdhsa_user_sgpr_count 2
		.amdhsa_user_sgpr_dispatch_ptr 0
		.amdhsa_user_sgpr_queue_ptr 0
		.amdhsa_user_sgpr_kernarg_segment_ptr 1
		.amdhsa_user_sgpr_dispatch_id 0
		.amdhsa_user_sgpr_kernarg_preload_length 0
		.amdhsa_user_sgpr_kernarg_preload_offset 0
		.amdhsa_user_sgpr_private_segment_size 0
		.amdhsa_wavefront_size32 1
		.amdhsa_uses_dynamic_stack 0
		.amdhsa_enable_private_segment 0
		.amdhsa_system_sgpr_workgroup_id_x 1
		.amdhsa_system_sgpr_workgroup_id_y 0
		.amdhsa_system_sgpr_workgroup_id_z 0
		.amdhsa_system_sgpr_workgroup_info 0
		.amdhsa_system_vgpr_workitem_id 0
		.amdhsa_next_free_vgpr 32
		.amdhsa_next_free_sgpr 16
		.amdhsa_named_barrier_count 0
		.amdhsa_reserve_vcc 1
		.amdhsa_float_round_mode_32 0
		.amdhsa_float_round_mode_16_64 0
		.amdhsa_float_denorm_mode_32 3
		.amdhsa_float_denorm_mode_16_64 3
		.amdhsa_fp16_overflow 0
		.amdhsa_memory_ordered 1
		.amdhsa_forward_progress 1
		.amdhsa_inst_pref_size 7
		.amdhsa_round_robin_scheduling 0
		.amdhsa_exception_fp_ieee_invalid_op 0
		.amdhsa_exception_fp_denorm_src 0
		.amdhsa_exception_fp_ieee_div_zero 0
		.amdhsa_exception_fp_ieee_overflow 0
		.amdhsa_exception_fp_ieee_underflow 0
		.amdhsa_exception_fp_ieee_inexact 0
		.amdhsa_exception_int_div_zero 0
	.end_amdhsa_kernel
	.section	.text._ZN9rocsparseL32bsr2csr_block_per_row_2_7_kernelILj256ELj5EiilEEv20rocsparse_direction_T3_S2_21rocsparse_index_base_PKT1_PKT2_PKS2_S2_S3_PS4_PS7_PS2_,"axG",@progbits,_ZN9rocsparseL32bsr2csr_block_per_row_2_7_kernelILj256ELj5EiilEEv20rocsparse_direction_T3_S2_21rocsparse_index_base_PKT1_PKT2_PKS2_S2_S3_PS4_PS7_PS2_,comdat
.Lfunc_end30:
	.size	_ZN9rocsparseL32bsr2csr_block_per_row_2_7_kernelILj256ELj5EiilEEv20rocsparse_direction_T3_S2_21rocsparse_index_base_PKT1_PKT2_PKS2_S2_S3_PS4_PS7_PS2_, .Lfunc_end30-_ZN9rocsparseL32bsr2csr_block_per_row_2_7_kernelILj256ELj5EiilEEv20rocsparse_direction_T3_S2_21rocsparse_index_base_PKT1_PKT2_PKS2_S2_S3_PS4_PS7_PS2_
                                        ; -- End function
	.set _ZN9rocsparseL32bsr2csr_block_per_row_2_7_kernelILj256ELj5EiilEEv20rocsparse_direction_T3_S2_21rocsparse_index_base_PKT1_PKT2_PKS2_S2_S3_PS4_PS7_PS2_.num_vgpr, 32
	.set _ZN9rocsparseL32bsr2csr_block_per_row_2_7_kernelILj256ELj5EiilEEv20rocsparse_direction_T3_S2_21rocsparse_index_base_PKT1_PKT2_PKS2_S2_S3_PS4_PS7_PS2_.num_agpr, 0
	.set _ZN9rocsparseL32bsr2csr_block_per_row_2_7_kernelILj256ELj5EiilEEv20rocsparse_direction_T3_S2_21rocsparse_index_base_PKT1_PKT2_PKS2_S2_S3_PS4_PS7_PS2_.numbered_sgpr, 16
	.set _ZN9rocsparseL32bsr2csr_block_per_row_2_7_kernelILj256ELj5EiilEEv20rocsparse_direction_T3_S2_21rocsparse_index_base_PKT1_PKT2_PKS2_S2_S3_PS4_PS7_PS2_.num_named_barrier, 0
	.set _ZN9rocsparseL32bsr2csr_block_per_row_2_7_kernelILj256ELj5EiilEEv20rocsparse_direction_T3_S2_21rocsparse_index_base_PKT1_PKT2_PKS2_S2_S3_PS4_PS7_PS2_.private_seg_size, 0
	.set _ZN9rocsparseL32bsr2csr_block_per_row_2_7_kernelILj256ELj5EiilEEv20rocsparse_direction_T3_S2_21rocsparse_index_base_PKT1_PKT2_PKS2_S2_S3_PS4_PS7_PS2_.uses_vcc, 1
	.set _ZN9rocsparseL32bsr2csr_block_per_row_2_7_kernelILj256ELj5EiilEEv20rocsparse_direction_T3_S2_21rocsparse_index_base_PKT1_PKT2_PKS2_S2_S3_PS4_PS7_PS2_.uses_flat_scratch, 0
	.set _ZN9rocsparseL32bsr2csr_block_per_row_2_7_kernelILj256ELj5EiilEEv20rocsparse_direction_T3_S2_21rocsparse_index_base_PKT1_PKT2_PKS2_S2_S3_PS4_PS7_PS2_.has_dyn_sized_stack, 0
	.set _ZN9rocsparseL32bsr2csr_block_per_row_2_7_kernelILj256ELj5EiilEEv20rocsparse_direction_T3_S2_21rocsparse_index_base_PKT1_PKT2_PKS2_S2_S3_PS4_PS7_PS2_.has_recursion, 0
	.set _ZN9rocsparseL32bsr2csr_block_per_row_2_7_kernelILj256ELj5EiilEEv20rocsparse_direction_T3_S2_21rocsparse_index_base_PKT1_PKT2_PKS2_S2_S3_PS4_PS7_PS2_.has_indirect_call, 0
	.section	.AMDGPU.csdata,"",@progbits
; Kernel info:
; codeLenInByte = 784
; TotalNumSgprs: 18
; NumVgprs: 32
; ScratchSize: 0
; MemoryBound: 0
; FloatMode: 240
; IeeeMode: 1
; LDSByteSize: 0 bytes/workgroup (compile time only)
; SGPRBlocks: 0
; VGPRBlocks: 1
; NumSGPRsForWavesPerEU: 18
; NumVGPRsForWavesPerEU: 32
; NamedBarCnt: 0
; Occupancy: 16
; WaveLimiterHint : 0
; COMPUTE_PGM_RSRC2:SCRATCH_EN: 0
; COMPUTE_PGM_RSRC2:USER_SGPR: 2
; COMPUTE_PGM_RSRC2:TRAP_HANDLER: 0
; COMPUTE_PGM_RSRC2:TGID_X_EN: 1
; COMPUTE_PGM_RSRC2:TGID_Y_EN: 0
; COMPUTE_PGM_RSRC2:TGID_Z_EN: 0
; COMPUTE_PGM_RSRC2:TIDIG_COMP_CNT: 0
	.section	.text._ZN9rocsparseL32bsr2csr_block_per_row_2_7_kernelILj256ELj6EiilEEv20rocsparse_direction_T3_S2_21rocsparse_index_base_PKT1_PKT2_PKS2_S2_S3_PS4_PS7_PS2_,"axG",@progbits,_ZN9rocsparseL32bsr2csr_block_per_row_2_7_kernelILj256ELj6EiilEEv20rocsparse_direction_T3_S2_21rocsparse_index_base_PKT1_PKT2_PKS2_S2_S3_PS4_PS7_PS2_,comdat
	.globl	_ZN9rocsparseL32bsr2csr_block_per_row_2_7_kernelILj256ELj6EiilEEv20rocsparse_direction_T3_S2_21rocsparse_index_base_PKT1_PKT2_PKS2_S2_S3_PS4_PS7_PS2_ ; -- Begin function _ZN9rocsparseL32bsr2csr_block_per_row_2_7_kernelILj256ELj6EiilEEv20rocsparse_direction_T3_S2_21rocsparse_index_base_PKT1_PKT2_PKS2_S2_S3_PS4_PS7_PS2_
	.p2align	8
	.type	_ZN9rocsparseL32bsr2csr_block_per_row_2_7_kernelILj256ELj6EiilEEv20rocsparse_direction_T3_S2_21rocsparse_index_base_PKT1_PKT2_PKS2_S2_S3_PS4_PS7_PS2_,@function
_ZN9rocsparseL32bsr2csr_block_per_row_2_7_kernelILj256ELj6EiilEEv20rocsparse_direction_T3_S2_21rocsparse_index_base_PKT1_PKT2_PKS2_S2_S3_PS4_PS7_PS2_: ; @_ZN9rocsparseL32bsr2csr_block_per_row_2_7_kernelILj256ELj6EiilEEv20rocsparse_direction_T3_S2_21rocsparse_index_base_PKT1_PKT2_PKS2_S2_S3_PS4_PS7_PS2_
; %bb.0:
	s_clause 0x1
	s_load_b32 s2, s[0:1], 0x40
	s_load_b64 s[6:7], s[0:1], 0x50
	s_bfe_u32 s3, ttmp6, 0x4000c
	s_and_b32 s4, ttmp6, 15
	s_add_co_i32 s3, s3, 1
	s_getreg_b32 s5, hwreg(HW_REG_IB_STS2, 6, 4)
	s_mul_i32 s3, ttmp9, s3
	s_mov_b32 s9, 0
	s_add_co_i32 s4, s4, s3
	s_cmp_eq_u32 s5, 0
	s_mov_b32 s3, exec_lo
	s_cselect_b32 s8, ttmp9, s4
	s_delay_alu instid0(SALU_CYCLE_1) | instskip(NEXT) | instid1(VALU_DEP_1)
	v_or_b32_e32 v1, s8, v0
	v_cmpx_eq_u32_e32 0, v1
	s_cbranch_execz .LBB31_2
; %bb.1:
	s_wait_kmcnt 0x0
	v_dual_mov_b32 v1, 0 :: v_dual_mov_b32 v2, s2
	global_store_b32 v1, v2, s[6:7]
.LBB31_2:
	s_wait_xcnt 0x0
	s_or_b32 exec_lo, exec_lo, s3
	v_and_b32_e32 v4, 7, v0
	s_mov_b32 s3, exec_lo
	s_delay_alu instid0(VALU_DEP_1)
	v_cmpx_gt_u32_e32 6, v4
	s_cbranch_execz .LBB31_6
; %bb.3:
	s_clause 0x1
	s_load_b64 s[10:11], s[0:1], 0x28
	s_load_b32 s4, s[0:1], 0x18
	s_lshl_b64 s[12:13], s[8:9], 2
	v_lshrrev_b32_e32 v5, 3, v0
	s_mul_u64 s[8:9], s[8:9], 24
	s_wait_kmcnt 0x0
	s_add_nc_u64 s[6:7], s[6:7], s[8:9]
	s_add_nc_u64 s[10:11], s[10:11], s[12:13]
	s_load_b64 s[12:13], s[10:11], 0x0
	s_wait_kmcnt 0x0
	s_sub_co_i32 s3, s12, s4
	s_sub_co_i32 s13, s13, s4
	v_add_nc_u32_e32 v8, s3, v5
	s_sub_co_i32 s5, s13, s3
	s_mul_i32 s10, s3, 36
	s_mul_i32 s5, s5, 6
	s_delay_alu instid0(SALU_CYCLE_1) | instskip(SKIP_2) | instid1(VALU_DEP_2)
	v_mul_lo_u32 v6, s5, v4
	s_add_co_i32 s5, s5, s2
	v_cmp_gt_i32_e32 vcc_lo, s13, v8
	v_add3_u32 v0, s5, s10, v6
	global_store_b32 v4, v0, s[6:7] offset:4 scale_offset
	s_wait_xcnt 0x0
	s_and_b32 exec_lo, exec_lo, vcc_lo
	s_cbranch_execz .LBB31_6
; %bb.4:
	s_clause 0x2
	s_load_b64 s[6:7], s[0:1], 0x48
	s_load_b64 s[14:15], s[0:1], 0x20
	s_load_b32 s3, s[0:1], 0x0
	v_dual_mov_b32 v1, 0 :: v_dual_lshlrev_b32 v0, 2, v4
	s_clause 0x1
	s_load_b64 s[8:9], s[0:1], 0x30
	s_load_b64 s[10:11], s[0:1], 0x58
	v_mul_u32_u24_e32 v7, 6, v5
	s_wait_xcnt 0x0
	s_mul_i32 s0, s12, 36
	s_mov_b32 s5, 0
	s_delay_alu instid0(SALU_CYCLE_1)
	s_mov_b32 s1, s5
	v_add3_u32 v6, v6, s0, v7
	s_mul_i32 s0, s4, 36
	s_delay_alu instid0(VALU_DEP_1) | instid1(SALU_CYCLE_1)
	v_subrev_nc_u32_e32 v6, s0, v6
	s_wait_kmcnt 0x0
	v_add_nc_u64_e32 v[2:3], s[14:15], v[0:1]
	v_mul_lo_u32 v0, v8, 36
	s_cmp_eq_u32 s3, 0
	s_mov_b32 s3, s5
	s_cselect_b32 vcc_lo, -1, 0
	s_delay_alu instid0(VALU_DEP_2)
	v_mad_co_u64_u32 v[4:5], null, v4, 20, v[2:3]
.LBB31_5:                               ; =>This Inner Loop Header: Depth=1
	global_load_b64 v[14:15], v8, s[8:9] scale_offset
	v_lshlrev_b64_e32 v[10:11], 2, v[0:1]
	s_wait_xcnt 0x0
	v_dual_ashrrev_i32 v7, 31, v6 :: v_dual_add_nc_u32 v8, 32, v8
	v_add_nc_u32_e32 v0, 0x480, v0
	s_delay_alu instid0(VALU_DEP_2) | instskip(NEXT) | instid1(VALU_DEP_4)
	v_cmp_le_i32_e64 s0, s13, v8
	v_add_nc_u64_e32 v[12:13], v[2:3], v[10:11]
	v_add_nc_u64_e32 v[10:11], v[4:5], v[10:11]
	s_or_b32 s1, s0, s1
	s_delay_alu instid0(VALU_DEP_2) | instskip(NEXT) | instid1(VALU_DEP_2)
	v_add_nc_u64_e32 v[20:21], 24, v[12:13]
	v_add_nc_u64_e32 v[18:19], 4, v[10:11]
	v_add_nc_u64_e32 v[22:23], 8, v[10:11]
	v_add_nc_u64_e32 v[24:25], 48, v[12:13]
	v_dual_cndmask_b32 v17, v13, v11 :: v_dual_cndmask_b32 v16, v12, v10
	v_add_nc_u64_e32 v[26:27], 12, v[10:11]
	v_add_nc_u64_e32 v[28:29], 0x48, v[12:13]
	;; [unrolled: 1-line block ×6, first 2 shown]
	global_load_b32 v10, v[16:17], off
	s_wait_xcnt 0x0
	v_dual_cndmask_b32 v17, v21, v19 :: v_dual_cndmask_b32 v16, v20, v18
	v_dual_cndmask_b32 v19, v25, v23 :: v_dual_cndmask_b32 v18, v24, v22
	;; [unrolled: 1-line block ×5, first 2 shown]
	global_load_b32 v11, v[16:17], off
	global_load_b32 v12, v[18:19], off
	;; [unrolled: 1-line block ×5, first 2 shown]
	v_lshl_add_u64 v[28:29], v[6:7], 3, s[10:11]
	v_lshl_add_u64 v[30:31], v[6:7], 2, s[6:7]
	v_add_nc_u32_e32 v6, 0xc0, v6
	s_wait_loadcnt 0x6
	s_wait_xcnt 0x4
	v_sub_nc_u64_e64 v[16:17], v[14:15], s[4:5]
	s_delay_alu instid0(VALU_DEP_1) | instskip(NEXT) | instid1(VALU_DEP_1)
	v_mad_nc_u64_u32 v[14:15], v16, 6, s[2:3]
	v_mad_u32 v15, v17, 6, v15
	s_delay_alu instid0(VALU_DEP_1)
	v_add_nc_u64_e32 v[16:17], 1, v[14:15]
	s_wait_xcnt 0x3
	v_add_nc_u64_e32 v[18:19], 2, v[14:15]
	s_wait_xcnt 0x2
	;; [unrolled: 2-line block ×4, first 2 shown]
	v_add_nc_u64_e32 v[24:25], 5, v[14:15]
	s_wait_loadcnt 0x2
	global_store_b128 v[30:31], v[10:13], off
	s_wait_loadcnt 0x0
	global_store_b64 v[30:31], v[26:27], off offset:16
	s_clause 0x2
	global_store_b128 v[28:29], v[14:17], off
	global_store_b128 v[28:29], v[18:21], off offset:16
	global_store_b128 v[28:29], v[22:25], off offset:32
	s_wait_xcnt 0x0
	s_and_not1_b32 exec_lo, exec_lo, s1
	s_cbranch_execnz .LBB31_5
.LBB31_6:
	s_endpgm
	.section	.rodata,"a",@progbits
	.p2align	6, 0x0
	.amdhsa_kernel _ZN9rocsparseL32bsr2csr_block_per_row_2_7_kernelILj256ELj6EiilEEv20rocsparse_direction_T3_S2_21rocsparse_index_base_PKT1_PKT2_PKS2_S2_S3_PS4_PS7_PS2_
		.amdhsa_group_segment_fixed_size 0
		.amdhsa_private_segment_fixed_size 0
		.amdhsa_kernarg_size 96
		.amdhsa_user_sgpr_count 2
		.amdhsa_user_sgpr_dispatch_ptr 0
		.amdhsa_user_sgpr_queue_ptr 0
		.amdhsa_user_sgpr_kernarg_segment_ptr 1
		.amdhsa_user_sgpr_dispatch_id 0
		.amdhsa_user_sgpr_kernarg_preload_length 0
		.amdhsa_user_sgpr_kernarg_preload_offset 0
		.amdhsa_user_sgpr_private_segment_size 0
		.amdhsa_wavefront_size32 1
		.amdhsa_uses_dynamic_stack 0
		.amdhsa_enable_private_segment 0
		.amdhsa_system_sgpr_workgroup_id_x 1
		.amdhsa_system_sgpr_workgroup_id_y 0
		.amdhsa_system_sgpr_workgroup_id_z 0
		.amdhsa_system_sgpr_workgroup_info 0
		.amdhsa_system_vgpr_workitem_id 0
		.amdhsa_next_free_vgpr 36
		.amdhsa_next_free_sgpr 16
		.amdhsa_named_barrier_count 0
		.amdhsa_reserve_vcc 1
		.amdhsa_float_round_mode_32 0
		.amdhsa_float_round_mode_16_64 0
		.amdhsa_float_denorm_mode_32 3
		.amdhsa_float_denorm_mode_16_64 3
		.amdhsa_fp16_overflow 0
		.amdhsa_memory_ordered 1
		.amdhsa_forward_progress 1
		.amdhsa_inst_pref_size 7
		.amdhsa_round_robin_scheduling 0
		.amdhsa_exception_fp_ieee_invalid_op 0
		.amdhsa_exception_fp_denorm_src 0
		.amdhsa_exception_fp_ieee_div_zero 0
		.amdhsa_exception_fp_ieee_overflow 0
		.amdhsa_exception_fp_ieee_underflow 0
		.amdhsa_exception_fp_ieee_inexact 0
		.amdhsa_exception_int_div_zero 0
	.end_amdhsa_kernel
	.section	.text._ZN9rocsparseL32bsr2csr_block_per_row_2_7_kernelILj256ELj6EiilEEv20rocsparse_direction_T3_S2_21rocsparse_index_base_PKT1_PKT2_PKS2_S2_S3_PS4_PS7_PS2_,"axG",@progbits,_ZN9rocsparseL32bsr2csr_block_per_row_2_7_kernelILj256ELj6EiilEEv20rocsparse_direction_T3_S2_21rocsparse_index_base_PKT1_PKT2_PKS2_S2_S3_PS4_PS7_PS2_,comdat
.Lfunc_end31:
	.size	_ZN9rocsparseL32bsr2csr_block_per_row_2_7_kernelILj256ELj6EiilEEv20rocsparse_direction_T3_S2_21rocsparse_index_base_PKT1_PKT2_PKS2_S2_S3_PS4_PS7_PS2_, .Lfunc_end31-_ZN9rocsparseL32bsr2csr_block_per_row_2_7_kernelILj256ELj6EiilEEv20rocsparse_direction_T3_S2_21rocsparse_index_base_PKT1_PKT2_PKS2_S2_S3_PS4_PS7_PS2_
                                        ; -- End function
	.set _ZN9rocsparseL32bsr2csr_block_per_row_2_7_kernelILj256ELj6EiilEEv20rocsparse_direction_T3_S2_21rocsparse_index_base_PKT1_PKT2_PKS2_S2_S3_PS4_PS7_PS2_.num_vgpr, 36
	.set _ZN9rocsparseL32bsr2csr_block_per_row_2_7_kernelILj256ELj6EiilEEv20rocsparse_direction_T3_S2_21rocsparse_index_base_PKT1_PKT2_PKS2_S2_S3_PS4_PS7_PS2_.num_agpr, 0
	.set _ZN9rocsparseL32bsr2csr_block_per_row_2_7_kernelILj256ELj6EiilEEv20rocsparse_direction_T3_S2_21rocsparse_index_base_PKT1_PKT2_PKS2_S2_S3_PS4_PS7_PS2_.numbered_sgpr, 16
	.set _ZN9rocsparseL32bsr2csr_block_per_row_2_7_kernelILj256ELj6EiilEEv20rocsparse_direction_T3_S2_21rocsparse_index_base_PKT1_PKT2_PKS2_S2_S3_PS4_PS7_PS2_.num_named_barrier, 0
	.set _ZN9rocsparseL32bsr2csr_block_per_row_2_7_kernelILj256ELj6EiilEEv20rocsparse_direction_T3_S2_21rocsparse_index_base_PKT1_PKT2_PKS2_S2_S3_PS4_PS7_PS2_.private_seg_size, 0
	.set _ZN9rocsparseL32bsr2csr_block_per_row_2_7_kernelILj256ELj6EiilEEv20rocsparse_direction_T3_S2_21rocsparse_index_base_PKT1_PKT2_PKS2_S2_S3_PS4_PS7_PS2_.uses_vcc, 1
	.set _ZN9rocsparseL32bsr2csr_block_per_row_2_7_kernelILj256ELj6EiilEEv20rocsparse_direction_T3_S2_21rocsparse_index_base_PKT1_PKT2_PKS2_S2_S3_PS4_PS7_PS2_.uses_flat_scratch, 0
	.set _ZN9rocsparseL32bsr2csr_block_per_row_2_7_kernelILj256ELj6EiilEEv20rocsparse_direction_T3_S2_21rocsparse_index_base_PKT1_PKT2_PKS2_S2_S3_PS4_PS7_PS2_.has_dyn_sized_stack, 0
	.set _ZN9rocsparseL32bsr2csr_block_per_row_2_7_kernelILj256ELj6EiilEEv20rocsparse_direction_T3_S2_21rocsparse_index_base_PKT1_PKT2_PKS2_S2_S3_PS4_PS7_PS2_.has_recursion, 0
	.set _ZN9rocsparseL32bsr2csr_block_per_row_2_7_kernelILj256ELj6EiilEEv20rocsparse_direction_T3_S2_21rocsparse_index_base_PKT1_PKT2_PKS2_S2_S3_PS4_PS7_PS2_.has_indirect_call, 0
	.section	.AMDGPU.csdata,"",@progbits
; Kernel info:
; codeLenInByte = 836
; TotalNumSgprs: 18
; NumVgprs: 36
; ScratchSize: 0
; MemoryBound: 0
; FloatMode: 240
; IeeeMode: 1
; LDSByteSize: 0 bytes/workgroup (compile time only)
; SGPRBlocks: 0
; VGPRBlocks: 2
; NumSGPRsForWavesPerEU: 18
; NumVGPRsForWavesPerEU: 36
; NamedBarCnt: 0
; Occupancy: 16
; WaveLimiterHint : 0
; COMPUTE_PGM_RSRC2:SCRATCH_EN: 0
; COMPUTE_PGM_RSRC2:USER_SGPR: 2
; COMPUTE_PGM_RSRC2:TRAP_HANDLER: 0
; COMPUTE_PGM_RSRC2:TGID_X_EN: 1
; COMPUTE_PGM_RSRC2:TGID_Y_EN: 0
; COMPUTE_PGM_RSRC2:TGID_Z_EN: 0
; COMPUTE_PGM_RSRC2:TIDIG_COMP_CNT: 0
	.section	.text._ZN9rocsparseL32bsr2csr_block_per_row_2_7_kernelILj256ELj7EiilEEv20rocsparse_direction_T3_S2_21rocsparse_index_base_PKT1_PKT2_PKS2_S2_S3_PS4_PS7_PS2_,"axG",@progbits,_ZN9rocsparseL32bsr2csr_block_per_row_2_7_kernelILj256ELj7EiilEEv20rocsparse_direction_T3_S2_21rocsparse_index_base_PKT1_PKT2_PKS2_S2_S3_PS4_PS7_PS2_,comdat
	.globl	_ZN9rocsparseL32bsr2csr_block_per_row_2_7_kernelILj256ELj7EiilEEv20rocsparse_direction_T3_S2_21rocsparse_index_base_PKT1_PKT2_PKS2_S2_S3_PS4_PS7_PS2_ ; -- Begin function _ZN9rocsparseL32bsr2csr_block_per_row_2_7_kernelILj256ELj7EiilEEv20rocsparse_direction_T3_S2_21rocsparse_index_base_PKT1_PKT2_PKS2_S2_S3_PS4_PS7_PS2_
	.p2align	8
	.type	_ZN9rocsparseL32bsr2csr_block_per_row_2_7_kernelILj256ELj7EiilEEv20rocsparse_direction_T3_S2_21rocsparse_index_base_PKT1_PKT2_PKS2_S2_S3_PS4_PS7_PS2_,@function
_ZN9rocsparseL32bsr2csr_block_per_row_2_7_kernelILj256ELj7EiilEEv20rocsparse_direction_T3_S2_21rocsparse_index_base_PKT1_PKT2_PKS2_S2_S3_PS4_PS7_PS2_: ; @_ZN9rocsparseL32bsr2csr_block_per_row_2_7_kernelILj256ELj7EiilEEv20rocsparse_direction_T3_S2_21rocsparse_index_base_PKT1_PKT2_PKS2_S2_S3_PS4_PS7_PS2_
; %bb.0:
	s_clause 0x1
	s_load_b32 s2, s[0:1], 0x40
	s_load_b64 s[6:7], s[0:1], 0x50
	s_bfe_u32 s3, ttmp6, 0x4000c
	s_and_b32 s4, ttmp6, 15
	s_add_co_i32 s3, s3, 1
	s_getreg_b32 s5, hwreg(HW_REG_IB_STS2, 6, 4)
	s_mul_i32 s3, ttmp9, s3
	s_mov_b32 s9, 0
	s_add_co_i32 s4, s4, s3
	s_cmp_eq_u32 s5, 0
	s_mov_b32 s3, exec_lo
	s_cselect_b32 s8, ttmp9, s4
	s_delay_alu instid0(SALU_CYCLE_1) | instskip(NEXT) | instid1(VALU_DEP_1)
	v_or_b32_e32 v1, s8, v0
	v_cmpx_eq_u32_e32 0, v1
	s_cbranch_execz .LBB32_2
; %bb.1:
	s_wait_kmcnt 0x0
	v_dual_mov_b32 v1, 0 :: v_dual_mov_b32 v2, s2
	global_store_b32 v1, v2, s[6:7]
.LBB32_2:
	s_wait_xcnt 0x0
	s_or_b32 exec_lo, exec_lo, s3
	v_and_b32_e32 v4, 7, v0
	s_mov_b32 s3, exec_lo
	s_delay_alu instid0(VALU_DEP_1)
	v_cmpx_ne_u32_e32 7, v4
	s_cbranch_execz .LBB32_6
; %bb.3:
	s_clause 0x1
	s_load_b64 s[10:11], s[0:1], 0x28
	s_load_b32 s4, s[0:1], 0x18
	s_lshl_b64 s[12:13], s[8:9], 2
	v_lshrrev_b32_e32 v5, 3, v0
	s_mul_u64 s[8:9], s[8:9], 28
	s_wait_kmcnt 0x0
	s_add_nc_u64 s[6:7], s[6:7], s[8:9]
	s_add_nc_u64 s[10:11], s[10:11], s[12:13]
	s_load_b64 s[12:13], s[10:11], 0x0
	s_wait_kmcnt 0x0
	s_sub_co_i32 s3, s12, s4
	s_sub_co_i32 s13, s13, s4
	v_add_nc_u32_e32 v8, s3, v5
	s_sub_co_i32 s5, s13, s3
	s_mul_i32 s10, s3, 49
	s_mul_i32 s5, s5, 7
	s_delay_alu instid0(SALU_CYCLE_1) | instskip(SKIP_2) | instid1(VALU_DEP_2)
	v_mul_lo_u32 v6, s5, v4
	s_add_co_i32 s5, s5, s2
	v_cmp_gt_i32_e32 vcc_lo, s13, v8
	v_add3_u32 v0, s5, s10, v6
	global_store_b32 v4, v0, s[6:7] offset:4 scale_offset
	s_wait_xcnt 0x0
	s_and_b32 exec_lo, exec_lo, vcc_lo
	s_cbranch_execz .LBB32_6
; %bb.4:
	s_clause 0x2
	s_load_b64 s[6:7], s[0:1], 0x48
	s_load_b64 s[14:15], s[0:1], 0x20
	s_load_b32 s3, s[0:1], 0x0
	v_dual_mov_b32 v1, 0 :: v_dual_lshlrev_b32 v0, 2, v4
	s_clause 0x1
	s_load_b64 s[8:9], s[0:1], 0x30
	s_load_b64 s[10:11], s[0:1], 0x58
	v_mul_u32_u24_e32 v7, 7, v5
	s_wait_xcnt 0x0
	s_mul_i32 s0, s12, 49
	s_mov_b32 s5, 0
	s_delay_alu instid0(SALU_CYCLE_1)
	s_mov_b32 s1, s5
	v_add3_u32 v6, v6, s0, v7
	s_mul_i32 s0, s4, 49
	s_delay_alu instid0(VALU_DEP_1) | instid1(SALU_CYCLE_1)
	v_subrev_nc_u32_e32 v6, s0, v6
	s_wait_kmcnt 0x0
	v_add_nc_u64_e32 v[2:3], s[14:15], v[0:1]
	v_mul_lo_u32 v0, v8, 49
	s_cmp_eq_u32 s3, 0
	s_mov_b32 s3, s5
	s_cselect_b32 vcc_lo, -1, 0
	s_delay_alu instid0(VALU_DEP_2)
	v_mad_co_u64_u32 v[4:5], null, v4, 24, v[2:3]
.LBB32_5:                               ; =>This Inner Loop Header: Depth=1
	global_load_b64 v[14:15], v8, s[8:9] scale_offset
	v_lshlrev_b64_e32 v[10:11], 2, v[0:1]
	s_wait_xcnt 0x0
	v_dual_add_nc_u32 v8, 32, v8 :: v_dual_ashrrev_i32 v7, 31, v6
	v_add_nc_u32_e32 v0, 0x620, v0
	s_delay_alu instid0(VALU_DEP_2) | instskip(NEXT) | instid1(VALU_DEP_4)
	v_cmp_le_i32_e64 s0, s13, v8
	v_add_nc_u64_e32 v[12:13], v[2:3], v[10:11]
	v_add_nc_u64_e32 v[10:11], v[4:5], v[10:11]
	s_or_b32 s1, s0, s1
	s_delay_alu instid0(VALU_DEP_2) | instskip(NEXT) | instid1(VALU_DEP_2)
	v_add_nc_u64_e32 v[20:21], 28, v[12:13]
	v_add_nc_u64_e32 v[18:19], 4, v[10:11]
	;; [unrolled: 1-line block ×4, first 2 shown]
	v_dual_cndmask_b32 v17, v13, v11 :: v_dual_cndmask_b32 v16, v12, v10
	v_add_nc_u64_e32 v[26:27], 12, v[10:11]
	v_add_nc_u64_e32 v[28:29], 0x54, v[12:13]
	;; [unrolled: 1-line block ×8, first 2 shown]
	global_load_b32 v10, v[16:17], off
	s_wait_xcnt 0x0
	v_dual_cndmask_b32 v17, v21, v19 :: v_dual_cndmask_b32 v16, v20, v18
	v_dual_cndmask_b32 v19, v25, v23 :: v_dual_cndmask_b32 v18, v24, v22
	;; [unrolled: 1-line block ×6, first 2 shown]
	global_load_b32 v11, v[16:17], off
	global_load_b32 v12, v[18:19], off
	;; [unrolled: 1-line block ×6, first 2 shown]
	s_wait_xcnt 0x0
	v_lshl_add_u64 v[30:31], v[6:7], 3, s[10:11]
	v_lshl_add_u64 v[32:33], v[6:7], 2, s[6:7]
	s_wait_loadcnt 0x7
	v_sub_nc_u64_e64 v[16:17], v[14:15], s[4:5]
	s_delay_alu instid0(VALU_DEP_1) | instskip(NEXT) | instid1(VALU_DEP_1)
	v_mad_nc_u64_u32 v[14:15], v16, 7, s[2:3]
	v_mad_u32 v15, v17, 7, v15
	s_delay_alu instid0(VALU_DEP_1)
	v_add_nc_u64_e32 v[16:17], 1, v[14:15]
	v_add_nc_u64_e32 v[34:35], 6, v[14:15]
	;; [unrolled: 1-line block ×6, first 2 shown]
	s_clause 0x1
	global_store_b128 v[30:31], v[14:17], off
	global_store_b64 v6, v[34:35], s[10:11] offset:48 scale_offset
	s_wait_xcnt 0x0
	v_add_nc_u32_e32 v6, 0xe0, v6
	s_wait_loadcnt 0x3
	global_store_b128 v[32:33], v[10:13], off
	s_wait_loadcnt 0x0
	global_store_b96 v[32:33], v[26:28], off offset:16
	s_clause 0x1
	global_store_b128 v[30:31], v[18:21], off offset:16
	global_store_b128 v[30:31], v[22:25], off offset:32
	s_wait_xcnt 0x0
	s_and_not1_b32 exec_lo, exec_lo, s1
	s_cbranch_execnz .LBB32_5
.LBB32_6:
	s_endpgm
	.section	.rodata,"a",@progbits
	.p2align	6, 0x0
	.amdhsa_kernel _ZN9rocsparseL32bsr2csr_block_per_row_2_7_kernelILj256ELj7EiilEEv20rocsparse_direction_T3_S2_21rocsparse_index_base_PKT1_PKT2_PKS2_S2_S3_PS4_PS7_PS2_
		.amdhsa_group_segment_fixed_size 0
		.amdhsa_private_segment_fixed_size 0
		.amdhsa_kernarg_size 96
		.amdhsa_user_sgpr_count 2
		.amdhsa_user_sgpr_dispatch_ptr 0
		.amdhsa_user_sgpr_queue_ptr 0
		.amdhsa_user_sgpr_kernarg_segment_ptr 1
		.amdhsa_user_sgpr_dispatch_id 0
		.amdhsa_user_sgpr_kernarg_preload_length 0
		.amdhsa_user_sgpr_kernarg_preload_offset 0
		.amdhsa_user_sgpr_private_segment_size 0
		.amdhsa_wavefront_size32 1
		.amdhsa_uses_dynamic_stack 0
		.amdhsa_enable_private_segment 0
		.amdhsa_system_sgpr_workgroup_id_x 1
		.amdhsa_system_sgpr_workgroup_id_y 0
		.amdhsa_system_sgpr_workgroup_id_z 0
		.amdhsa_system_sgpr_workgroup_info 0
		.amdhsa_system_vgpr_workitem_id 0
		.amdhsa_next_free_vgpr 40
		.amdhsa_next_free_sgpr 16
		.amdhsa_named_barrier_count 0
		.amdhsa_reserve_vcc 1
		.amdhsa_float_round_mode_32 0
		.amdhsa_float_round_mode_16_64 0
		.amdhsa_float_denorm_mode_32 3
		.amdhsa_float_denorm_mode_16_64 3
		.amdhsa_fp16_overflow 0
		.amdhsa_memory_ordered 1
		.amdhsa_forward_progress 1
		.amdhsa_inst_pref_size 7
		.amdhsa_round_robin_scheduling 0
		.amdhsa_exception_fp_ieee_invalid_op 0
		.amdhsa_exception_fp_denorm_src 0
		.amdhsa_exception_fp_ieee_div_zero 0
		.amdhsa_exception_fp_ieee_overflow 0
		.amdhsa_exception_fp_ieee_underflow 0
		.amdhsa_exception_fp_ieee_inexact 0
		.amdhsa_exception_int_div_zero 0
	.end_amdhsa_kernel
	.section	.text._ZN9rocsparseL32bsr2csr_block_per_row_2_7_kernelILj256ELj7EiilEEv20rocsparse_direction_T3_S2_21rocsparse_index_base_PKT1_PKT2_PKS2_S2_S3_PS4_PS7_PS2_,"axG",@progbits,_ZN9rocsparseL32bsr2csr_block_per_row_2_7_kernelILj256ELj7EiilEEv20rocsparse_direction_T3_S2_21rocsparse_index_base_PKT1_PKT2_PKS2_S2_S3_PS4_PS7_PS2_,comdat
.Lfunc_end32:
	.size	_ZN9rocsparseL32bsr2csr_block_per_row_2_7_kernelILj256ELj7EiilEEv20rocsparse_direction_T3_S2_21rocsparse_index_base_PKT1_PKT2_PKS2_S2_S3_PS4_PS7_PS2_, .Lfunc_end32-_ZN9rocsparseL32bsr2csr_block_per_row_2_7_kernelILj256ELj7EiilEEv20rocsparse_direction_T3_S2_21rocsparse_index_base_PKT1_PKT2_PKS2_S2_S3_PS4_PS7_PS2_
                                        ; -- End function
	.set _ZN9rocsparseL32bsr2csr_block_per_row_2_7_kernelILj256ELj7EiilEEv20rocsparse_direction_T3_S2_21rocsparse_index_base_PKT1_PKT2_PKS2_S2_S3_PS4_PS7_PS2_.num_vgpr, 40
	.set _ZN9rocsparseL32bsr2csr_block_per_row_2_7_kernelILj256ELj7EiilEEv20rocsparse_direction_T3_S2_21rocsparse_index_base_PKT1_PKT2_PKS2_S2_S3_PS4_PS7_PS2_.num_agpr, 0
	.set _ZN9rocsparseL32bsr2csr_block_per_row_2_7_kernelILj256ELj7EiilEEv20rocsparse_direction_T3_S2_21rocsparse_index_base_PKT1_PKT2_PKS2_S2_S3_PS4_PS7_PS2_.numbered_sgpr, 16
	.set _ZN9rocsparseL32bsr2csr_block_per_row_2_7_kernelILj256ELj7EiilEEv20rocsparse_direction_T3_S2_21rocsparse_index_base_PKT1_PKT2_PKS2_S2_S3_PS4_PS7_PS2_.num_named_barrier, 0
	.set _ZN9rocsparseL32bsr2csr_block_per_row_2_7_kernelILj256ELj7EiilEEv20rocsparse_direction_T3_S2_21rocsparse_index_base_PKT1_PKT2_PKS2_S2_S3_PS4_PS7_PS2_.private_seg_size, 0
	.set _ZN9rocsparseL32bsr2csr_block_per_row_2_7_kernelILj256ELj7EiilEEv20rocsparse_direction_T3_S2_21rocsparse_index_base_PKT1_PKT2_PKS2_S2_S3_PS4_PS7_PS2_.uses_vcc, 1
	.set _ZN9rocsparseL32bsr2csr_block_per_row_2_7_kernelILj256ELj7EiilEEv20rocsparse_direction_T3_S2_21rocsparse_index_base_PKT1_PKT2_PKS2_S2_S3_PS4_PS7_PS2_.uses_flat_scratch, 0
	.set _ZN9rocsparseL32bsr2csr_block_per_row_2_7_kernelILj256ELj7EiilEEv20rocsparse_direction_T3_S2_21rocsparse_index_base_PKT1_PKT2_PKS2_S2_S3_PS4_PS7_PS2_.has_dyn_sized_stack, 0
	.set _ZN9rocsparseL32bsr2csr_block_per_row_2_7_kernelILj256ELj7EiilEEv20rocsparse_direction_T3_S2_21rocsparse_index_base_PKT1_PKT2_PKS2_S2_S3_PS4_PS7_PS2_.has_recursion, 0
	.set _ZN9rocsparseL32bsr2csr_block_per_row_2_7_kernelILj256ELj7EiilEEv20rocsparse_direction_T3_S2_21rocsparse_index_base_PKT1_PKT2_PKS2_S2_S3_PS4_PS7_PS2_.has_indirect_call, 0
	.section	.AMDGPU.csdata,"",@progbits
; Kernel info:
; codeLenInByte = 876
; TotalNumSgprs: 18
; NumVgprs: 40
; ScratchSize: 0
; MemoryBound: 0
; FloatMode: 240
; IeeeMode: 1
; LDSByteSize: 0 bytes/workgroup (compile time only)
; SGPRBlocks: 0
; VGPRBlocks: 2
; NumSGPRsForWavesPerEU: 18
; NumVGPRsForWavesPerEU: 40
; NamedBarCnt: 0
; Occupancy: 16
; WaveLimiterHint : 0
; COMPUTE_PGM_RSRC2:SCRATCH_EN: 0
; COMPUTE_PGM_RSRC2:USER_SGPR: 2
; COMPUTE_PGM_RSRC2:TRAP_HANDLER: 0
; COMPUTE_PGM_RSRC2:TGID_X_EN: 1
; COMPUTE_PGM_RSRC2:TGID_Y_EN: 0
; COMPUTE_PGM_RSRC2:TGID_Z_EN: 0
; COMPUTE_PGM_RSRC2:TIDIG_COMP_CNT: 0
	.section	.text._ZN9rocsparseL33bsr2csr_block_per_row_8_32_kernelILj1024ELj8EiilEEv20rocsparse_direction_T3_S2_21rocsparse_index_base_PKT1_PKT2_PKS2_S2_S3_PS4_PS7_PS2_,"axG",@progbits,_ZN9rocsparseL33bsr2csr_block_per_row_8_32_kernelILj1024ELj8EiilEEv20rocsparse_direction_T3_S2_21rocsparse_index_base_PKT1_PKT2_PKS2_S2_S3_PS4_PS7_PS2_,comdat
	.globl	_ZN9rocsparseL33bsr2csr_block_per_row_8_32_kernelILj1024ELj8EiilEEv20rocsparse_direction_T3_S2_21rocsparse_index_base_PKT1_PKT2_PKS2_S2_S3_PS4_PS7_PS2_ ; -- Begin function _ZN9rocsparseL33bsr2csr_block_per_row_8_32_kernelILj1024ELj8EiilEEv20rocsparse_direction_T3_S2_21rocsparse_index_base_PKT1_PKT2_PKS2_S2_S3_PS4_PS7_PS2_
	.p2align	8
	.type	_ZN9rocsparseL33bsr2csr_block_per_row_8_32_kernelILj1024ELj8EiilEEv20rocsparse_direction_T3_S2_21rocsparse_index_base_PKT1_PKT2_PKS2_S2_S3_PS4_PS7_PS2_,@function
_ZN9rocsparseL33bsr2csr_block_per_row_8_32_kernelILj1024ELj8EiilEEv20rocsparse_direction_T3_S2_21rocsparse_index_base_PKT1_PKT2_PKS2_S2_S3_PS4_PS7_PS2_: ; @_ZN9rocsparseL33bsr2csr_block_per_row_8_32_kernelILj1024ELj8EiilEEv20rocsparse_direction_T3_S2_21rocsparse_index_base_PKT1_PKT2_PKS2_S2_S3_PS4_PS7_PS2_
; %bb.0:
	s_clause 0x1
	s_load_b32 s8, s[0:1], 0x40
	s_load_b64 s[10:11], s[0:1], 0x50
	s_bfe_u32 s2, ttmp6, 0x4000c
	s_and_b32 s3, ttmp6, 15
	s_add_co_i32 s2, s2, 1
	s_getreg_b32 s4, hwreg(HW_REG_IB_STS2, 6, 4)
	s_mul_i32 s2, ttmp9, s2
	s_mov_b32 s13, 0
	s_add_co_i32 s3, s3, s2
	s_cmp_eq_u32 s4, 0
	s_mov_b32 s2, exec_lo
	s_cselect_b32 s12, ttmp9, s3
	s_delay_alu instid0(SALU_CYCLE_1) | instskip(NEXT) | instid1(VALU_DEP_1)
	v_or_b32_e32 v1, s12, v0
	v_cmpx_eq_u32_e32 0, v1
	s_cbranch_execz .LBB33_2
; %bb.1:
	s_wait_kmcnt 0x0
	v_dual_mov_b32 v1, 0 :: v_dual_mov_b32 v2, s8
	global_store_b32 v1, v2, s[10:11]
.LBB33_2:
	s_wait_xcnt 0x0
	s_or_b32 exec_lo, exec_lo, s2
	v_dual_mov_b32 v3, 0 :: v_dual_bitop2_b32 v2, 7, v0 bitop3:0x40
	v_bfe_u32 v4, v0, 3, 3
	s_load_b64 s[2:3], s[0:1], 0x38
	s_mov_b32 s4, exec_lo
	s_delay_alu instid0(VALU_DEP_2) | instskip(NEXT) | instid1(VALU_DEP_1)
	v_mov_b32_e32 v5, v3
	v_max_i64 v[6:7], v[4:5], v[2:3]
	s_wait_kmcnt 0x0
	s_delay_alu instid0(VALU_DEP_1)
	v_cmpx_gt_i64_e64 s[2:3], v[6:7]
	s_cbranch_execz .LBB33_6
; %bb.3:
	s_clause 0x1
	s_load_b64 s[6:7], s[0:1], 0x28
	s_load_b32 s4, s[0:1], 0x18
	s_lshl_b64 s[14:15], s[12:13], 2
	v_lshrrev_b32_e32 v1, 6, v0
	s_mul_u64 s[12:13], s[2:3], s[12:13]
	s_delay_alu instid0(SALU_CYCLE_1) | instskip(NEXT) | instid1(SALU_CYCLE_1)
	s_lshl_b64 s[12:13], s[12:13], 2
	s_add_nc_u64 s[10:11], s[10:11], s[12:13]
	s_wait_kmcnt 0x0
	s_add_nc_u64 s[6:7], s[6:7], s[14:15]
	s_load_b64 s[14:15], s[6:7], 0x0
	s_wait_xcnt 0x0
	s_mul_u64 s[6:7], s[2:3], s[2:3]
	s_wait_kmcnt 0x0
	s_sub_co_i32 s9, s14, s4
	s_sub_co_i32 s16, s15, s4
	s_mul_i32 s15, s6, s9
	s_sub_co_i32 s5, s16, s9
	v_add_nc_u32_e32 v0, s9, v1
	s_mul_i32 s14, s2, s5
	s_delay_alu instid0(SALU_CYCLE_1) | instskip(NEXT) | instid1(SALU_CYCLE_1)
	s_add_co_i32 s17, s8, s14
	s_add_co_i32 s17, s17, s15
	s_delay_alu instid0(VALU_DEP_1)
	v_cmp_gt_i32_e32 vcc_lo, s16, v0
	v_mad_u32 v6, s14, v4, s17
	global_store_b32 v4, v6, s[10:11] offset:4 scale_offset
	s_wait_xcnt 0x0
	s_and_b32 exec_lo, exec_lo, vcc_lo
	s_cbranch_execz .LBB33_6
; %bb.4:
	v_mul_u64_e32 v[6:7], s[2:3], v[2:3]
	v_mul_u64_e32 v[8:9], s[2:3], v[4:5]
	s_clause 0x2
	s_load_b64 s[10:11], s[0:1], 0x48
	s_load_b64 s[18:19], s[0:1], 0x20
	s_load_b32 s17, s[0:1], 0x0
	v_mad_u32 v1, s2, s9, v1
	v_dual_mov_b32 v11, 0 :: v_dual_lshlrev_b32 v10, 2, v4
	s_clause 0x1
	s_load_b64 s[12:13], s[0:1], 0x30
	s_load_b64 s[14:15], s[0:1], 0x58
	s_delay_alu instid0(VALU_DEP_2) | instskip(SKIP_1) | instid1(SALU_CYCLE_1)
	v_mad_u32 v1, s5, v4, v1
	s_mov_b32 s5, 0
	s_mov_b32 s9, s5
	s_wait_xcnt 0x0
	s_mov_b32 s0, s5
	s_wait_kmcnt 0x0
	s_cmp_eq_u32 s17, 0
	s_cselect_b32 vcc_lo, -1, 0
	s_lshl_b32 s1, s2, 4
	v_lshl_add_u64 v[6:7], v[6:7], 2, s[18:19]
	v_lshl_add_u64 v[4:5], v[8:9], 2, s[18:19]
	s_delay_alu instid0(VALU_DEP_2) | instskip(SKIP_1) | instid1(VALU_DEP_1)
	v_add_nc_u64_e32 v[6:7], v[6:7], v[10:11]
	v_lshlrev_b32_e32 v10, 2, v2
	v_add_nc_u64_e32 v[8:9], v[4:5], v[10:11]
	v_mad_u32 v5, s2, v1, v2
	v_add_nc_u64_e32 v[2:3], s[8:9], v[2:3]
	s_mov_b32 s8, s5
	s_delay_alu instid0(VALU_DEP_3) | instskip(NEXT) | instid1(VALU_DEP_4)
	v_dual_mov_b32 v4, v11 :: v_dual_cndmask_b32 v6, v6, v8, vcc_lo
	v_cndmask_b32_e32 v7, v7, v9, vcc_lo
.LBB33_5:                               ; =>This Inner Loop Header: Depth=1
	v_ashrrev_i32_e32 v1, 31, v0
	global_load_b64 v[8:9], v0, s[12:13] scale_offset
	v_ashrrev_i64 v[12:13], 29, v[4:5]
	v_ashrrev_i64 v[14:15], 30, v[4:5]
	v_add_nc_u64_e32 v[4:5], s[0:1], v[4:5]
	v_mul_u64_e32 v[10:11], s[6:7], v[0:1]
	s_wait_xcnt 0x0
	v_add_nc_u32_e32 v0, 16, v0
	s_delay_alu instid0(VALU_DEP_1) | instskip(SKIP_1) | instid1(VALU_DEP_3)
	v_cmp_le_i32_e32 vcc_lo, s16, v0
	s_or_b32 s8, vcc_lo, s8
	v_lshl_add_u64 v[10:11], v[10:11], 2, v[6:7]
	global_load_b32 v1, v[10:11], off
	s_wait_loadcnt 0x1
	v_sub_nc_u64_e64 v[8:9], v[8:9], s[4:5]
	s_wait_xcnt 0x0
	s_delay_alu instid0(VALU_DEP_1) | instskip(NEXT) | instid1(VALU_DEP_1)
	v_mad_nc_u64_u32 v[10:11], v8, s2, v[2:3]
	v_mad_u32 v9, v9, s2, v11
	s_delay_alu instid0(VALU_DEP_1)
	v_mad_u32 v11, v8, s3, v9
	v_add_nc_u64_e32 v[8:9], s[14:15], v[12:13]
	v_add_nc_u64_e32 v[12:13], s[10:11], v[14:15]
	global_store_b64 v[8:9], v[10:11], off
	s_wait_loadcnt 0x0
	global_store_b32 v[12:13], v1, off
	s_wait_xcnt 0x0
	s_and_not1_b32 exec_lo, exec_lo, s8
	s_cbranch_execnz .LBB33_5
.LBB33_6:
	s_endpgm
	.section	.rodata,"a",@progbits
	.p2align	6, 0x0
	.amdhsa_kernel _ZN9rocsparseL33bsr2csr_block_per_row_8_32_kernelILj1024ELj8EiilEEv20rocsparse_direction_T3_S2_21rocsparse_index_base_PKT1_PKT2_PKS2_S2_S3_PS4_PS7_PS2_
		.amdhsa_group_segment_fixed_size 0
		.amdhsa_private_segment_fixed_size 0
		.amdhsa_kernarg_size 96
		.amdhsa_user_sgpr_count 2
		.amdhsa_user_sgpr_dispatch_ptr 0
		.amdhsa_user_sgpr_queue_ptr 0
		.amdhsa_user_sgpr_kernarg_segment_ptr 1
		.amdhsa_user_sgpr_dispatch_id 0
		.amdhsa_user_sgpr_kernarg_preload_length 0
		.amdhsa_user_sgpr_kernarg_preload_offset 0
		.amdhsa_user_sgpr_private_segment_size 0
		.amdhsa_wavefront_size32 1
		.amdhsa_uses_dynamic_stack 0
		.amdhsa_enable_private_segment 0
		.amdhsa_system_sgpr_workgroup_id_x 1
		.amdhsa_system_sgpr_workgroup_id_y 0
		.amdhsa_system_sgpr_workgroup_id_z 0
		.amdhsa_system_sgpr_workgroup_info 0
		.amdhsa_system_vgpr_workitem_id 0
		.amdhsa_next_free_vgpr 16
		.amdhsa_next_free_sgpr 20
		.amdhsa_named_barrier_count 0
		.amdhsa_reserve_vcc 1
		.amdhsa_float_round_mode_32 0
		.amdhsa_float_round_mode_16_64 0
		.amdhsa_float_denorm_mode_32 3
		.amdhsa_float_denorm_mode_16_64 3
		.amdhsa_fp16_overflow 0
		.amdhsa_memory_ordered 1
		.amdhsa_forward_progress 1
		.amdhsa_inst_pref_size 6
		.amdhsa_round_robin_scheduling 0
		.amdhsa_exception_fp_ieee_invalid_op 0
		.amdhsa_exception_fp_denorm_src 0
		.amdhsa_exception_fp_ieee_div_zero 0
		.amdhsa_exception_fp_ieee_overflow 0
		.amdhsa_exception_fp_ieee_underflow 0
		.amdhsa_exception_fp_ieee_inexact 0
		.amdhsa_exception_int_div_zero 0
	.end_amdhsa_kernel
	.section	.text._ZN9rocsparseL33bsr2csr_block_per_row_8_32_kernelILj1024ELj8EiilEEv20rocsparse_direction_T3_S2_21rocsparse_index_base_PKT1_PKT2_PKS2_S2_S3_PS4_PS7_PS2_,"axG",@progbits,_ZN9rocsparseL33bsr2csr_block_per_row_8_32_kernelILj1024ELj8EiilEEv20rocsparse_direction_T3_S2_21rocsparse_index_base_PKT1_PKT2_PKS2_S2_S3_PS4_PS7_PS2_,comdat
.Lfunc_end33:
	.size	_ZN9rocsparseL33bsr2csr_block_per_row_8_32_kernelILj1024ELj8EiilEEv20rocsparse_direction_T3_S2_21rocsparse_index_base_PKT1_PKT2_PKS2_S2_S3_PS4_PS7_PS2_, .Lfunc_end33-_ZN9rocsparseL33bsr2csr_block_per_row_8_32_kernelILj1024ELj8EiilEEv20rocsparse_direction_T3_S2_21rocsparse_index_base_PKT1_PKT2_PKS2_S2_S3_PS4_PS7_PS2_
                                        ; -- End function
	.set _ZN9rocsparseL33bsr2csr_block_per_row_8_32_kernelILj1024ELj8EiilEEv20rocsparse_direction_T3_S2_21rocsparse_index_base_PKT1_PKT2_PKS2_S2_S3_PS4_PS7_PS2_.num_vgpr, 16
	.set _ZN9rocsparseL33bsr2csr_block_per_row_8_32_kernelILj1024ELj8EiilEEv20rocsparse_direction_T3_S2_21rocsparse_index_base_PKT1_PKT2_PKS2_S2_S3_PS4_PS7_PS2_.num_agpr, 0
	.set _ZN9rocsparseL33bsr2csr_block_per_row_8_32_kernelILj1024ELj8EiilEEv20rocsparse_direction_T3_S2_21rocsparse_index_base_PKT1_PKT2_PKS2_S2_S3_PS4_PS7_PS2_.numbered_sgpr, 20
	.set _ZN9rocsparseL33bsr2csr_block_per_row_8_32_kernelILj1024ELj8EiilEEv20rocsparse_direction_T3_S2_21rocsparse_index_base_PKT1_PKT2_PKS2_S2_S3_PS4_PS7_PS2_.num_named_barrier, 0
	.set _ZN9rocsparseL33bsr2csr_block_per_row_8_32_kernelILj1024ELj8EiilEEv20rocsparse_direction_T3_S2_21rocsparse_index_base_PKT1_PKT2_PKS2_S2_S3_PS4_PS7_PS2_.private_seg_size, 0
	.set _ZN9rocsparseL33bsr2csr_block_per_row_8_32_kernelILj1024ELj8EiilEEv20rocsparse_direction_T3_S2_21rocsparse_index_base_PKT1_PKT2_PKS2_S2_S3_PS4_PS7_PS2_.uses_vcc, 1
	.set _ZN9rocsparseL33bsr2csr_block_per_row_8_32_kernelILj1024ELj8EiilEEv20rocsparse_direction_T3_S2_21rocsparse_index_base_PKT1_PKT2_PKS2_S2_S3_PS4_PS7_PS2_.uses_flat_scratch, 0
	.set _ZN9rocsparseL33bsr2csr_block_per_row_8_32_kernelILj1024ELj8EiilEEv20rocsparse_direction_T3_S2_21rocsparse_index_base_PKT1_PKT2_PKS2_S2_S3_PS4_PS7_PS2_.has_dyn_sized_stack, 0
	.set _ZN9rocsparseL33bsr2csr_block_per_row_8_32_kernelILj1024ELj8EiilEEv20rocsparse_direction_T3_S2_21rocsparse_index_base_PKT1_PKT2_PKS2_S2_S3_PS4_PS7_PS2_.has_recursion, 0
	.set _ZN9rocsparseL33bsr2csr_block_per_row_8_32_kernelILj1024ELj8EiilEEv20rocsparse_direction_T3_S2_21rocsparse_index_base_PKT1_PKT2_PKS2_S2_S3_PS4_PS7_PS2_.has_indirect_call, 0
	.section	.AMDGPU.csdata,"",@progbits
; Kernel info:
; codeLenInByte = 692
; TotalNumSgprs: 22
; NumVgprs: 16
; ScratchSize: 0
; MemoryBound: 0
; FloatMode: 240
; IeeeMode: 1
; LDSByteSize: 0 bytes/workgroup (compile time only)
; SGPRBlocks: 0
; VGPRBlocks: 0
; NumSGPRsForWavesPerEU: 22
; NumVGPRsForWavesPerEU: 16
; NamedBarCnt: 0
; Occupancy: 16
; WaveLimiterHint : 0
; COMPUTE_PGM_RSRC2:SCRATCH_EN: 0
; COMPUTE_PGM_RSRC2:USER_SGPR: 2
; COMPUTE_PGM_RSRC2:TRAP_HANDLER: 0
; COMPUTE_PGM_RSRC2:TGID_X_EN: 1
; COMPUTE_PGM_RSRC2:TGID_Y_EN: 0
; COMPUTE_PGM_RSRC2:TGID_Z_EN: 0
; COMPUTE_PGM_RSRC2:TIDIG_COMP_CNT: 0
	.section	.text._ZN9rocsparseL33bsr2csr_block_per_row_8_32_kernelILj1024ELj16EiilEEv20rocsparse_direction_T3_S2_21rocsparse_index_base_PKT1_PKT2_PKS2_S2_S3_PS4_PS7_PS2_,"axG",@progbits,_ZN9rocsparseL33bsr2csr_block_per_row_8_32_kernelILj1024ELj16EiilEEv20rocsparse_direction_T3_S2_21rocsparse_index_base_PKT1_PKT2_PKS2_S2_S3_PS4_PS7_PS2_,comdat
	.globl	_ZN9rocsparseL33bsr2csr_block_per_row_8_32_kernelILj1024ELj16EiilEEv20rocsparse_direction_T3_S2_21rocsparse_index_base_PKT1_PKT2_PKS2_S2_S3_PS4_PS7_PS2_ ; -- Begin function _ZN9rocsparseL33bsr2csr_block_per_row_8_32_kernelILj1024ELj16EiilEEv20rocsparse_direction_T3_S2_21rocsparse_index_base_PKT1_PKT2_PKS2_S2_S3_PS4_PS7_PS2_
	.p2align	8
	.type	_ZN9rocsparseL33bsr2csr_block_per_row_8_32_kernelILj1024ELj16EiilEEv20rocsparse_direction_T3_S2_21rocsparse_index_base_PKT1_PKT2_PKS2_S2_S3_PS4_PS7_PS2_,@function
_ZN9rocsparseL33bsr2csr_block_per_row_8_32_kernelILj1024ELj16EiilEEv20rocsparse_direction_T3_S2_21rocsparse_index_base_PKT1_PKT2_PKS2_S2_S3_PS4_PS7_PS2_: ; @_ZN9rocsparseL33bsr2csr_block_per_row_8_32_kernelILj1024ELj16EiilEEv20rocsparse_direction_T3_S2_21rocsparse_index_base_PKT1_PKT2_PKS2_S2_S3_PS4_PS7_PS2_
; %bb.0:
	s_clause 0x1
	s_load_b32 s8, s[0:1], 0x40
	s_load_b64 s[10:11], s[0:1], 0x50
	s_bfe_u32 s2, ttmp6, 0x4000c
	s_and_b32 s3, ttmp6, 15
	s_add_co_i32 s2, s2, 1
	s_getreg_b32 s4, hwreg(HW_REG_IB_STS2, 6, 4)
	s_mul_i32 s2, ttmp9, s2
	s_mov_b32 s13, 0
	s_add_co_i32 s3, s3, s2
	s_cmp_eq_u32 s4, 0
	s_mov_b32 s2, exec_lo
	s_cselect_b32 s12, ttmp9, s3
	s_delay_alu instid0(SALU_CYCLE_1) | instskip(NEXT) | instid1(VALU_DEP_1)
	v_or_b32_e32 v1, s12, v0
	v_cmpx_eq_u32_e32 0, v1
	s_cbranch_execz .LBB34_2
; %bb.1:
	s_wait_kmcnt 0x0
	v_dual_mov_b32 v1, 0 :: v_dual_mov_b32 v2, s8
	global_store_b32 v1, v2, s[10:11]
.LBB34_2:
	s_wait_xcnt 0x0
	s_or_b32 exec_lo, exec_lo, s2
	v_dual_mov_b32 v3, 0 :: v_dual_bitop2_b32 v2, 15, v0 bitop3:0x40
	v_bfe_u32 v4, v0, 4, 4
	s_load_b64 s[2:3], s[0:1], 0x38
	s_mov_b32 s4, exec_lo
	s_delay_alu instid0(VALU_DEP_2) | instskip(NEXT) | instid1(VALU_DEP_1)
	v_mov_b32_e32 v5, v3
	v_max_i64 v[6:7], v[4:5], v[2:3]
	s_wait_kmcnt 0x0
	s_delay_alu instid0(VALU_DEP_1)
	v_cmpx_gt_i64_e64 s[2:3], v[6:7]
	s_cbranch_execz .LBB34_6
; %bb.3:
	s_clause 0x1
	s_load_b64 s[6:7], s[0:1], 0x28
	s_load_b32 s4, s[0:1], 0x18
	s_lshl_b64 s[14:15], s[12:13], 2
	v_lshrrev_b32_e32 v1, 8, v0
	s_mul_u64 s[12:13], s[2:3], s[12:13]
	s_delay_alu instid0(SALU_CYCLE_1) | instskip(NEXT) | instid1(SALU_CYCLE_1)
	s_lshl_b64 s[12:13], s[12:13], 2
	s_add_nc_u64 s[10:11], s[10:11], s[12:13]
	s_wait_kmcnt 0x0
	s_add_nc_u64 s[6:7], s[6:7], s[14:15]
	s_load_b64 s[14:15], s[6:7], 0x0
	s_wait_xcnt 0x0
	s_mul_u64 s[6:7], s[2:3], s[2:3]
	s_wait_kmcnt 0x0
	s_sub_co_i32 s9, s14, s4
	s_sub_co_i32 s16, s15, s4
	s_mul_i32 s15, s6, s9
	s_sub_co_i32 s5, s16, s9
	v_add_nc_u32_e32 v0, s9, v1
	s_mul_i32 s14, s2, s5
	s_delay_alu instid0(SALU_CYCLE_1) | instskip(NEXT) | instid1(SALU_CYCLE_1)
	s_add_co_i32 s17, s8, s14
	s_add_co_i32 s17, s17, s15
	s_delay_alu instid0(VALU_DEP_1)
	v_cmp_gt_i32_e32 vcc_lo, s16, v0
	v_mad_u32 v6, s14, v4, s17
	global_store_b32 v4, v6, s[10:11] offset:4 scale_offset
	s_wait_xcnt 0x0
	s_and_b32 exec_lo, exec_lo, vcc_lo
	s_cbranch_execz .LBB34_6
; %bb.4:
	v_mul_u64_e32 v[6:7], s[2:3], v[2:3]
	v_mul_u64_e32 v[8:9], s[2:3], v[4:5]
	s_clause 0x2
	s_load_b64 s[10:11], s[0:1], 0x48
	s_load_b64 s[18:19], s[0:1], 0x20
	s_load_b32 s17, s[0:1], 0x0
	v_mad_u32 v1, s2, s9, v1
	v_dual_mov_b32 v11, 0 :: v_dual_lshlrev_b32 v10, 2, v4
	s_clause 0x1
	s_load_b64 s[12:13], s[0:1], 0x30
	s_load_b64 s[14:15], s[0:1], 0x58
	s_delay_alu instid0(VALU_DEP_2) | instskip(SKIP_1) | instid1(SALU_CYCLE_1)
	v_mad_u32 v1, s5, v4, v1
	s_mov_b32 s5, 0
	s_mov_b32 s9, s5
	s_wait_xcnt 0x0
	s_mov_b32 s0, s5
	s_wait_kmcnt 0x0
	s_cmp_eq_u32 s17, 0
	s_cselect_b32 vcc_lo, -1, 0
	s_lshl_b32 s1, s2, 2
	v_lshl_add_u64 v[6:7], v[6:7], 2, s[18:19]
	v_lshl_add_u64 v[4:5], v[8:9], 2, s[18:19]
	s_delay_alu instid0(VALU_DEP_2) | instskip(SKIP_1) | instid1(VALU_DEP_1)
	v_add_nc_u64_e32 v[6:7], v[6:7], v[10:11]
	v_lshlrev_b32_e32 v10, 2, v2
	v_add_nc_u64_e32 v[8:9], v[4:5], v[10:11]
	v_mad_u32 v5, s2, v1, v2
	v_add_nc_u64_e32 v[2:3], s[8:9], v[2:3]
	s_mov_b32 s8, s5
	s_delay_alu instid0(VALU_DEP_3) | instskip(NEXT) | instid1(VALU_DEP_4)
	v_dual_mov_b32 v4, v11 :: v_dual_cndmask_b32 v6, v6, v8, vcc_lo
	v_cndmask_b32_e32 v7, v7, v9, vcc_lo
.LBB34_5:                               ; =>This Inner Loop Header: Depth=1
	v_ashrrev_i32_e32 v1, 31, v0
	global_load_b64 v[8:9], v0, s[12:13] scale_offset
	v_ashrrev_i64 v[12:13], 29, v[4:5]
	v_ashrrev_i64 v[14:15], 30, v[4:5]
	v_add_nc_u64_e32 v[4:5], s[0:1], v[4:5]
	v_mul_u64_e32 v[10:11], s[6:7], v[0:1]
	s_wait_xcnt 0x0
	v_add_nc_u32_e32 v0, 4, v0
	s_delay_alu instid0(VALU_DEP_1) | instskip(SKIP_1) | instid1(VALU_DEP_3)
	v_cmp_le_i32_e32 vcc_lo, s16, v0
	s_or_b32 s8, vcc_lo, s8
	v_lshl_add_u64 v[10:11], v[10:11], 2, v[6:7]
	global_load_b32 v1, v[10:11], off
	s_wait_loadcnt 0x1
	v_sub_nc_u64_e64 v[8:9], v[8:9], s[4:5]
	s_wait_xcnt 0x0
	s_delay_alu instid0(VALU_DEP_1) | instskip(NEXT) | instid1(VALU_DEP_1)
	v_mad_nc_u64_u32 v[10:11], v8, s2, v[2:3]
	v_mad_u32 v9, v9, s2, v11
	s_delay_alu instid0(VALU_DEP_1)
	v_mad_u32 v11, v8, s3, v9
	v_add_nc_u64_e32 v[8:9], s[14:15], v[12:13]
	v_add_nc_u64_e32 v[12:13], s[10:11], v[14:15]
	global_store_b64 v[8:9], v[10:11], off
	s_wait_loadcnt 0x0
	global_store_b32 v[12:13], v1, off
	s_wait_xcnt 0x0
	s_and_not1_b32 exec_lo, exec_lo, s8
	s_cbranch_execnz .LBB34_5
.LBB34_6:
	s_endpgm
	.section	.rodata,"a",@progbits
	.p2align	6, 0x0
	.amdhsa_kernel _ZN9rocsparseL33bsr2csr_block_per_row_8_32_kernelILj1024ELj16EiilEEv20rocsparse_direction_T3_S2_21rocsparse_index_base_PKT1_PKT2_PKS2_S2_S3_PS4_PS7_PS2_
		.amdhsa_group_segment_fixed_size 0
		.amdhsa_private_segment_fixed_size 0
		.amdhsa_kernarg_size 96
		.amdhsa_user_sgpr_count 2
		.amdhsa_user_sgpr_dispatch_ptr 0
		.amdhsa_user_sgpr_queue_ptr 0
		.amdhsa_user_sgpr_kernarg_segment_ptr 1
		.amdhsa_user_sgpr_dispatch_id 0
		.amdhsa_user_sgpr_kernarg_preload_length 0
		.amdhsa_user_sgpr_kernarg_preload_offset 0
		.amdhsa_user_sgpr_private_segment_size 0
		.amdhsa_wavefront_size32 1
		.amdhsa_uses_dynamic_stack 0
		.amdhsa_enable_private_segment 0
		.amdhsa_system_sgpr_workgroup_id_x 1
		.amdhsa_system_sgpr_workgroup_id_y 0
		.amdhsa_system_sgpr_workgroup_id_z 0
		.amdhsa_system_sgpr_workgroup_info 0
		.amdhsa_system_vgpr_workitem_id 0
		.amdhsa_next_free_vgpr 16
		.amdhsa_next_free_sgpr 20
		.amdhsa_named_barrier_count 0
		.amdhsa_reserve_vcc 1
		.amdhsa_float_round_mode_32 0
		.amdhsa_float_round_mode_16_64 0
		.amdhsa_float_denorm_mode_32 3
		.amdhsa_float_denorm_mode_16_64 3
		.amdhsa_fp16_overflow 0
		.amdhsa_memory_ordered 1
		.amdhsa_forward_progress 1
		.amdhsa_inst_pref_size 6
		.amdhsa_round_robin_scheduling 0
		.amdhsa_exception_fp_ieee_invalid_op 0
		.amdhsa_exception_fp_denorm_src 0
		.amdhsa_exception_fp_ieee_div_zero 0
		.amdhsa_exception_fp_ieee_overflow 0
		.amdhsa_exception_fp_ieee_underflow 0
		.amdhsa_exception_fp_ieee_inexact 0
		.amdhsa_exception_int_div_zero 0
	.end_amdhsa_kernel
	.section	.text._ZN9rocsparseL33bsr2csr_block_per_row_8_32_kernelILj1024ELj16EiilEEv20rocsparse_direction_T3_S2_21rocsparse_index_base_PKT1_PKT2_PKS2_S2_S3_PS4_PS7_PS2_,"axG",@progbits,_ZN9rocsparseL33bsr2csr_block_per_row_8_32_kernelILj1024ELj16EiilEEv20rocsparse_direction_T3_S2_21rocsparse_index_base_PKT1_PKT2_PKS2_S2_S3_PS4_PS7_PS2_,comdat
.Lfunc_end34:
	.size	_ZN9rocsparseL33bsr2csr_block_per_row_8_32_kernelILj1024ELj16EiilEEv20rocsparse_direction_T3_S2_21rocsparse_index_base_PKT1_PKT2_PKS2_S2_S3_PS4_PS7_PS2_, .Lfunc_end34-_ZN9rocsparseL33bsr2csr_block_per_row_8_32_kernelILj1024ELj16EiilEEv20rocsparse_direction_T3_S2_21rocsparse_index_base_PKT1_PKT2_PKS2_S2_S3_PS4_PS7_PS2_
                                        ; -- End function
	.set _ZN9rocsparseL33bsr2csr_block_per_row_8_32_kernelILj1024ELj16EiilEEv20rocsparse_direction_T3_S2_21rocsparse_index_base_PKT1_PKT2_PKS2_S2_S3_PS4_PS7_PS2_.num_vgpr, 16
	.set _ZN9rocsparseL33bsr2csr_block_per_row_8_32_kernelILj1024ELj16EiilEEv20rocsparse_direction_T3_S2_21rocsparse_index_base_PKT1_PKT2_PKS2_S2_S3_PS4_PS7_PS2_.num_agpr, 0
	.set _ZN9rocsparseL33bsr2csr_block_per_row_8_32_kernelILj1024ELj16EiilEEv20rocsparse_direction_T3_S2_21rocsparse_index_base_PKT1_PKT2_PKS2_S2_S3_PS4_PS7_PS2_.numbered_sgpr, 20
	.set _ZN9rocsparseL33bsr2csr_block_per_row_8_32_kernelILj1024ELj16EiilEEv20rocsparse_direction_T3_S2_21rocsparse_index_base_PKT1_PKT2_PKS2_S2_S3_PS4_PS7_PS2_.num_named_barrier, 0
	.set _ZN9rocsparseL33bsr2csr_block_per_row_8_32_kernelILj1024ELj16EiilEEv20rocsparse_direction_T3_S2_21rocsparse_index_base_PKT1_PKT2_PKS2_S2_S3_PS4_PS7_PS2_.private_seg_size, 0
	.set _ZN9rocsparseL33bsr2csr_block_per_row_8_32_kernelILj1024ELj16EiilEEv20rocsparse_direction_T3_S2_21rocsparse_index_base_PKT1_PKT2_PKS2_S2_S3_PS4_PS7_PS2_.uses_vcc, 1
	.set _ZN9rocsparseL33bsr2csr_block_per_row_8_32_kernelILj1024ELj16EiilEEv20rocsparse_direction_T3_S2_21rocsparse_index_base_PKT1_PKT2_PKS2_S2_S3_PS4_PS7_PS2_.uses_flat_scratch, 0
	.set _ZN9rocsparseL33bsr2csr_block_per_row_8_32_kernelILj1024ELj16EiilEEv20rocsparse_direction_T3_S2_21rocsparse_index_base_PKT1_PKT2_PKS2_S2_S3_PS4_PS7_PS2_.has_dyn_sized_stack, 0
	.set _ZN9rocsparseL33bsr2csr_block_per_row_8_32_kernelILj1024ELj16EiilEEv20rocsparse_direction_T3_S2_21rocsparse_index_base_PKT1_PKT2_PKS2_S2_S3_PS4_PS7_PS2_.has_recursion, 0
	.set _ZN9rocsparseL33bsr2csr_block_per_row_8_32_kernelILj1024ELj16EiilEEv20rocsparse_direction_T3_S2_21rocsparse_index_base_PKT1_PKT2_PKS2_S2_S3_PS4_PS7_PS2_.has_indirect_call, 0
	.section	.AMDGPU.csdata,"",@progbits
; Kernel info:
; codeLenInByte = 692
; TotalNumSgprs: 22
; NumVgprs: 16
; ScratchSize: 0
; MemoryBound: 0
; FloatMode: 240
; IeeeMode: 1
; LDSByteSize: 0 bytes/workgroup (compile time only)
; SGPRBlocks: 0
; VGPRBlocks: 0
; NumSGPRsForWavesPerEU: 22
; NumVGPRsForWavesPerEU: 16
; NamedBarCnt: 0
; Occupancy: 16
; WaveLimiterHint : 0
; COMPUTE_PGM_RSRC2:SCRATCH_EN: 0
; COMPUTE_PGM_RSRC2:USER_SGPR: 2
; COMPUTE_PGM_RSRC2:TRAP_HANDLER: 0
; COMPUTE_PGM_RSRC2:TGID_X_EN: 1
; COMPUTE_PGM_RSRC2:TGID_Y_EN: 0
; COMPUTE_PGM_RSRC2:TGID_Z_EN: 0
; COMPUTE_PGM_RSRC2:TIDIG_COMP_CNT: 0
	.section	.text._ZN9rocsparseL33bsr2csr_block_per_row_8_32_kernelILj1024ELj32EiilEEv20rocsparse_direction_T3_S2_21rocsparse_index_base_PKT1_PKT2_PKS2_S2_S3_PS4_PS7_PS2_,"axG",@progbits,_ZN9rocsparseL33bsr2csr_block_per_row_8_32_kernelILj1024ELj32EiilEEv20rocsparse_direction_T3_S2_21rocsparse_index_base_PKT1_PKT2_PKS2_S2_S3_PS4_PS7_PS2_,comdat
	.globl	_ZN9rocsparseL33bsr2csr_block_per_row_8_32_kernelILj1024ELj32EiilEEv20rocsparse_direction_T3_S2_21rocsparse_index_base_PKT1_PKT2_PKS2_S2_S3_PS4_PS7_PS2_ ; -- Begin function _ZN9rocsparseL33bsr2csr_block_per_row_8_32_kernelILj1024ELj32EiilEEv20rocsparse_direction_T3_S2_21rocsparse_index_base_PKT1_PKT2_PKS2_S2_S3_PS4_PS7_PS2_
	.p2align	8
	.type	_ZN9rocsparseL33bsr2csr_block_per_row_8_32_kernelILj1024ELj32EiilEEv20rocsparse_direction_T3_S2_21rocsparse_index_base_PKT1_PKT2_PKS2_S2_S3_PS4_PS7_PS2_,@function
_ZN9rocsparseL33bsr2csr_block_per_row_8_32_kernelILj1024ELj32EiilEEv20rocsparse_direction_T3_S2_21rocsparse_index_base_PKT1_PKT2_PKS2_S2_S3_PS4_PS7_PS2_: ; @_ZN9rocsparseL33bsr2csr_block_per_row_8_32_kernelILj1024ELj32EiilEEv20rocsparse_direction_T3_S2_21rocsparse_index_base_PKT1_PKT2_PKS2_S2_S3_PS4_PS7_PS2_
; %bb.0:
	s_clause 0x1
	s_load_b32 s8, s[0:1], 0x40
	s_load_b64 s[10:11], s[0:1], 0x50
	s_bfe_u32 s2, ttmp6, 0x4000c
	s_and_b32 s3, ttmp6, 15
	s_add_co_i32 s2, s2, 1
	s_getreg_b32 s4, hwreg(HW_REG_IB_STS2, 6, 4)
	s_mul_i32 s2, ttmp9, s2
	s_mov_b32 s15, 0
	s_add_co_i32 s3, s3, s2
	s_cmp_eq_u32 s4, 0
	s_mov_b32 s2, exec_lo
	s_cselect_b32 s14, ttmp9, s3
	s_delay_alu instid0(SALU_CYCLE_1) | instskip(NEXT) | instid1(VALU_DEP_1)
	v_or_b32_e32 v1, s14, v0
	v_cmpx_eq_u32_e32 0, v1
	s_cbranch_execz .LBB35_2
; %bb.1:
	s_wait_kmcnt 0x0
	v_dual_mov_b32 v1, 0 :: v_dual_mov_b32 v2, s8
	global_store_b32 v1, v2, s[10:11]
.LBB35_2:
	s_wait_xcnt 0x0
	s_or_b32 exec_lo, exec_lo, s2
	v_dual_mov_b32 v3, 0 :: v_dual_bitop2_b32 v2, 31, v0 bitop3:0x40
	v_lshrrev_b32_e32 v0, 5, v0
	s_load_b64 s[2:3], s[0:1], 0x38
	s_mov_b32 s4, exec_lo
	s_delay_alu instid0(VALU_DEP_2) | instskip(NEXT) | instid1(VALU_DEP_1)
	v_mov_b32_e32 v1, v3
	v_max_i64 v[4:5], v[0:1], v[2:3]
	s_wait_kmcnt 0x0
	s_delay_alu instid0(VALU_DEP_1)
	v_cmpx_gt_i64_e64 s[2:3], v[4:5]
	s_cbranch_execz .LBB35_6
; %bb.3:
	s_clause 0x1
	s_load_b64 s[6:7], s[0:1], 0x28
	s_load_b32 s4, s[0:1], 0x18
	s_lshl_b64 s[12:13], s[14:15], 2
	s_mul_u64 s[14:15], s[2:3], s[14:15]
	s_delay_alu instid0(SALU_CYCLE_1) | instskip(NEXT) | instid1(SALU_CYCLE_1)
	s_lshl_b64 s[14:15], s[14:15], 2
	s_add_nc_u64 s[10:11], s[10:11], s[14:15]
	s_wait_kmcnt 0x0
	s_add_nc_u64 s[6:7], s[6:7], s[12:13]
	s_mul_u64 s[12:13], s[2:3], s[2:3]
	s_load_b64 s[18:19], s[6:7], 0x0
	s_wait_kmcnt 0x0
	s_sub_co_i32 s6, s18, s4
	s_sub_co_i32 s16, s19, s4
	s_mul_i32 s9, s12, s6
	s_sub_co_i32 s5, s16, s6
	s_delay_alu instid0(SALU_CYCLE_1) | instskip(NEXT) | instid1(SALU_CYCLE_1)
	s_mul_i32 s7, s2, s5
	s_add_co_i32 s17, s8, s7
	s_delay_alu instid0(SALU_CYCLE_1)
	s_add_co_i32 s17, s17, s9
	s_cmp_ge_i32 s18, s19
	v_mad_u32 v4, s7, v0, s17
	global_store_b32 v0, v4, s[10:11] offset:4 scale_offset
	s_cbranch_scc1 .LBB35_6
; %bb.4:
	s_wait_xcnt 0x0
	v_mul_u64_e32 v[4:5], s[2:3], v[2:3]
	v_mul_u64_e32 v[6:7], s[2:3], v[0:1]
	s_clause 0x3
	s_load_b64 s[14:15], s[0:1], 0x20
	s_load_b64 s[18:19], s[0:1], 0x30
	;; [unrolled: 1-line block ×3, first 2 shown]
	s_load_b32 s7, s[0:1], 0x0
	v_mul_lo_u32 v10, v0, s5
	v_dual_mov_b32 v9, 0 :: v_dual_lshlrev_b32 v8, 2, v0
	s_wait_xcnt 0x0
	s_load_b64 s[0:1], s[0:1], 0x58
	s_mov_b32 s5, 0
	s_delay_alu instid0(SALU_CYCLE_1) | instskip(NEXT) | instid1(VALU_DEP_2)
	s_mov_b32 s9, s5
	v_mad_u32 v10, s2, s6, v10
	s_wait_kmcnt 0x0
	s_cmp_eq_u32 s7, 0
	s_cselect_b32 vcc_lo, -1, 0
	s_ashr_i32 s7, s6, 31
	s_delay_alu instid0(SALU_CYCLE_1) | instskip(SKIP_4) | instid1(VALU_DEP_2)
	s_lshl_b64 s[20:21], s[6:7], 3
	v_lshl_add_u64 v[0:1], v[4:5], 2, s[14:15]
	v_lshl_add_u64 v[4:5], v[6:7], 2, s[14:15]
	s_mul_u64 s[14:15], s[12:13], s[6:7]
	s_lshl_b64 s[12:13], s[12:13], 2
	v_add_nc_u64_e32 v[6:7], v[0:1], v[8:9]
	v_lshlrev_b32_e32 v8, 2, v2
	v_add_nc_u64_e32 v[0:1], s[8:9], v[2:3]
	v_mad_u32 v3, s2, v10, v2
	s_mov_b32 s8, s5
	s_mov_b32 s9, s2
	v_add_nc_u64_e32 v[4:5], v[4:5], v[8:9]
	s_delay_alu instid0(VALU_DEP_1) | instskip(NEXT) | instid1(VALU_DEP_2)
	v_dual_mov_b32 v2, v9 :: v_dual_cndmask_b32 v4, v6, v4, vcc_lo
	v_cndmask_b32_e32 v5, v7, v5, vcc_lo
	s_delay_alu instid0(VALU_DEP_1)
	v_lshl_add_u64 v[4:5], s[14:15], 2, v[4:5]
	s_add_nc_u64 s[14:15], s[18:19], s[20:21]
.LBB35_5:                               ; =>This Inner Loop Header: Depth=1
	global_load_b32 v12, v[4:5], off
	s_load_b64 s[18:19], s[14:15], 0x0
	v_ashrrev_i64 v[6:7], 29, v[2:3]
	v_ashrrev_i64 v[10:11], 30, v[2:3]
	v_add_nc_u64_e32 v[2:3], s[8:9], v[2:3]
	v_add_nc_u64_e32 v[4:5], s[12:13], v[4:5]
	s_add_co_i32 s6, s6, 1
	s_wait_xcnt 0x0
	s_add_nc_u64 s[14:15], s[14:15], 8
	s_cmp_lt_i32 s6, s16
	v_add_nc_u64_e32 v[6:7], s[0:1], v[6:7]
	v_add_nc_u64_e32 v[10:11], s[10:11], v[10:11]
	s_wait_kmcnt 0x0
	s_sub_nc_u64 s[18:19], s[18:19], s[4:5]
	s_delay_alu instid0(SALU_CYCLE_1)
	v_mad_nc_u64_u32 v[8:9], s18, s2, v[0:1]
	s_mul_i32 s7, s19, s2
	s_mul_i32 s17, s18, s3
	s_delay_alu instid0(VALU_DEP_1) | instid1(SALU_CYCLE_1)
	v_add3_u32 v9, s17, s7, v9
	global_store_b64 v[6:7], v[8:9], off
	s_wait_loadcnt 0x0
	global_store_b32 v[10:11], v12, off
	s_cbranch_scc1 .LBB35_5
.LBB35_6:
	s_endpgm
	.section	.rodata,"a",@progbits
	.p2align	6, 0x0
	.amdhsa_kernel _ZN9rocsparseL33bsr2csr_block_per_row_8_32_kernelILj1024ELj32EiilEEv20rocsparse_direction_T3_S2_21rocsparse_index_base_PKT1_PKT2_PKS2_S2_S3_PS4_PS7_PS2_
		.amdhsa_group_segment_fixed_size 0
		.amdhsa_private_segment_fixed_size 0
		.amdhsa_kernarg_size 96
		.amdhsa_user_sgpr_count 2
		.amdhsa_user_sgpr_dispatch_ptr 0
		.amdhsa_user_sgpr_queue_ptr 0
		.amdhsa_user_sgpr_kernarg_segment_ptr 1
		.amdhsa_user_sgpr_dispatch_id 0
		.amdhsa_user_sgpr_kernarg_preload_length 0
		.amdhsa_user_sgpr_kernarg_preload_offset 0
		.amdhsa_user_sgpr_private_segment_size 0
		.amdhsa_wavefront_size32 1
		.amdhsa_uses_dynamic_stack 0
		.amdhsa_enable_private_segment 0
		.amdhsa_system_sgpr_workgroup_id_x 1
		.amdhsa_system_sgpr_workgroup_id_y 0
		.amdhsa_system_sgpr_workgroup_id_z 0
		.amdhsa_system_sgpr_workgroup_info 0
		.amdhsa_system_vgpr_workitem_id 0
		.amdhsa_next_free_vgpr 13
		.amdhsa_next_free_sgpr 22
		.amdhsa_named_barrier_count 0
		.amdhsa_reserve_vcc 1
		.amdhsa_float_round_mode_32 0
		.amdhsa_float_round_mode_16_64 0
		.amdhsa_float_denorm_mode_32 3
		.amdhsa_float_denorm_mode_16_64 3
		.amdhsa_fp16_overflow 0
		.amdhsa_memory_ordered 1
		.amdhsa_forward_progress 1
		.amdhsa_inst_pref_size 6
		.amdhsa_round_robin_scheduling 0
		.amdhsa_exception_fp_ieee_invalid_op 0
		.amdhsa_exception_fp_denorm_src 0
		.amdhsa_exception_fp_ieee_div_zero 0
		.amdhsa_exception_fp_ieee_overflow 0
		.amdhsa_exception_fp_ieee_underflow 0
		.amdhsa_exception_fp_ieee_inexact 0
		.amdhsa_exception_int_div_zero 0
	.end_amdhsa_kernel
	.section	.text._ZN9rocsparseL33bsr2csr_block_per_row_8_32_kernelILj1024ELj32EiilEEv20rocsparse_direction_T3_S2_21rocsparse_index_base_PKT1_PKT2_PKS2_S2_S3_PS4_PS7_PS2_,"axG",@progbits,_ZN9rocsparseL33bsr2csr_block_per_row_8_32_kernelILj1024ELj32EiilEEv20rocsparse_direction_T3_S2_21rocsparse_index_base_PKT1_PKT2_PKS2_S2_S3_PS4_PS7_PS2_,comdat
.Lfunc_end35:
	.size	_ZN9rocsparseL33bsr2csr_block_per_row_8_32_kernelILj1024ELj32EiilEEv20rocsparse_direction_T3_S2_21rocsparse_index_base_PKT1_PKT2_PKS2_S2_S3_PS4_PS7_PS2_, .Lfunc_end35-_ZN9rocsparseL33bsr2csr_block_per_row_8_32_kernelILj1024ELj32EiilEEv20rocsparse_direction_T3_S2_21rocsparse_index_base_PKT1_PKT2_PKS2_S2_S3_PS4_PS7_PS2_
                                        ; -- End function
	.set _ZN9rocsparseL33bsr2csr_block_per_row_8_32_kernelILj1024ELj32EiilEEv20rocsparse_direction_T3_S2_21rocsparse_index_base_PKT1_PKT2_PKS2_S2_S3_PS4_PS7_PS2_.num_vgpr, 13
	.set _ZN9rocsparseL33bsr2csr_block_per_row_8_32_kernelILj1024ELj32EiilEEv20rocsparse_direction_T3_S2_21rocsparse_index_base_PKT1_PKT2_PKS2_S2_S3_PS4_PS7_PS2_.num_agpr, 0
	.set _ZN9rocsparseL33bsr2csr_block_per_row_8_32_kernelILj1024ELj32EiilEEv20rocsparse_direction_T3_S2_21rocsparse_index_base_PKT1_PKT2_PKS2_S2_S3_PS4_PS7_PS2_.numbered_sgpr, 22
	.set _ZN9rocsparseL33bsr2csr_block_per_row_8_32_kernelILj1024ELj32EiilEEv20rocsparse_direction_T3_S2_21rocsparse_index_base_PKT1_PKT2_PKS2_S2_S3_PS4_PS7_PS2_.num_named_barrier, 0
	.set _ZN9rocsparseL33bsr2csr_block_per_row_8_32_kernelILj1024ELj32EiilEEv20rocsparse_direction_T3_S2_21rocsparse_index_base_PKT1_PKT2_PKS2_S2_S3_PS4_PS7_PS2_.private_seg_size, 0
	.set _ZN9rocsparseL33bsr2csr_block_per_row_8_32_kernelILj1024ELj32EiilEEv20rocsparse_direction_T3_S2_21rocsparse_index_base_PKT1_PKT2_PKS2_S2_S3_PS4_PS7_PS2_.uses_vcc, 1
	.set _ZN9rocsparseL33bsr2csr_block_per_row_8_32_kernelILj1024ELj32EiilEEv20rocsparse_direction_T3_S2_21rocsparse_index_base_PKT1_PKT2_PKS2_S2_S3_PS4_PS7_PS2_.uses_flat_scratch, 0
	.set _ZN9rocsparseL33bsr2csr_block_per_row_8_32_kernelILj1024ELj32EiilEEv20rocsparse_direction_T3_S2_21rocsparse_index_base_PKT1_PKT2_PKS2_S2_S3_PS4_PS7_PS2_.has_dyn_sized_stack, 0
	.set _ZN9rocsparseL33bsr2csr_block_per_row_8_32_kernelILj1024ELj32EiilEEv20rocsparse_direction_T3_S2_21rocsparse_index_base_PKT1_PKT2_PKS2_S2_S3_PS4_PS7_PS2_.has_recursion, 0
	.set _ZN9rocsparseL33bsr2csr_block_per_row_8_32_kernelILj1024ELj32EiilEEv20rocsparse_direction_T3_S2_21rocsparse_index_base_PKT1_PKT2_PKS2_S2_S3_PS4_PS7_PS2_.has_indirect_call, 0
	.section	.AMDGPU.csdata,"",@progbits
; Kernel info:
; codeLenInByte = 660
; TotalNumSgprs: 24
; NumVgprs: 13
; ScratchSize: 0
; MemoryBound: 0
; FloatMode: 240
; IeeeMode: 1
; LDSByteSize: 0 bytes/workgroup (compile time only)
; SGPRBlocks: 0
; VGPRBlocks: 0
; NumSGPRsForWavesPerEU: 24
; NumVGPRsForWavesPerEU: 13
; NamedBarCnt: 0
; Occupancy: 16
; WaveLimiterHint : 0
; COMPUTE_PGM_RSRC2:SCRATCH_EN: 0
; COMPUTE_PGM_RSRC2:USER_SGPR: 2
; COMPUTE_PGM_RSRC2:TRAP_HANDLER: 0
; COMPUTE_PGM_RSRC2:TGID_X_EN: 1
; COMPUTE_PGM_RSRC2:TGID_Y_EN: 0
; COMPUTE_PGM_RSRC2:TGID_Z_EN: 0
; COMPUTE_PGM_RSRC2:TIDIG_COMP_CNT: 0
	.section	.text._ZN9rocsparseL35bsr2csr_block_per_row_33_256_kernelILj1024ELj64ELj32EiilEEv20rocsparse_direction_T4_S2_21rocsparse_index_base_PKT2_PKT3_PKS2_S2_S3_PS4_PS7_PS2_,"axG",@progbits,_ZN9rocsparseL35bsr2csr_block_per_row_33_256_kernelILj1024ELj64ELj32EiilEEv20rocsparse_direction_T4_S2_21rocsparse_index_base_PKT2_PKT3_PKS2_S2_S3_PS4_PS7_PS2_,comdat
	.globl	_ZN9rocsparseL35bsr2csr_block_per_row_33_256_kernelILj1024ELj64ELj32EiilEEv20rocsparse_direction_T4_S2_21rocsparse_index_base_PKT2_PKT3_PKS2_S2_S3_PS4_PS7_PS2_ ; -- Begin function _ZN9rocsparseL35bsr2csr_block_per_row_33_256_kernelILj1024ELj64ELj32EiilEEv20rocsparse_direction_T4_S2_21rocsparse_index_base_PKT2_PKT3_PKS2_S2_S3_PS4_PS7_PS2_
	.p2align	8
	.type	_ZN9rocsparseL35bsr2csr_block_per_row_33_256_kernelILj1024ELj64ELj32EiilEEv20rocsparse_direction_T4_S2_21rocsparse_index_base_PKT2_PKT3_PKS2_S2_S3_PS4_PS7_PS2_,@function
_ZN9rocsparseL35bsr2csr_block_per_row_33_256_kernelILj1024ELj64ELj32EiilEEv20rocsparse_direction_T4_S2_21rocsparse_index_base_PKT2_PKT3_PKS2_S2_S3_PS4_PS7_PS2_: ; @_ZN9rocsparseL35bsr2csr_block_per_row_33_256_kernelILj1024ELj64ELj32EiilEEv20rocsparse_direction_T4_S2_21rocsparse_index_base_PKT2_PKT3_PKS2_S2_S3_PS4_PS7_PS2_
; %bb.0:
	s_load_b64 s[8:9], s[0:1], 0x28
	s_bfe_u32 s2, ttmp6, 0x4000c
	s_and_b32 s3, ttmp6, 15
	s_add_co_i32 s2, s2, 1
	s_getreg_b32 s4, hwreg(HW_REG_IB_STS2, 6, 4)
	s_mul_i32 s2, ttmp9, s2
	s_mov_b32 s5, 0
	s_add_co_i32 s3, s3, s2
	s_cmp_eq_u32 s4, 0
	s_clause 0x1
	s_load_b32 s6, s[0:1], 0x40
	s_load_b64 s[14:15], s[0:1], 0x50
	s_cselect_b32 s2, ttmp9, s3
	s_mov_b32 s3, s5
	v_or_b32_e32 v1, s2, v0
	s_lshl_b64 s[10:11], s[2:3], 2
	s_mov_b32 s4, exec_lo
	s_wait_kmcnt 0x0
	s_add_nc_u64 s[8:9], s[8:9], s[10:11]
	s_load_b64 s[12:13], s[8:9], 0x0
	v_cmpx_eq_u32_e32 0, v1
	s_cbranch_execz .LBB36_2
; %bb.1:
	v_dual_mov_b32 v1, 0 :: v_dual_mov_b32 v2, s6
	global_store_b32 v1, v2, s[14:15]
.LBB36_2:
	s_wait_xcnt 0x0
	s_or_b32 exec_lo, exec_lo, s4
	s_clause 0x1
	s_load_b32 s8, s[0:1], 0x18
	s_load_b64 s[10:11], s[0:1], 0x38
	v_dual_mov_b32 v13, 0 :: v_dual_lshrrev_b32 v12, 5, v0
	s_mov_b32 s17, s5
	s_wait_kmcnt 0x0
	s_sub_co_i32 s4, s12, s8
	s_sub_co_i32 s24, s13, s8
	s_mul_u64 s[26:27], s[10:11], s[2:3]
	v_cmp_gt_i64_e64 s2, s[10:11], v[12:13]
	s_sub_co_i32 s16, s24, s4
	s_mul_u64 s[18:19], s[10:11], s[10:11]
	s_mul_u64 s[22:23], s[10:11], s[16:17]
	s_lshl_b64 s[26:27], s[26:27], 2
	s_mul_u64 s[20:21], s[18:19], s[4:5]
	s_add_co_i32 s5, s6, s22
	s_add_nc_u64 s[14:15], s[14:15], s[26:27]
	s_and_saveexec_b32 s3, s2
	s_cbranch_execz .LBB36_4
; %bb.3:
	s_add_co_i32 s7, s5, s20
	s_delay_alu instid0(SALU_CYCLE_1)
	v_mad_u32 v1, v12, s22, s7
	global_store_b32 v12, v1, s[14:15] offset:4 scale_offset
.LBB36_4:
	s_wait_xcnt 0x0
	s_or_b32 exec_lo, exec_lo, s3
	v_dual_mov_b32 v3, v13 :: v_dual_bitop2_b32 v2, 32, v12 bitop3:0x54
	s_delay_alu instid0(VALU_DEP_1)
	v_cmp_gt_i64_e64 s3, s[10:11], v[2:3]
	s_and_saveexec_b32 s7, s3
	s_cbranch_execz .LBB36_6
; %bb.5:
	s_add_co_i32 s5, s5, s20
	s_delay_alu instid0(SALU_CYCLE_1)
	v_mad_u32 v1, v2, s22, s5
	global_store_b32 v12, v1, s[14:15] offset:132 scale_offset
.LBB36_6:
	s_wait_xcnt 0x0
	s_or_b32 exec_lo, exec_lo, s7
	s_cmp_lt_i32 s12, s13
	s_cbranch_scc0 .LBB36_17
; %bb.7:
	s_clause 0x2
	s_load_b64 s[20:21], s[0:1], 0x30
	s_load_b64 s[12:13], s[0:1], 0x48
	s_load_b32 s5, s[0:1], 0x0
	v_dual_mov_b32 v1, 0 :: v_dual_bitop2_b32 v0, 31, v0 bitop3:0x40
	v_lshlrev_b32_e32 v8, 2, v12
	s_mul_i32 s7, s10, s4
	s_mov_b32 s9, 0
	s_delay_alu instid0(VALU_DEP_2)
	v_dual_mov_b32 v9, v1 :: v_dual_lshlrev_b32 v4, 2, v0
	v_mov_b32_e32 v5, v1
	v_mad_u32 v13, v2, s16, s7
	v_mad_u32 v12, v12, s16, s7
	v_dual_mov_b32 v11, v1 :: v_dual_bitop2_b32 v10, 32, v0 bitop3:0x54
	s_mov_b32 s7, s9
	s_load_b64 s[16:17], s[0:1], 0x58
	v_mov_b32_e32 v14, v1
	s_wait_kmcnt 0x0
	s_cmp_eq_u32 s5, 0
	s_delay_alu instid0(VALU_DEP_4) | instskip(SKIP_2) | instid1(VALU_DEP_4)
	v_mul_lo_u32 v13, s10, v13
	s_cselect_b32 vcc_lo, -1, 0
	s_ashr_i32 s5, s4, 31
	v_mul_lo_u32 v15, s10, v12
	s_mul_u64 s[14:15], s[10:11], s[4:5]
	v_mov_b32_e32 v12, v1
	s_lshl_b64 s[14:15], s[14:15], 2
	s_lshl_b64 s[18:19], s[18:19], 2
	v_add_nc_u64_e32 v[16:17], s[14:15], v[8:9]
	v_add_nc_u64_e32 v[18:19], s[14:15], v[4:5]
	s_load_b64 s[14:15], s[0:1], 0x20
	s_wait_xcnt 0x0
	v_cmp_gt_i64_e64 s0, s[10:11], v[0:1]
	v_cmp_gt_i64_e64 s1, s[10:11], v[10:11]
	s_delay_alu instid0(VALU_DEP_4) | instskip(NEXT) | instid1(VALU_DEP_4)
	v_add_nc_u64_e32 v[20:21], 0x80, v[16:17]
	v_add_nc_u64_e32 v[22:23], 0x80, v[18:19]
	v_mad_nc_u64_u32 v[2:3], s10, v16, v[4:5]
	s_and_b32 s22, s2, s0
	s_and_b32 s23, s2, s1
	;; [unrolled: 1-line block ×4, first 2 shown]
	v_mad_nc_u64_u32 v[4:5], s10, v20, v[4:5]
	v_mad_nc_u64_u32 v[6:7], s10, v22, v[8:9]
	;; [unrolled: 1-line block ×3, first 2 shown]
	s_lshl_b64 s[2:3], s[4:5], 3
	s_mov_b32 s0, s9
	s_mov_b32 s1, s10
	v_mad_u32 v3, s11, v16, v3
	v_mov_b32_e32 v16, v1
	s_add_nc_u64 s[2:3], s[20:21], s[2:3]
	v_mad_u32 v5, s11, v20, v5
	v_mad_u32 v7, s11, v22, v7
	;; [unrolled: 1-line block ×4, first 2 shown]
	v_mov_b32_e32 v17, v0
	v_mad_u32 v5, s10, v21, v5
	v_mad_u32 v7, s10, v23, v7
	;; [unrolled: 1-line block ×3, first 2 shown]
	s_branch .LBB36_9
.LBB36_8:                               ;   in Loop: Header=BB36_9 Depth=1
	s_wait_xcnt 0x0
	s_or_b32 exec_lo, exec_lo, s5
	v_add_nc_u64_e32 v[16:17], s[0:1], v[16:17]
	s_add_co_i32 s4, s4, 1
	s_add_nc_u64 s[2:3], s[2:3], 8
	s_cmp_ge_i32 s4, s24
	s_add_nc_u64 s[14:15], s[14:15], s[18:19]
	s_cbranch_scc1 .LBB36_17
.LBB36_9:                               ; =>This Inner Loop Header: Depth=1
	s_load_b64 s[20:21], s[2:3], 0x0
	v_add_nc_u64_e32 v[26:27], v[14:15], v[16:17]
	s_wait_kmcnt 0x0
	v_add_nc_u64_e32 v[28:29], s[14:15], v[2:3]
	s_delay_alu instid0(VALU_DEP_3) | instskip(SKIP_1) | instid1(SALU_CYCLE_1)
	v_add_nc_u64_e32 v[24:25], s[14:15], v[8:9]
	s_sub_nc_u64 s[20:21], s[20:21], s[8:9]
	s_mul_u64 s[20:21], s[20:21], s[10:11]
	s_delay_alu instid0(SALU_CYCLE_1) | instskip(NEXT) | instid1(SALU_CYCLE_1)
	s_add_nc_u64 s[20:21], s[20:21], s[6:7]
	v_add_nc_u64_e32 v[20:21], s[20:21], v[0:1]
	s_and_saveexec_b32 s5, s22
	s_cbranch_execz .LBB36_11
; %bb.10:                               ;   in Loop: Header=BB36_9 Depth=1
	v_dual_cndmask_b32 v19, v25, v29 :: v_dual_cndmask_b32 v18, v24, v28
	v_ashrrev_i64 v[22:23], 30, v[26:27]
	global_load_b32 v30, v[18:19], off
	s_wait_xcnt 0x0
	v_ashrrev_i64 v[18:19], 29, v[26:27]
	v_add_nc_u64_e32 v[22:23], s[12:13], v[22:23]
	s_delay_alu instid0(VALU_DEP_2)
	v_add_nc_u64_e32 v[18:19], s[16:17], v[18:19]
	global_store_b64 v[18:19], v[20:21], off
	s_wait_loadcnt 0x0
	global_store_b32 v[22:23], v30, off
.LBB36_11:                              ;   in Loop: Header=BB36_9 Depth=1
	s_wait_xcnt 0x0
	s_or_b32 exec_lo, exec_lo, s5
	v_add_nc_u64_e32 v[18:19], s[20:21], v[10:11]
	v_add_nc_u64_e32 v[22:23], s[14:15], v[6:7]
	s_and_saveexec_b32 s5, s23
	s_cbranch_execz .LBB36_13
; %bb.12:                               ;   in Loop: Header=BB36_9 Depth=1
	v_add_nc_u64_e32 v[28:29], 0x80, v[28:29]
	s_delay_alu instid0(VALU_DEP_1) | instskip(NEXT) | instid1(VALU_DEP_2)
	v_dual_add_nc_u32 v27, 32, v27 :: v_dual_cndmask_b32 v29, v23, v29, vcc_lo
	v_cndmask_b32_e32 v28, v22, v28, vcc_lo
	global_load_b32 v30, v[28:29], off
	s_wait_xcnt 0x0
	v_ashrrev_i64 v[28:29], 29, v[26:27]
	v_ashrrev_i64 v[26:27], 30, v[26:27]
	s_delay_alu instid0(VALU_DEP_2) | instskip(NEXT) | instid1(VALU_DEP_2)
	v_add_nc_u64_e32 v[28:29], s[16:17], v[28:29]
	v_add_nc_u64_e32 v[26:27], s[12:13], v[26:27]
	global_store_b64 v[28:29], v[18:19], off
	s_wait_loadcnt 0x0
	global_store_b32 v[26:27], v30, off
.LBB36_13:                              ;   in Loop: Header=BB36_9 Depth=1
	s_wait_xcnt 0x0
	s_or_b32 exec_lo, exec_lo, s5
	v_add_nc_u64_e32 v[26:27], v[12:13], v[16:17]
	v_add_nc_u64_e32 v[28:29], s[14:15], v[4:5]
	s_and_saveexec_b32 s5, s25
	s_cbranch_execz .LBB36_15
; %bb.14:                               ;   in Loop: Header=BB36_9 Depth=1
	v_add_nc_u64_e32 v[24:25], 0x80, v[24:25]
	s_delay_alu instid0(VALU_DEP_3) | instskip(NEXT) | instid1(VALU_DEP_2)
	v_ashrrev_i64 v[30:31], 30, v[26:27]
	v_dual_cndmask_b32 v25, v25, v29 :: v_dual_cndmask_b32 v24, v24, v28
	s_delay_alu instid0(VALU_DEP_2) | instskip(SKIP_3) | instid1(VALU_DEP_1)
	v_add_nc_u64_e32 v[30:31], s[12:13], v[30:31]
	global_load_b32 v32, v[24:25], off
	s_wait_xcnt 0x0
	v_ashrrev_i64 v[24:25], 29, v[26:27]
	v_add_nc_u64_e32 v[24:25], s[16:17], v[24:25]
	global_store_b64 v[24:25], v[20:21], off
	s_wait_loadcnt 0x0
	global_store_b32 v[30:31], v32, off
.LBB36_15:                              ;   in Loop: Header=BB36_9 Depth=1
	s_wait_xcnt 0x0
	s_or_b32 exec_lo, exec_lo, s5
	s_and_saveexec_b32 s5, s26
	s_cbranch_execz .LBB36_8
; %bb.16:                               ;   in Loop: Header=BB36_9 Depth=1
	v_dual_cndmask_b32 v21, v23, v29 :: v_dual_cndmask_b32 v20, v22, v28
	v_add_nc_u32_e32 v27, 32, v27
	global_load_b32 v24, v[20:21], off offset:128
	s_wait_xcnt 0x0
	v_ashrrev_i64 v[20:21], 29, v[26:27]
	v_ashrrev_i64 v[22:23], 30, v[26:27]
	s_delay_alu instid0(VALU_DEP_2) | instskip(NEXT) | instid1(VALU_DEP_2)
	v_add_nc_u64_e32 v[20:21], s[16:17], v[20:21]
	v_add_nc_u64_e32 v[22:23], s[12:13], v[22:23]
	global_store_b64 v[20:21], v[18:19], off
	s_wait_loadcnt 0x0
	global_store_b32 v[22:23], v24, off
	s_branch .LBB36_8
.LBB36_17:
	s_endpgm
	.section	.rodata,"a",@progbits
	.p2align	6, 0x0
	.amdhsa_kernel _ZN9rocsparseL35bsr2csr_block_per_row_33_256_kernelILj1024ELj64ELj32EiilEEv20rocsparse_direction_T4_S2_21rocsparse_index_base_PKT2_PKT3_PKS2_S2_S3_PS4_PS7_PS2_
		.amdhsa_group_segment_fixed_size 0
		.amdhsa_private_segment_fixed_size 0
		.amdhsa_kernarg_size 96
		.amdhsa_user_sgpr_count 2
		.amdhsa_user_sgpr_dispatch_ptr 0
		.amdhsa_user_sgpr_queue_ptr 0
		.amdhsa_user_sgpr_kernarg_segment_ptr 1
		.amdhsa_user_sgpr_dispatch_id 0
		.amdhsa_user_sgpr_kernarg_preload_length 0
		.amdhsa_user_sgpr_kernarg_preload_offset 0
		.amdhsa_user_sgpr_private_segment_size 0
		.amdhsa_wavefront_size32 1
		.amdhsa_uses_dynamic_stack 0
		.amdhsa_enable_private_segment 0
		.amdhsa_system_sgpr_workgroup_id_x 1
		.amdhsa_system_sgpr_workgroup_id_y 0
		.amdhsa_system_sgpr_workgroup_id_z 0
		.amdhsa_system_sgpr_workgroup_info 0
		.amdhsa_system_vgpr_workitem_id 0
		.amdhsa_next_free_vgpr 33
		.amdhsa_next_free_sgpr 28
		.amdhsa_named_barrier_count 0
		.amdhsa_reserve_vcc 1
		.amdhsa_float_round_mode_32 0
		.amdhsa_float_round_mode_16_64 0
		.amdhsa_float_denorm_mode_32 3
		.amdhsa_float_denorm_mode_16_64 3
		.amdhsa_fp16_overflow 0
		.amdhsa_memory_ordered 1
		.amdhsa_forward_progress 1
		.amdhsa_inst_pref_size 10
		.amdhsa_round_robin_scheduling 0
		.amdhsa_exception_fp_ieee_invalid_op 0
		.amdhsa_exception_fp_denorm_src 0
		.amdhsa_exception_fp_ieee_div_zero 0
		.amdhsa_exception_fp_ieee_overflow 0
		.amdhsa_exception_fp_ieee_underflow 0
		.amdhsa_exception_fp_ieee_inexact 0
		.amdhsa_exception_int_div_zero 0
	.end_amdhsa_kernel
	.section	.text._ZN9rocsparseL35bsr2csr_block_per_row_33_256_kernelILj1024ELj64ELj32EiilEEv20rocsparse_direction_T4_S2_21rocsparse_index_base_PKT2_PKT3_PKS2_S2_S3_PS4_PS7_PS2_,"axG",@progbits,_ZN9rocsparseL35bsr2csr_block_per_row_33_256_kernelILj1024ELj64ELj32EiilEEv20rocsparse_direction_T4_S2_21rocsparse_index_base_PKT2_PKT3_PKS2_S2_S3_PS4_PS7_PS2_,comdat
.Lfunc_end36:
	.size	_ZN9rocsparseL35bsr2csr_block_per_row_33_256_kernelILj1024ELj64ELj32EiilEEv20rocsparse_direction_T4_S2_21rocsparse_index_base_PKT2_PKT3_PKS2_S2_S3_PS4_PS7_PS2_, .Lfunc_end36-_ZN9rocsparseL35bsr2csr_block_per_row_33_256_kernelILj1024ELj64ELj32EiilEEv20rocsparse_direction_T4_S2_21rocsparse_index_base_PKT2_PKT3_PKS2_S2_S3_PS4_PS7_PS2_
                                        ; -- End function
	.set _ZN9rocsparseL35bsr2csr_block_per_row_33_256_kernelILj1024ELj64ELj32EiilEEv20rocsparse_direction_T4_S2_21rocsparse_index_base_PKT2_PKT3_PKS2_S2_S3_PS4_PS7_PS2_.num_vgpr, 33
	.set _ZN9rocsparseL35bsr2csr_block_per_row_33_256_kernelILj1024ELj64ELj32EiilEEv20rocsparse_direction_T4_S2_21rocsparse_index_base_PKT2_PKT3_PKS2_S2_S3_PS4_PS7_PS2_.num_agpr, 0
	.set _ZN9rocsparseL35bsr2csr_block_per_row_33_256_kernelILj1024ELj64ELj32EiilEEv20rocsparse_direction_T4_S2_21rocsparse_index_base_PKT2_PKT3_PKS2_S2_S3_PS4_PS7_PS2_.numbered_sgpr, 28
	.set _ZN9rocsparseL35bsr2csr_block_per_row_33_256_kernelILj1024ELj64ELj32EiilEEv20rocsparse_direction_T4_S2_21rocsparse_index_base_PKT2_PKT3_PKS2_S2_S3_PS4_PS7_PS2_.num_named_barrier, 0
	.set _ZN9rocsparseL35bsr2csr_block_per_row_33_256_kernelILj1024ELj64ELj32EiilEEv20rocsparse_direction_T4_S2_21rocsparse_index_base_PKT2_PKT3_PKS2_S2_S3_PS4_PS7_PS2_.private_seg_size, 0
	.set _ZN9rocsparseL35bsr2csr_block_per_row_33_256_kernelILj1024ELj64ELj32EiilEEv20rocsparse_direction_T4_S2_21rocsparse_index_base_PKT2_PKT3_PKS2_S2_S3_PS4_PS7_PS2_.uses_vcc, 1
	.set _ZN9rocsparseL35bsr2csr_block_per_row_33_256_kernelILj1024ELj64ELj32EiilEEv20rocsparse_direction_T4_S2_21rocsparse_index_base_PKT2_PKT3_PKS2_S2_S3_PS4_PS7_PS2_.uses_flat_scratch, 0
	.set _ZN9rocsparseL35bsr2csr_block_per_row_33_256_kernelILj1024ELj64ELj32EiilEEv20rocsparse_direction_T4_S2_21rocsparse_index_base_PKT2_PKT3_PKS2_S2_S3_PS4_PS7_PS2_.has_dyn_sized_stack, 0
	.set _ZN9rocsparseL35bsr2csr_block_per_row_33_256_kernelILj1024ELj64ELj32EiilEEv20rocsparse_direction_T4_S2_21rocsparse_index_base_PKT2_PKT3_PKS2_S2_S3_PS4_PS7_PS2_.has_recursion, 0
	.set _ZN9rocsparseL35bsr2csr_block_per_row_33_256_kernelILj1024ELj64ELj32EiilEEv20rocsparse_direction_T4_S2_21rocsparse_index_base_PKT2_PKT3_PKS2_S2_S3_PS4_PS7_PS2_.has_indirect_call, 0
	.section	.AMDGPU.csdata,"",@progbits
; Kernel info:
; codeLenInByte = 1216
; TotalNumSgprs: 30
; NumVgprs: 33
; ScratchSize: 0
; MemoryBound: 0
; FloatMode: 240
; IeeeMode: 1
; LDSByteSize: 0 bytes/workgroup (compile time only)
; SGPRBlocks: 0
; VGPRBlocks: 2
; NumSGPRsForWavesPerEU: 30
; NumVGPRsForWavesPerEU: 33
; NamedBarCnt: 0
; Occupancy: 16
; WaveLimiterHint : 1
; COMPUTE_PGM_RSRC2:SCRATCH_EN: 0
; COMPUTE_PGM_RSRC2:USER_SGPR: 2
; COMPUTE_PGM_RSRC2:TRAP_HANDLER: 0
; COMPUTE_PGM_RSRC2:TGID_X_EN: 1
; COMPUTE_PGM_RSRC2:TGID_Y_EN: 0
; COMPUTE_PGM_RSRC2:TGID_Z_EN: 0
; COMPUTE_PGM_RSRC2:TIDIG_COMP_CNT: 0
	.section	.text._ZN9rocsparseL35bsr2csr_block_per_row_33_256_kernelILj1024ELj128ELj32EiilEEv20rocsparse_direction_T4_S2_21rocsparse_index_base_PKT2_PKT3_PKS2_S2_S3_PS4_PS7_PS2_,"axG",@progbits,_ZN9rocsparseL35bsr2csr_block_per_row_33_256_kernelILj1024ELj128ELj32EiilEEv20rocsparse_direction_T4_S2_21rocsparse_index_base_PKT2_PKT3_PKS2_S2_S3_PS4_PS7_PS2_,comdat
	.globl	_ZN9rocsparseL35bsr2csr_block_per_row_33_256_kernelILj1024ELj128ELj32EiilEEv20rocsparse_direction_T4_S2_21rocsparse_index_base_PKT2_PKT3_PKS2_S2_S3_PS4_PS7_PS2_ ; -- Begin function _ZN9rocsparseL35bsr2csr_block_per_row_33_256_kernelILj1024ELj128ELj32EiilEEv20rocsparse_direction_T4_S2_21rocsparse_index_base_PKT2_PKT3_PKS2_S2_S3_PS4_PS7_PS2_
	.p2align	8
	.type	_ZN9rocsparseL35bsr2csr_block_per_row_33_256_kernelILj1024ELj128ELj32EiilEEv20rocsparse_direction_T4_S2_21rocsparse_index_base_PKT2_PKT3_PKS2_S2_S3_PS4_PS7_PS2_,@function
_ZN9rocsparseL35bsr2csr_block_per_row_33_256_kernelILj1024ELj128ELj32EiilEEv20rocsparse_direction_T4_S2_21rocsparse_index_base_PKT2_PKT3_PKS2_S2_S3_PS4_PS7_PS2_: ; @_ZN9rocsparseL35bsr2csr_block_per_row_33_256_kernelILj1024ELj128ELj32EiilEEv20rocsparse_direction_T4_S2_21rocsparse_index_base_PKT2_PKT3_PKS2_S2_S3_PS4_PS7_PS2_
; %bb.0:
	s_load_b64 s[6:7], s[0:1], 0x28
	s_bfe_u32 s2, ttmp6, 0x4000c
	s_and_b32 s3, ttmp6, 15
	s_add_co_i32 s2, s2, 1
	s_getreg_b32 s4, hwreg(HW_REG_IB_STS2, 6, 4)
	s_mul_i32 s2, ttmp9, s2
	s_mov_b32 s9, 0
	s_add_co_i32 s3, s3, s2
	s_cmp_eq_u32 s4, 0
	s_clause 0x1
	s_load_b32 s10, s[0:1], 0x40
	s_load_b64 s[4:5], s[0:1], 0x50
	s_cselect_b32 s2, ttmp9, s3
	s_mov_b32 s3, s9
	v_or_b32_e32 v1, s2, v0
	s_lshl_b64 s[12:13], s[2:3], 2
	s_mov_b32 s8, exec_lo
	s_wait_kmcnt 0x0
	s_add_nc_u64 s[12:13], s[6:7], s[12:13]
	s_load_b64 s[6:7], s[12:13], 0x0
	v_cmpx_eq_u32_e32 0, v1
	s_cbranch_execz .LBB37_2
; %bb.1:
	v_dual_mov_b32 v1, 0 :: v_dual_mov_b32 v2, s10
	global_store_b32 v1, v2, s[4:5]
.LBB37_2:
	s_wait_xcnt 0x0
	s_or_b32 exec_lo, exec_lo, s8
	s_clause 0x1
	s_load_b32 s12, s[0:1], 0x18
	s_load_b64 s[14:15], s[0:1], 0x38
	v_dual_mov_b32 v11, 0 :: v_dual_lshrrev_b32 v10, 5, v0
	s_mov_b32 s25, s9
	s_wait_kmcnt 0x0
	s_sub_co_i32 s8, s6, s12
	s_sub_co_i32 s28, s7, s12
	s_mul_u64 s[20:21], s[14:15], s[2:3]
	v_cmp_gt_i64_e64 s3, s[14:15], v[10:11]
	s_sub_co_i32 s24, s28, s8
	s_mul_u64 s[22:23], s[14:15], s[14:15]
	s_mul_u64 s[18:19], s[14:15], s[24:25]
	s_lshl_b64 s[20:21], s[20:21], 2
	s_mul_u64 s[16:17], s[22:23], s[8:9]
	s_add_co_i32 s9, s10, s18
	s_add_nc_u64 s[20:21], s[4:5], s[20:21]
	s_and_saveexec_b32 s2, s3
	s_cbranch_execz .LBB37_4
; %bb.3:
	s_add_co_i32 s4, s9, s16
	s_delay_alu instid0(SALU_CYCLE_1)
	v_mad_u32 v1, v10, s18, s4
	global_store_b32 v10, v1, s[20:21] offset:4 scale_offset
.LBB37_4:
	s_wait_xcnt 0x0
	s_or_b32 exec_lo, exec_lo, s2
	v_dual_mov_b32 v29, v11 :: v_dual_bitop2_b32 v28, 32, v10 bitop3:0x54
	s_delay_alu instid0(VALU_DEP_1)
	v_cmp_gt_i64_e64 s4, s[14:15], v[28:29]
	s_and_saveexec_b32 s2, s4
	s_cbranch_execz .LBB37_6
; %bb.5:
	s_add_co_i32 s5, s9, s16
	s_delay_alu instid0(SALU_CYCLE_1)
	v_mad_u32 v1, v28, s18, s5
	global_store_b32 v10, v1, s[20:21] offset:132 scale_offset
.LBB37_6:
	s_wait_xcnt 0x0
	s_or_b32 exec_lo, exec_lo, s2
	v_dual_mov_b32 v31, v11 :: v_dual_bitop2_b32 v30, 64, v10 bitop3:0x54
	s_delay_alu instid0(VALU_DEP_1)
	v_cmp_gt_i64_e64 s5, s[14:15], v[30:31]
	s_and_saveexec_b32 s2, s5
	s_cbranch_execz .LBB37_8
; %bb.7:
	s_add_co_i32 s11, s9, s16
	s_delay_alu instid0(SALU_CYCLE_1)
	v_mad_u32 v1, v30, s18, s11
	global_store_b32 v10, v1, s[20:21] offset:260 scale_offset
.LBB37_8:
	s_wait_xcnt 0x0
	s_or_b32 exec_lo, exec_lo, s2
	v_or_b32_e32 v8, 0x60, v10
	v_mov_b32_e32 v9, v11
	s_delay_alu instid0(VALU_DEP_1)
	v_cmp_gt_i64_e64 s2, s[14:15], v[8:9]
	s_and_saveexec_b32 s11, s2
	s_cbranch_execz .LBB37_10
; %bb.9:
	s_add_co_i32 s9, s9, s16
	s_delay_alu instid0(SALU_CYCLE_1)
	v_mad_u32 v1, v8, s18, s9
	global_store_b32 v10, v1, s[20:21] offset:388 scale_offset
.LBB37_10:
	s_wait_xcnt 0x0
	s_or_b32 exec_lo, exec_lo, s11
	s_cmp_lt_i32 s6, s7
	s_cbranch_scc0 .LBB37_45
; %bb.11:
	s_clause 0x2
	s_load_b64 s[26:27], s[0:1], 0x30
	s_load_b64 s[16:17], s[0:1], 0x48
	s_load_b32 s9, s[0:1], 0x0
	v_dual_mov_b32 v1, 0 :: v_dual_bitop2_b32 v0, 31, v0 bitop3:0x40
	s_clause 0x1
	s_load_b64 s[18:19], s[0:1], 0x20
	s_load_b64 s[20:21], s[0:1], 0x58
	s_mov_b32 s13, 0
	v_dual_lshlrev_b32 v26, 2, v10 :: v_dual_bitop2_b32 v2, 32, v0 bitop3:0x54
	v_dual_mov_b32 v3, v1 :: v_dual_bitop2_b32 v4, 64, v0 bitop3:0x54
	v_mov_b32_e32 v5, v1
	v_or_b32_e32 v6, 0x60, v0
	v_mov_b32_e32 v7, v1
	s_wait_xcnt 0x0
	v_cmp_gt_i64_e64 s0, s[14:15], v[0:1]
	v_cmp_gt_i64_e64 s1, s[14:15], v[2:3]
	v_cmp_gt_i64_e64 s6, s[14:15], v[4:5]
	v_dual_mov_b32 v27, v1 :: v_dual_lshlrev_b32 v18, 2, v0
	v_cmp_gt_i64_e64 s7, s[14:15], v[6:7]
	v_dual_mov_b32 v19, v1 :: v_dual_mov_b32 v9, v0
	s_wait_kmcnt 0x0
	s_cmp_eq_u32 s9, 0
	v_mov_b32_e32 v32, v1
	s_cselect_b32 vcc_lo, -1, 0
	s_ashr_i32 s9, s8, 31
	s_and_b32 s33, s4, s0
	s_and_b32 s34, s4, s1
	;; [unrolled: 1-line block ×8, first 2 shown]
	s_mul_u64 s[4:5], s[14:15], s[8:9]
	s_and_b32 s25, s3, s0
	s_and_b32 s41, s2, s0
	s_mul_i32 s0, s14, s8
	s_lshl_b64 s[4:5], s[4:5], 2
	v_mad_u32 v11, v8, s24, s0
	v_add_nc_u64_e32 v[34:35], s[4:5], v[26:27]
	v_mov_b32_e32 v8, v1
	v_add_nc_u64_e32 v[36:37], s[4:5], v[18:19]
	v_mad_u32 v29, v30, s24, s0
	v_mad_u32 v28, v28, s24, s0
	;; [unrolled: 1-line block ×3, first 2 shown]
	v_mov_b32_e32 v30, v1
	v_add_nc_u64_e32 v[38:39], 0x180, v[34:35]
	v_add_nc_u64_e32 v[40:41], 0x100, v[34:35]
	;; [unrolled: 1-line block ×6, first 2 shown]
	v_mad_u32 v11, s14, v11, 0x60
	v_mad_nc_u64_u32 v[12:13], s14, v38, v[18:19]
	v_mad_nc_u64_u32 v[14:15], s14, v40, v[18:19]
	v_mad_nc_u64_u32 v[16:17], s14, v42, v[18:19]
	v_mad_nc_u64_u32 v[18:19], s14, v34, v[18:19]
	v_mad_nc_u64_u32 v[20:21], s14, v44, v[26:27]
	v_mad_nc_u64_u32 v[22:23], s14, v46, v[26:27]
	v_mad_nc_u64_u32 v[24:25], s14, v48, v[26:27]
	v_mad_nc_u64_u32 v[26:27], s14, v36, v[26:27]
	v_mul_lo_u32 v29, s14, v29
	v_mul_lo_u32 v31, s14, v28
	;; [unrolled: 1-line block ×3, first 2 shown]
	v_mad_u32 v13, s15, v38, v13
	v_mad_u32 v15, s15, v40, v15
	v_mad_u32 v17, s15, v42, v17
	v_mad_u32 v19, s15, v34, v19
	v_mad_u32 v21, s15, v44, v21
	v_mad_u32 v23, s15, v46, v23
	v_mad_u32 v25, s15, v48, v25
	v_mad_u32 v27, s15, v36, v27
	v_dual_mov_b32 v10, v1 :: v_dual_mov_b32 v28, v1
	s_and_b32 s29, s3, s1
	v_mad_u32 v13, s14, v39, v13
	v_mad_u32 v15, s14, v41, v15
	;; [unrolled: 1-line block ×8, first 2 shown]
	s_and_b32 s30, s3, s6
	s_and_b32 s31, s3, s7
	;; [unrolled: 1-line block ×5, first 2 shown]
	s_lshl_b64 s[2:3], s[8:9], 3
	s_mov_b32 s11, s13
	s_mov_b32 s0, s13
	s_mov_b32 s1, s14
	s_add_nc_u64 s[2:3], s[26:27], s[2:3]
	s_lshl_b64 s[4:5], s[22:23], 2
	s_branch .LBB37_13
.LBB37_12:                              ;   in Loop: Header=BB37_13 Depth=1
	s_wait_xcnt 0x0
	s_or_b32 exec_lo, exec_lo, s6
	v_add_nc_u64_e32 v[10:11], s[0:1], v[10:11]
	v_add_nc_u64_e32 v[28:29], s[0:1], v[28:29]
	;; [unrolled: 1-line block ×4, first 2 shown]
	s_add_co_i32 s8, s8, 1
	s_add_nc_u64 s[2:3], s[2:3], 8
	s_cmp_ge_i32 s8, s28
	s_add_nc_u64 s[18:19], s[18:19], s[4:5]
	s_cbranch_scc1 .LBB37_45
.LBB37_13:                              ; =>This Inner Loop Header: Depth=1
	s_load_b64 s[6:7], s[2:3], 0x0
	v_add_nc_u64_e32 v[50:51], v[8:9], v[32:33]
	v_add_nc_u64_e32 v[52:53], s[18:19], v[18:19]
	;; [unrolled: 1-line block ×3, first 2 shown]
	s_wait_kmcnt 0x0
	s_sub_nc_u64 s[6:7], s[6:7], s[12:13]
	s_delay_alu instid0(SALU_CYCLE_1) | instskip(NEXT) | instid1(SALU_CYCLE_1)
	s_mul_u64 s[6:7], s[6:7], s[14:15]
	s_add_nc_u64 s[6:7], s[6:7], s[10:11]
	s_delay_alu instid0(SALU_CYCLE_1)
	v_add_nc_u64_e32 v[38:39], s[6:7], v[0:1]
	s_and_saveexec_b32 s9, s25
	s_cbranch_execz .LBB37_15
; %bb.14:                               ;   in Loop: Header=BB37_13 Depth=1
	v_dual_cndmask_b32 v35, v49, v53 :: v_dual_cndmask_b32 v34, v48, v52
	v_ashrrev_i64 v[36:37], 30, v[50:51]
	global_load_b32 v40, v[34:35], off
	s_wait_xcnt 0x0
	v_ashrrev_i64 v[34:35], 29, v[50:51]
	v_add_nc_u64_e32 v[36:37], s[16:17], v[36:37]
	s_delay_alu instid0(VALU_DEP_2)
	v_add_nc_u64_e32 v[34:35], s[20:21], v[34:35]
	global_store_b64 v[34:35], v[38:39], off
	s_wait_loadcnt 0x0
	global_store_b32 v[36:37], v40, off
.LBB37_15:                              ;   in Loop: Header=BB37_13 Depth=1
	s_wait_xcnt 0x0
	s_or_b32 exec_lo, exec_lo, s9
	v_add_nc_u64_e32 v[34:35], s[6:7], v[2:3]
	v_add_nc_u64_e32 v[42:43], s[18:19], v[24:25]
	s_and_saveexec_b32 s9, s29
	s_cbranch_execz .LBB37_17
; %bb.16:                               ;   in Loop: Header=BB37_13 Depth=1
	v_add_nc_u64_e32 v[36:37], 0x80, v[52:53]
	s_delay_alu instid0(VALU_DEP_1) | instskip(SKIP_3) | instid1(VALU_DEP_1)
	v_dual_cndmask_b32 v37, v43, v37 :: v_dual_cndmask_b32 v36, v42, v36
	global_load_b32 v44, v[36:37], off
	s_wait_xcnt 0x0
	v_dual_mov_b32 v36, v50 :: v_dual_add_nc_u32 v37, 32, v51
	v_ashrrev_i64 v[40:41], 29, v[36:37]
	v_ashrrev_i64 v[36:37], 30, v[36:37]
	s_delay_alu instid0(VALU_DEP_2) | instskip(NEXT) | instid1(VALU_DEP_2)
	v_add_nc_u64_e32 v[40:41], s[20:21], v[40:41]
	v_add_nc_u64_e32 v[36:37], s[16:17], v[36:37]
	global_store_b64 v[40:41], v[34:35], off
	s_wait_loadcnt 0x0
	global_store_b32 v[36:37], v44, off
.LBB37_17:                              ;   in Loop: Header=BB37_13 Depth=1
	s_wait_xcnt 0x0
	s_or_b32 exec_lo, exec_lo, s9
	v_add_nc_u64_e32 v[36:37], s[6:7], v[4:5]
	v_add_nc_u64_e32 v[44:45], s[18:19], v[22:23]
	s_and_saveexec_b32 s9, s30
	s_cbranch_execz .LBB37_19
; %bb.18:                               ;   in Loop: Header=BB37_13 Depth=1
	v_add_nc_u64_e32 v[40:41], 0x100, v[52:53]
	s_delay_alu instid0(VALU_DEP_1) | instskip(SKIP_3) | instid1(VALU_DEP_1)
	v_dual_cndmask_b32 v41, v45, v41 :: v_dual_cndmask_b32 v40, v44, v40
	global_load_b32 v54, v[40:41], off
	s_wait_xcnt 0x0
	v_dual_mov_b32 v40, v50 :: v_dual_add_nc_u32 v41, 64, v51
	v_ashrrev_i64 v[46:47], 29, v[40:41]
	v_ashrrev_i64 v[40:41], 30, v[40:41]
	s_delay_alu instid0(VALU_DEP_2) | instskip(NEXT) | instid1(VALU_DEP_2)
	v_add_nc_u64_e32 v[46:47], s[20:21], v[46:47]
	v_add_nc_u64_e32 v[40:41], s[16:17], v[40:41]
	global_store_b64 v[46:47], v[36:37], off
	s_wait_loadcnt 0x0
	global_store_b32 v[40:41], v54, off
.LBB37_19:                              ;   in Loop: Header=BB37_13 Depth=1
	s_wait_xcnt 0x0
	s_or_b32 exec_lo, exec_lo, s9
	v_add_nc_u64_e32 v[40:41], s[6:7], v[6:7]
	v_add_nc_u64_e32 v[46:47], s[18:19], v[20:21]
	s_and_saveexec_b32 s6, s31
	s_cbranch_execz .LBB37_21
; %bb.20:                               ;   in Loop: Header=BB37_13 Depth=1
	v_add_nc_u64_e32 v[52:53], 0x180, v[52:53]
	v_add_nc_u32_e32 v51, 0x60, v51
	s_delay_alu instid0(VALU_DEP_2) | instskip(SKIP_4) | instid1(VALU_DEP_2)
	v_dual_cndmask_b32 v53, v47, v53 :: v_dual_cndmask_b32 v52, v46, v52
	global_load_b32 v54, v[52:53], off
	s_wait_xcnt 0x0
	v_ashrrev_i64 v[52:53], 29, v[50:51]
	v_ashrrev_i64 v[50:51], 30, v[50:51]
	v_add_nc_u64_e32 v[52:53], s[20:21], v[52:53]
	s_delay_alu instid0(VALU_DEP_2)
	v_add_nc_u64_e32 v[50:51], s[16:17], v[50:51]
	global_store_b64 v[52:53], v[40:41], off
	s_wait_loadcnt 0x0
	global_store_b32 v[50:51], v54, off
.LBB37_21:                              ;   in Loop: Header=BB37_13 Depth=1
	s_wait_xcnt 0x0
	s_or_b32 exec_lo, exec_lo, s6
	v_add_nc_u64_e32 v[50:51], v[8:9], v[30:31]
	v_add_nc_u64_e32 v[52:53], s[18:19], v[16:17]
	s_and_saveexec_b32 s6, s33
	s_cbranch_execnz .LBB37_35
; %bb.22:                               ;   in Loop: Header=BB37_13 Depth=1
	s_or_b32 exec_lo, exec_lo, s6
	s_and_saveexec_b32 s6, s34
	s_cbranch_execnz .LBB37_36
.LBB37_23:                              ;   in Loop: Header=BB37_13 Depth=1
	s_or_b32 exec_lo, exec_lo, s6
	s_and_saveexec_b32 s6, s35
	s_cbranch_execnz .LBB37_37
.LBB37_24:                              ;   in Loop: Header=BB37_13 Depth=1
	s_or_b32 exec_lo, exec_lo, s6
	s_and_saveexec_b32 s6, s36
	s_cbranch_execz .LBB37_26
.LBB37_25:                              ;   in Loop: Header=BB37_13 Depth=1
	v_add_nc_u64_e32 v[52:53], 0x180, v[52:53]
	v_add_nc_u64_e32 v[54:55], 0x80, v[46:47]
	v_add_nc_u32_e32 v51, 0x60, v51
	s_delay_alu instid0(VALU_DEP_2) | instskip(SKIP_4) | instid1(VALU_DEP_2)
	v_dual_cndmask_b32 v53, v55, v53 :: v_dual_cndmask_b32 v52, v54, v52
	global_load_b32 v54, v[52:53], off
	s_wait_xcnt 0x0
	v_ashrrev_i64 v[52:53], 29, v[50:51]
	v_ashrrev_i64 v[50:51], 30, v[50:51]
	v_add_nc_u64_e32 v[52:53], s[20:21], v[52:53]
	s_delay_alu instid0(VALU_DEP_2)
	v_add_nc_u64_e32 v[50:51], s[16:17], v[50:51]
	global_store_b64 v[52:53], v[40:41], off
	s_wait_loadcnt 0x0
	global_store_b32 v[50:51], v54, off
.LBB37_26:                              ;   in Loop: Header=BB37_13 Depth=1
	s_wait_xcnt 0x0
	s_or_b32 exec_lo, exec_lo, s6
	v_add_nc_u64_e32 v[50:51], v[8:9], v[28:29]
	v_add_nc_u64_e32 v[52:53], s[18:19], v[14:15]
	s_and_saveexec_b32 s6, s37
	s_cbranch_execnz .LBB37_38
; %bb.27:                               ;   in Loop: Header=BB37_13 Depth=1
	s_or_b32 exec_lo, exec_lo, s6
	s_and_saveexec_b32 s6, s38
	s_cbranch_execnz .LBB37_39
.LBB37_28:                              ;   in Loop: Header=BB37_13 Depth=1
	s_or_b32 exec_lo, exec_lo, s6
	s_and_saveexec_b32 s6, s39
	s_cbranch_execnz .LBB37_40
.LBB37_29:                              ;   in Loop: Header=BB37_13 Depth=1
	s_or_b32 exec_lo, exec_lo, s6
	s_and_saveexec_b32 s6, s40
	s_cbranch_execz .LBB37_31
.LBB37_30:                              ;   in Loop: Header=BB37_13 Depth=1
	v_add_nc_u64_e32 v[52:53], 0x180, v[52:53]
	v_add_nc_u64_e32 v[54:55], 0x100, v[46:47]
	v_add_nc_u32_e32 v51, 0x60, v51
	s_delay_alu instid0(VALU_DEP_2) | instskip(SKIP_4) | instid1(VALU_DEP_2)
	v_dual_cndmask_b32 v53, v55, v53 :: v_dual_cndmask_b32 v52, v54, v52
	global_load_b32 v54, v[52:53], off
	s_wait_xcnt 0x0
	v_ashrrev_i64 v[52:53], 29, v[50:51]
	v_ashrrev_i64 v[50:51], 30, v[50:51]
	v_add_nc_u64_e32 v[52:53], s[20:21], v[52:53]
	s_delay_alu instid0(VALU_DEP_2)
	v_add_nc_u64_e32 v[50:51], s[16:17], v[50:51]
	global_store_b64 v[52:53], v[40:41], off
	s_wait_loadcnt 0x0
	global_store_b32 v[50:51], v54, off
.LBB37_31:                              ;   in Loop: Header=BB37_13 Depth=1
	s_wait_xcnt 0x0
	s_or_b32 exec_lo, exec_lo, s6
	v_add_nc_u64_e32 v[50:51], v[8:9], v[10:11]
	v_add_nc_u64_e32 v[52:53], s[18:19], v[12:13]
	s_and_saveexec_b32 s6, s41
	s_cbranch_execnz .LBB37_41
; %bb.32:                               ;   in Loop: Header=BB37_13 Depth=1
	s_or_b32 exec_lo, exec_lo, s6
	s_and_saveexec_b32 s6, s42
	s_cbranch_execnz .LBB37_42
.LBB37_33:                              ;   in Loop: Header=BB37_13 Depth=1
	s_or_b32 exec_lo, exec_lo, s6
	s_and_saveexec_b32 s6, s43
	s_cbranch_execnz .LBB37_43
.LBB37_34:                              ;   in Loop: Header=BB37_13 Depth=1
	s_or_b32 exec_lo, exec_lo, s6
	s_and_saveexec_b32 s6, s44
	s_cbranch_execz .LBB37_12
	s_branch .LBB37_44
.LBB37_35:                              ;   in Loop: Header=BB37_13 Depth=1
	v_add_nc_u64_e32 v[54:55], 0x80, v[48:49]
	s_delay_alu instid0(VALU_DEP_3) | instskip(NEXT) | instid1(VALU_DEP_2)
	v_ashrrev_i64 v[56:57], 30, v[50:51]
	v_dual_cndmask_b32 v55, v55, v53 :: v_dual_cndmask_b32 v54, v54, v52
	s_delay_alu instid0(VALU_DEP_2) | instskip(SKIP_3) | instid1(VALU_DEP_1)
	v_add_nc_u64_e32 v[56:57], s[16:17], v[56:57]
	global_load_b32 v58, v[54:55], off
	s_wait_xcnt 0x0
	v_ashrrev_i64 v[54:55], 29, v[50:51]
	v_add_nc_u64_e32 v[54:55], s[20:21], v[54:55]
	global_store_b64 v[54:55], v[38:39], off
	s_wait_loadcnt 0x0
	global_store_b32 v[56:57], v58, off
	s_wait_xcnt 0x0
	s_or_b32 exec_lo, exec_lo, s6
	s_and_saveexec_b32 s6, s34
	s_cbranch_execz .LBB37_23
.LBB37_36:                              ;   in Loop: Header=BB37_13 Depth=1
	s_delay_alu instid0(VALU_DEP_1) | instskip(SKIP_3) | instid1(VALU_DEP_1)
	v_dual_cndmask_b32 v55, v43, v53 :: v_dual_cndmask_b32 v54, v42, v52
	global_load_b32 v58, v[54:55], off offset:128
	s_wait_xcnt 0x0
	v_dual_mov_b32 v54, v50 :: v_dual_add_nc_u32 v55, 32, v51
	v_ashrrev_i64 v[56:57], 29, v[54:55]
	v_ashrrev_i64 v[54:55], 30, v[54:55]
	s_delay_alu instid0(VALU_DEP_2) | instskip(NEXT) | instid1(VALU_DEP_2)
	v_add_nc_u64_e32 v[56:57], s[20:21], v[56:57]
	v_add_nc_u64_e32 v[54:55], s[16:17], v[54:55]
	global_store_b64 v[56:57], v[34:35], off
	s_wait_loadcnt 0x0
	global_store_b32 v[54:55], v58, off
	s_wait_xcnt 0x0
	s_or_b32 exec_lo, exec_lo, s6
	s_and_saveexec_b32 s6, s35
	s_cbranch_execz .LBB37_24
.LBB37_37:                              ;   in Loop: Header=BB37_13 Depth=1
	v_add_nc_u64_e32 v[54:55], 0x100, v[52:53]
	v_add_nc_u64_e32 v[56:57], 0x80, v[44:45]
	s_delay_alu instid0(VALU_DEP_1) | instskip(SKIP_3) | instid1(VALU_DEP_1)
	v_dual_cndmask_b32 v55, v57, v55 :: v_dual_cndmask_b32 v54, v56, v54
	global_load_b32 v58, v[54:55], off
	s_wait_xcnt 0x0
	v_dual_mov_b32 v54, v50 :: v_dual_add_nc_u32 v55, 64, v51
	v_ashrrev_i64 v[56:57], 29, v[54:55]
	v_ashrrev_i64 v[54:55], 30, v[54:55]
	s_delay_alu instid0(VALU_DEP_2) | instskip(NEXT) | instid1(VALU_DEP_2)
	v_add_nc_u64_e32 v[56:57], s[20:21], v[56:57]
	v_add_nc_u64_e32 v[54:55], s[16:17], v[54:55]
	global_store_b64 v[56:57], v[36:37], off
	s_wait_loadcnt 0x0
	global_store_b32 v[54:55], v58, off
	s_wait_xcnt 0x0
	s_or_b32 exec_lo, exec_lo, s6
	s_and_saveexec_b32 s6, s36
	s_cbranch_execnz .LBB37_25
	s_branch .LBB37_26
.LBB37_38:                              ;   in Loop: Header=BB37_13 Depth=1
	v_add_nc_u64_e32 v[54:55], 0x100, v[48:49]
	s_delay_alu instid0(VALU_DEP_3) | instskip(NEXT) | instid1(VALU_DEP_2)
	v_ashrrev_i64 v[56:57], 30, v[50:51]
	v_dual_cndmask_b32 v55, v55, v53 :: v_dual_cndmask_b32 v54, v54, v52
	s_delay_alu instid0(VALU_DEP_2) | instskip(SKIP_3) | instid1(VALU_DEP_1)
	v_add_nc_u64_e32 v[56:57], s[16:17], v[56:57]
	global_load_b32 v58, v[54:55], off
	s_wait_xcnt 0x0
	v_ashrrev_i64 v[54:55], 29, v[50:51]
	v_add_nc_u64_e32 v[54:55], s[20:21], v[54:55]
	global_store_b64 v[54:55], v[38:39], off
	s_wait_loadcnt 0x0
	global_store_b32 v[56:57], v58, off
	s_wait_xcnt 0x0
	s_or_b32 exec_lo, exec_lo, s6
	s_and_saveexec_b32 s6, s38
	s_cbranch_execz .LBB37_28
.LBB37_39:                              ;   in Loop: Header=BB37_13 Depth=1
	s_delay_alu instid0(VALU_DEP_1) | instskip(SKIP_1) | instid1(VALU_DEP_1)
	v_add_nc_u64_e32 v[54:55], 0x80, v[52:53]
	v_add_nc_u64_e32 v[56:57], 0x100, v[42:43]
	v_dual_cndmask_b32 v55, v57, v55 :: v_dual_cndmask_b32 v54, v56, v54
	global_load_b32 v58, v[54:55], off
	s_wait_xcnt 0x0
	v_dual_mov_b32 v54, v50 :: v_dual_add_nc_u32 v55, 32, v51
	s_delay_alu instid0(VALU_DEP_1) | instskip(SKIP_1) | instid1(VALU_DEP_2)
	v_ashrrev_i64 v[56:57], 29, v[54:55]
	v_ashrrev_i64 v[54:55], 30, v[54:55]
	v_add_nc_u64_e32 v[56:57], s[20:21], v[56:57]
	s_delay_alu instid0(VALU_DEP_2)
	v_add_nc_u64_e32 v[54:55], s[16:17], v[54:55]
	global_store_b64 v[56:57], v[34:35], off
	s_wait_loadcnt 0x0
	global_store_b32 v[54:55], v58, off
	s_wait_xcnt 0x0
	s_or_b32 exec_lo, exec_lo, s6
	s_and_saveexec_b32 s6, s39
	s_cbranch_execz .LBB37_29
.LBB37_40:                              ;   in Loop: Header=BB37_13 Depth=1
	v_dual_cndmask_b32 v55, v45, v53 :: v_dual_cndmask_b32 v54, v44, v52
	global_load_b32 v58, v[54:55], off offset:256
	s_wait_xcnt 0x0
	v_dual_mov_b32 v54, v50 :: v_dual_add_nc_u32 v55, 64, v51
	s_delay_alu instid0(VALU_DEP_1) | instskip(SKIP_1) | instid1(VALU_DEP_2)
	v_ashrrev_i64 v[56:57], 29, v[54:55]
	v_ashrrev_i64 v[54:55], 30, v[54:55]
	v_add_nc_u64_e32 v[56:57], s[20:21], v[56:57]
	s_delay_alu instid0(VALU_DEP_2)
	v_add_nc_u64_e32 v[54:55], s[16:17], v[54:55]
	global_store_b64 v[56:57], v[36:37], off
	s_wait_loadcnt 0x0
	global_store_b32 v[54:55], v58, off
	s_wait_xcnt 0x0
	s_or_b32 exec_lo, exec_lo, s6
	s_and_saveexec_b32 s6, s40
	s_cbranch_execnz .LBB37_30
	s_branch .LBB37_31
.LBB37_41:                              ;   in Loop: Header=BB37_13 Depth=1
	v_add_nc_u64_e32 v[48:49], 0x180, v[48:49]
	s_delay_alu instid0(VALU_DEP_1) | instskip(SKIP_3) | instid1(VALU_DEP_1)
	v_dual_cndmask_b32 v49, v49, v53 :: v_dual_cndmask_b32 v48, v48, v52
	global_load_b32 v56, v[48:49], off
	s_wait_xcnt 0x0
	v_dual_mov_b32 v48, v50 :: v_dual_add_nc_u32 v49, 0xffffffa0, v51
	v_ashrrev_i64 v[54:55], 29, v[48:49]
	v_ashrrev_i64 v[48:49], 30, v[48:49]
	s_delay_alu instid0(VALU_DEP_2) | instskip(NEXT) | instid1(VALU_DEP_2)
	v_add_nc_u64_e32 v[54:55], s[20:21], v[54:55]
	v_add_nc_u64_e32 v[48:49], s[16:17], v[48:49]
	global_store_b64 v[54:55], v[38:39], off
	s_wait_loadcnt 0x0
	global_store_b32 v[48:49], v56, off
	s_wait_xcnt 0x0
	s_or_b32 exec_lo, exec_lo, s6
	s_and_saveexec_b32 s6, s42
	s_cbranch_execz .LBB37_33
.LBB37_42:                              ;   in Loop: Header=BB37_13 Depth=1
	s_delay_alu instid0(VALU_DEP_1) | instskip(SKIP_1) | instid1(VALU_DEP_1)
	v_add_nc_u64_e32 v[38:39], 0x80, v[52:53]
	v_add_nc_u64_e32 v[42:43], 0x180, v[42:43]
	v_dual_cndmask_b32 v39, v43, v39 :: v_dual_cndmask_b32 v38, v42, v38
	global_load_b32 v48, v[38:39], off
	s_wait_xcnt 0x0
	v_subrev_nc_u32_e32 v39, 64, v51
	v_mov_b32_e32 v38, v50
	s_delay_alu instid0(VALU_DEP_1) | instskip(SKIP_1) | instid1(VALU_DEP_2)
	v_ashrrev_i64 v[42:43], 29, v[38:39]
	v_ashrrev_i64 v[38:39], 30, v[38:39]
	v_add_nc_u64_e32 v[42:43], s[20:21], v[42:43]
	s_delay_alu instid0(VALU_DEP_2)
	v_add_nc_u64_e32 v[38:39], s[16:17], v[38:39]
	global_store_b64 v[42:43], v[34:35], off
	s_wait_loadcnt 0x0
	global_store_b32 v[38:39], v48, off
	s_wait_xcnt 0x0
	s_or_b32 exec_lo, exec_lo, s6
	s_and_saveexec_b32 s6, s43
	s_cbranch_execz .LBB37_34
.LBB37_43:                              ;   in Loop: Header=BB37_13 Depth=1
	v_add_nc_u64_e32 v[34:35], 0x100, v[52:53]
	v_add_nc_u64_e32 v[38:39], 0x180, v[44:45]
	s_delay_alu instid0(VALU_DEP_1) | instskip(SKIP_4) | instid1(VALU_DEP_1)
	v_dual_cndmask_b32 v35, v39, v35 :: v_dual_cndmask_b32 v34, v38, v34
	global_load_b32 v42, v[34:35], off
	s_wait_xcnt 0x0
	v_subrev_nc_u32_e32 v35, 32, v51
	v_mov_b32_e32 v34, v50
	v_ashrrev_i64 v[38:39], 29, v[34:35]
	v_ashrrev_i64 v[34:35], 30, v[34:35]
	s_delay_alu instid0(VALU_DEP_2) | instskip(NEXT) | instid1(VALU_DEP_2)
	v_add_nc_u64_e32 v[38:39], s[20:21], v[38:39]
	v_add_nc_u64_e32 v[34:35], s[16:17], v[34:35]
	global_store_b64 v[38:39], v[36:37], off
	s_wait_loadcnt 0x0
	global_store_b32 v[34:35], v42, off
	s_wait_xcnt 0x0
	s_or_b32 exec_lo, exec_lo, s6
	s_and_saveexec_b32 s6, s44
	s_cbranch_execz .LBB37_12
.LBB37_44:                              ;   in Loop: Header=BB37_13 Depth=1
	v_dual_cndmask_b32 v35, v47, v53 :: v_dual_cndmask_b32 v34, v46, v52
	v_ashrrev_i64 v[36:37], 30, v[50:51]
	global_load_b32 v38, v[34:35], off offset:384
	s_wait_xcnt 0x0
	v_ashrrev_i64 v[34:35], 29, v[50:51]
	v_add_nc_u64_e32 v[36:37], s[16:17], v[36:37]
	s_delay_alu instid0(VALU_DEP_2)
	v_add_nc_u64_e32 v[34:35], s[20:21], v[34:35]
	global_store_b64 v[34:35], v[40:41], off
	s_wait_loadcnt 0x0
	global_store_b32 v[36:37], v38, off
	s_branch .LBB37_12
.LBB37_45:
	s_endpgm
	.section	.rodata,"a",@progbits
	.p2align	6, 0x0
	.amdhsa_kernel _ZN9rocsparseL35bsr2csr_block_per_row_33_256_kernelILj1024ELj128ELj32EiilEEv20rocsparse_direction_T4_S2_21rocsparse_index_base_PKT2_PKT3_PKS2_S2_S3_PS4_PS7_PS2_
		.amdhsa_group_segment_fixed_size 0
		.amdhsa_private_segment_fixed_size 0
		.amdhsa_kernarg_size 96
		.amdhsa_user_sgpr_count 2
		.amdhsa_user_sgpr_dispatch_ptr 0
		.amdhsa_user_sgpr_queue_ptr 0
		.amdhsa_user_sgpr_kernarg_segment_ptr 1
		.amdhsa_user_sgpr_dispatch_id 0
		.amdhsa_user_sgpr_kernarg_preload_length 0
		.amdhsa_user_sgpr_kernarg_preload_offset 0
		.amdhsa_user_sgpr_private_segment_size 0
		.amdhsa_wavefront_size32 1
		.amdhsa_uses_dynamic_stack 0
		.amdhsa_enable_private_segment 0
		.amdhsa_system_sgpr_workgroup_id_x 1
		.amdhsa_system_sgpr_workgroup_id_y 0
		.amdhsa_system_sgpr_workgroup_id_z 0
		.amdhsa_system_sgpr_workgroup_info 0
		.amdhsa_system_vgpr_workitem_id 0
		.amdhsa_next_free_vgpr 59
		.amdhsa_next_free_sgpr 45
		.amdhsa_named_barrier_count 0
		.amdhsa_reserve_vcc 1
		.amdhsa_float_round_mode_32 0
		.amdhsa_float_round_mode_16_64 0
		.amdhsa_float_denorm_mode_32 3
		.amdhsa_float_denorm_mode_16_64 3
		.amdhsa_fp16_overflow 0
		.amdhsa_memory_ordered 1
		.amdhsa_forward_progress 1
		.amdhsa_inst_pref_size 25
		.amdhsa_round_robin_scheduling 0
		.amdhsa_exception_fp_ieee_invalid_op 0
		.amdhsa_exception_fp_denorm_src 0
		.amdhsa_exception_fp_ieee_div_zero 0
		.amdhsa_exception_fp_ieee_overflow 0
		.amdhsa_exception_fp_ieee_underflow 0
		.amdhsa_exception_fp_ieee_inexact 0
		.amdhsa_exception_int_div_zero 0
	.end_amdhsa_kernel
	.section	.text._ZN9rocsparseL35bsr2csr_block_per_row_33_256_kernelILj1024ELj128ELj32EiilEEv20rocsparse_direction_T4_S2_21rocsparse_index_base_PKT2_PKT3_PKS2_S2_S3_PS4_PS7_PS2_,"axG",@progbits,_ZN9rocsparseL35bsr2csr_block_per_row_33_256_kernelILj1024ELj128ELj32EiilEEv20rocsparse_direction_T4_S2_21rocsparse_index_base_PKT2_PKT3_PKS2_S2_S3_PS4_PS7_PS2_,comdat
.Lfunc_end37:
	.size	_ZN9rocsparseL35bsr2csr_block_per_row_33_256_kernelILj1024ELj128ELj32EiilEEv20rocsparse_direction_T4_S2_21rocsparse_index_base_PKT2_PKT3_PKS2_S2_S3_PS4_PS7_PS2_, .Lfunc_end37-_ZN9rocsparseL35bsr2csr_block_per_row_33_256_kernelILj1024ELj128ELj32EiilEEv20rocsparse_direction_T4_S2_21rocsparse_index_base_PKT2_PKT3_PKS2_S2_S3_PS4_PS7_PS2_
                                        ; -- End function
	.set _ZN9rocsparseL35bsr2csr_block_per_row_33_256_kernelILj1024ELj128ELj32EiilEEv20rocsparse_direction_T4_S2_21rocsparse_index_base_PKT2_PKT3_PKS2_S2_S3_PS4_PS7_PS2_.num_vgpr, 59
	.set _ZN9rocsparseL35bsr2csr_block_per_row_33_256_kernelILj1024ELj128ELj32EiilEEv20rocsparse_direction_T4_S2_21rocsparse_index_base_PKT2_PKT3_PKS2_S2_S3_PS4_PS7_PS2_.num_agpr, 0
	.set _ZN9rocsparseL35bsr2csr_block_per_row_33_256_kernelILj1024ELj128ELj32EiilEEv20rocsparse_direction_T4_S2_21rocsparse_index_base_PKT2_PKT3_PKS2_S2_S3_PS4_PS7_PS2_.numbered_sgpr, 45
	.set _ZN9rocsparseL35bsr2csr_block_per_row_33_256_kernelILj1024ELj128ELj32EiilEEv20rocsparse_direction_T4_S2_21rocsparse_index_base_PKT2_PKT3_PKS2_S2_S3_PS4_PS7_PS2_.num_named_barrier, 0
	.set _ZN9rocsparseL35bsr2csr_block_per_row_33_256_kernelILj1024ELj128ELj32EiilEEv20rocsparse_direction_T4_S2_21rocsparse_index_base_PKT2_PKT3_PKS2_S2_S3_PS4_PS7_PS2_.private_seg_size, 0
	.set _ZN9rocsparseL35bsr2csr_block_per_row_33_256_kernelILj1024ELj128ELj32EiilEEv20rocsparse_direction_T4_S2_21rocsparse_index_base_PKT2_PKT3_PKS2_S2_S3_PS4_PS7_PS2_.uses_vcc, 1
	.set _ZN9rocsparseL35bsr2csr_block_per_row_33_256_kernelILj1024ELj128ELj32EiilEEv20rocsparse_direction_T4_S2_21rocsparse_index_base_PKT2_PKT3_PKS2_S2_S3_PS4_PS7_PS2_.uses_flat_scratch, 0
	.set _ZN9rocsparseL35bsr2csr_block_per_row_33_256_kernelILj1024ELj128ELj32EiilEEv20rocsparse_direction_T4_S2_21rocsparse_index_base_PKT2_PKT3_PKS2_S2_S3_PS4_PS7_PS2_.has_dyn_sized_stack, 0
	.set _ZN9rocsparseL35bsr2csr_block_per_row_33_256_kernelILj1024ELj128ELj32EiilEEv20rocsparse_direction_T4_S2_21rocsparse_index_base_PKT2_PKT3_PKS2_S2_S3_PS4_PS7_PS2_.has_recursion, 0
	.set _ZN9rocsparseL35bsr2csr_block_per_row_33_256_kernelILj1024ELj128ELj32EiilEEv20rocsparse_direction_T4_S2_21rocsparse_index_base_PKT2_PKT3_PKS2_S2_S3_PS4_PS7_PS2_.has_indirect_call, 0
	.section	.AMDGPU.csdata,"",@progbits
; Kernel info:
; codeLenInByte = 3200
; TotalNumSgprs: 47
; NumVgprs: 59
; ScratchSize: 0
; MemoryBound: 0
; FloatMode: 240
; IeeeMode: 1
; LDSByteSize: 0 bytes/workgroup (compile time only)
; SGPRBlocks: 0
; VGPRBlocks: 3
; NumSGPRsForWavesPerEU: 47
; NumVGPRsForWavesPerEU: 59
; NamedBarCnt: 0
; Occupancy: 16
; WaveLimiterHint : 1
; COMPUTE_PGM_RSRC2:SCRATCH_EN: 0
; COMPUTE_PGM_RSRC2:USER_SGPR: 2
; COMPUTE_PGM_RSRC2:TRAP_HANDLER: 0
; COMPUTE_PGM_RSRC2:TGID_X_EN: 1
; COMPUTE_PGM_RSRC2:TGID_Y_EN: 0
; COMPUTE_PGM_RSRC2:TGID_Z_EN: 0
; COMPUTE_PGM_RSRC2:TIDIG_COMP_CNT: 0
	.section	.text._ZN9rocsparseL35bsr2csr_block_per_row_33_256_kernelILj1024ELj256ELj32EiilEEv20rocsparse_direction_T4_S2_21rocsparse_index_base_PKT2_PKT3_PKS2_S2_S3_PS4_PS7_PS2_,"axG",@progbits,_ZN9rocsparseL35bsr2csr_block_per_row_33_256_kernelILj1024ELj256ELj32EiilEEv20rocsparse_direction_T4_S2_21rocsparse_index_base_PKT2_PKT3_PKS2_S2_S3_PS4_PS7_PS2_,comdat
	.globl	_ZN9rocsparseL35bsr2csr_block_per_row_33_256_kernelILj1024ELj256ELj32EiilEEv20rocsparse_direction_T4_S2_21rocsparse_index_base_PKT2_PKT3_PKS2_S2_S3_PS4_PS7_PS2_ ; -- Begin function _ZN9rocsparseL35bsr2csr_block_per_row_33_256_kernelILj1024ELj256ELj32EiilEEv20rocsparse_direction_T4_S2_21rocsparse_index_base_PKT2_PKT3_PKS2_S2_S3_PS4_PS7_PS2_
	.p2align	8
	.type	_ZN9rocsparseL35bsr2csr_block_per_row_33_256_kernelILj1024ELj256ELj32EiilEEv20rocsparse_direction_T4_S2_21rocsparse_index_base_PKT2_PKT3_PKS2_S2_S3_PS4_PS7_PS2_,@function
_ZN9rocsparseL35bsr2csr_block_per_row_33_256_kernelILj1024ELj256ELj32EiilEEv20rocsparse_direction_T4_S2_21rocsparse_index_base_PKT2_PKT3_PKS2_S2_S3_PS4_PS7_PS2_: ; @_ZN9rocsparseL35bsr2csr_block_per_row_33_256_kernelILj1024ELj256ELj32EiilEEv20rocsparse_direction_T4_S2_21rocsparse_index_base_PKT2_PKT3_PKS2_S2_S3_PS4_PS7_PS2_
; %bb.0:
	s_load_b64 s[6:7], s[0:1], 0x28
	s_bfe_u32 s2, ttmp6, 0x4000c
	s_and_b32 s3, ttmp6, 15
	s_add_co_i32 s2, s2, 1
	s_getreg_b32 s4, hwreg(HW_REG_IB_STS2, 6, 4)
	s_mul_i32 s2, ttmp9, s2
	s_mov_b32 s17, 0
	s_add_co_i32 s3, s3, s2
	s_cmp_eq_u32 s4, 0
	s_clause 0x1
	s_load_b32 s18, s[0:1], 0x40
	s_load_b64 s[4:5], s[0:1], 0x50
	s_cselect_b32 s2, ttmp9, s3
	s_mov_b32 s3, s17
	v_or_b32_e32 v1, s2, v0
	s_lshl_b64 s[8:9], s[2:3], 2
	s_wait_kmcnt 0x0
	s_add_nc_u64 s[6:7], s[6:7], s[8:9]
	s_load_b64 s[10:11], s[6:7], 0x0
	s_wait_xcnt 0x0
	s_mov_b32 s6, exec_lo
	v_cmpx_eq_u32_e32 0, v1
	s_cbranch_execz .LBB38_2
; %bb.1:
	v_dual_mov_b32 v1, 0 :: v_dual_mov_b32 v2, s18
	global_store_b32 v1, v2, s[4:5]
.LBB38_2:
	s_wait_xcnt 0x0
	s_or_b32 exec_lo, exec_lo, s6
	s_clause 0x1
	s_load_b32 s20, s[0:1], 0x18
	s_load_b64 s[22:23], s[0:1], 0x38
	v_dual_mov_b32 v51, 0 :: v_dual_lshrrev_b32 v50, 5, v0
	s_mov_b32 s35, s17
	s_wait_kmcnt 0x0
	s_sub_co_i32 s16, s10, s20
	s_sub_co_i32 s33, s11, s20
	s_mul_u64 s[6:7], s[22:23], s[2:3]
	v_cmp_gt_i64_e64 s2, s[22:23], v[50:51]
	s_sub_co_i32 s34, s33, s16
	s_mul_u64 s[30:31], s[22:23], s[22:23]
	s_mul_u64 s[14:15], s[22:23], s[34:35]
	s_lshl_b64 s[6:7], s[6:7], 2
	s_mul_u64 s[12:13], s[30:31], s[16:17]
	s_add_co_i32 s13, s18, s14
	s_add_nc_u64 s[24:25], s[4:5], s[6:7]
	s_and_saveexec_b32 s3, s2
	s_cbranch_execz .LBB38_4
; %bb.3:
	s_add_co_i32 s4, s13, s12
	s_delay_alu instid0(SALU_CYCLE_1)
	v_mad_u32 v1, v50, s14, s4
	global_store_b32 v50, v1, s[24:25] offset:4 scale_offset
.LBB38_4:
	s_wait_xcnt 0x0
	s_or_b32 exec_lo, exec_lo, s3
	v_dual_mov_b32 v53, v51 :: v_dual_bitop2_b32 v52, 32, v50 bitop3:0x54
	s_delay_alu instid0(VALU_DEP_1)
	v_cmp_gt_i64_e64 s3, s[22:23], v[52:53]
	s_and_saveexec_b32 s4, s3
	s_cbranch_execz .LBB38_6
; %bb.5:
	s_add_co_i32 s5, s13, s12
	s_delay_alu instid0(SALU_CYCLE_1)
	v_mad_u32 v1, v52, s14, s5
	global_store_b32 v50, v1, s[24:25] offset:132 scale_offset
.LBB38_6:
	s_wait_xcnt 0x0
	s_or_b32 exec_lo, exec_lo, s4
	v_dual_mov_b32 v49, v51 :: v_dual_bitop2_b32 v48, 64, v50 bitop3:0x54
	s_delay_alu instid0(VALU_DEP_1)
	v_cmp_gt_i64_e64 s4, s[22:23], v[48:49]
	s_and_saveexec_b32 s5, s4
	s_cbranch_execz .LBB38_8
; %bb.7:
	s_add_co_i32 s6, s13, s12
	s_delay_alu instid0(SALU_CYCLE_1)
	v_mad_u32 v1, v48, s14, s6
	global_store_b32 v50, v1, s[24:25] offset:260 scale_offset
.LBB38_8:
	s_wait_xcnt 0x0
	s_or_b32 exec_lo, exec_lo, s5
	v_or_b32_e32 v54, 0x60, v50
	v_mov_b32_e32 v55, v51
	s_delay_alu instid0(VALU_DEP_1)
	v_cmp_gt_i64_e64 s5, s[22:23], v[54:55]
	s_and_saveexec_b32 s6, s5
	s_cbranch_execz .LBB38_10
; %bb.9:
	s_add_co_i32 s7, s13, s12
	s_delay_alu instid0(SALU_CYCLE_1)
	v_mad_u32 v1, v54, s14, s7
	global_store_b32 v50, v1, s[24:25] offset:388 scale_offset
.LBB38_10:
	s_wait_xcnt 0x0
	s_or_b32 exec_lo, exec_lo, s6
	v_or_b32_e32 v46, 0x80, v50
	v_mov_b32_e32 v47, v51
	;; [unrolled: 14-line block ×5, first 2 shown]
	s_delay_alu instid0(VALU_DEP_1)
	v_cmp_gt_i64_e64 s9, s[22:23], v[58:59]
	s_and_saveexec_b32 s15, s9
	s_cbranch_execz .LBB38_18
; %bb.17:
	s_add_co_i32 s13, s13, s12
	s_delay_alu instid0(SALU_CYCLE_1)
	v_mad_u32 v1, v58, s14, s13
	global_store_b32 v50, v1, s[24:25] offset:900 scale_offset
.LBB38_18:
	s_wait_xcnt 0x0
	s_or_b32 exec_lo, exec_lo, s15
	s_cmp_lt_i32 s10, s11
	s_cbranch_scc0 .LBB38_149
; %bb.19:
	s_clause 0x2
	s_load_b32 s10, s[0:1], 0x0
	s_load_b64 s[36:37], s[0:1], 0x30
	s_load_b64 s[28:29], s[0:1], 0x58
	v_dual_mov_b32 v1, 0 :: v_dual_lshlrev_b32 v32, 2, v50
	v_and_b32_e32 v0, 31, v0
	s_mul_i32 s94, s22, s16
	s_clause 0x1
	s_load_b64 s[24:25], s[0:1], 0x48
	s_load_b64 s[26:27], s[0:1], 0x20
	v_dual_mov_b32 v33, v1 :: v_dual_mov_b32 v19, v1
	v_lshlrev_b32_e32 v18, 2, v0
	v_mad_u32 v51, v58, s34, s94
	v_mad_u32 v53, v44, s34, s94
	;; [unrolled: 1-line block ×5, first 2 shown]
	v_or_b32_e32 v44, 0xc0, v0
	v_or_b32_e32 v46, 0xe0, v0
	v_mov_b32_e32 v47, v1
	s_wait_xcnt 0x0
	v_cmp_gt_i64_e64 s0, s[22:23], v[0:1]
	s_wait_kmcnt 0x0
	s_cmp_eq_u32 s10, 0
	v_mov_b32_e32 v49, v0
	s_cselect_b32 vcc_lo, -1, 0
	s_ashr_i32 s17, s16, 31
	v_mul_lo_u32 v51, s22, v51
	s_mul_u64 s[10:11], s[22:23], s[16:17]
	v_mul_lo_u32 v53, s22, v53
	s_lshl_b64 s[10:11], s[10:11], 2
	v_mul_lo_u32 v55, s22, v55
	v_add_nc_u64_e32 v[30:31], s[10:11], v[32:33]
	v_add_nc_u64_e32 v[34:35], s[10:11], v[18:19]
	v_mul_lo_u32 v57, s22, v56
	v_mul_lo_u32 v59, s22, v58
	v_dual_mov_b32 v56, v1 :: v_dual_mov_b32 v58, v1
	s_mov_b32 s21, 0
	v_mad_nc_u64_u32 v[2:3], s22, v30, v[18:19]
	v_add_nc_u64_e32 v[36:37], 0x380, v[30:31]
	v_add_nc_u64_e32 v[38:39], 0x300, v[30:31]
	;; [unrolled: 1-line block ×10, first 2 shown]
	v_mad_u32 v3, s23, v30, v3
	v_add_nc_u64_e32 v[72:73], 0x200, v[34:35]
	v_add_nc_u64_e32 v[74:75], 0x280, v[34:35]
	;; [unrolled: 1-line block ×4, first 2 shown]
	v_mad_nc_u64_u32 v[4:5], s22, v34, v[32:33]
	v_mad_nc_u64_u32 v[6:7], s22, v36, v[18:19]
	;; [unrolled: 1-line block ×13, first 2 shown]
	v_mad_u32 v3, s22, v31, v3
	v_mad_nc_u64_u32 v[30:31], s22, v76, v[32:33]
	v_mad_nc_u64_u32 v[32:33], s22, v78, v[32:33]
	v_mad_u32 v5, s23, v34, v5
	v_mad_u32 v7, s23, v36, v7
	;; [unrolled: 1-line block ×23, first 2 shown]
	v_dual_mov_b32 v35, v1 :: v_dual_bitop2_b32 v34, 32, v0 bitop3:0x54
	v_dual_mov_b32 v37, v1 :: v_dual_bitop2_b32 v36, 64, v0 bitop3:0x54
	v_or_b32_e32 v38, 0x60, v0
	v_dual_mov_b32 v39, v1 :: v_dual_mov_b32 v41, v1
	v_or_b32_e32 v40, 0x80, v0
	v_or_b32_e32 v42, 0xa0, v0
	v_dual_mov_b32 v43, v1 :: v_dual_mov_b32 v45, v1
	v_mad_u32 v15, s22, v61, v15
	v_mad_u32 v17, s22, v63, v17
	;; [unrolled: 1-line block ×8, first 2 shown]
	v_cmp_gt_i64_e64 s1, s[22:23], v[34:35]
	v_cmp_gt_i64_e64 s10, s[22:23], v[36:37]
	v_mad_u32 v31, s22, v77, v31
	v_mad_u32 v33, s22, v79, v33
	v_cmp_gt_i64_e64 s11, s[22:23], v[38:39]
	v_cmp_gt_i64_e64 s12, s[22:23], v[40:41]
	;; [unrolled: 1-line block ×4, first 2 shown]
	v_mov_b32_e32 v48, v1
	v_cmp_gt_i64_e64 s15, s[22:23], v[46:47]
	v_mul_lo_u32 v61, s22, v60
	v_mul_lo_u32 v63, s22, v62
	;; [unrolled: 1-line block ×3, first 2 shown]
	v_dual_mov_b32 v50, v1 :: v_dual_mov_b32 v52, v1
	v_dual_mov_b32 v54, v1 :: v_dual_mov_b32 v60, v1
	;; [unrolled: 1-line block ×3, first 2 shown]
	s_and_b32 s35, s2, s0
	s_and_b32 s38, s2, s1
	;; [unrolled: 1-line block ×16, first 2 shown]
	s_lshl_b64 s[2:3], s[16:17], 3
	s_mov_b32 s19, s21
	s_and_b32 s53, s4, s0
	s_and_b32 s54, s4, s1
	;; [unrolled: 1-line block ×48, first 2 shown]
	s_mov_b32 s0, s21
	s_mov_b32 s1, s22
	s_add_nc_u64 s[2:3], s[36:37], s[2:3]
	s_lshl_b64 s[4:5], s[30:31], 2
	s_branch .LBB38_21
.LBB38_20:                              ;   in Loop: Header=BB38_21 Depth=1
	s_wait_xcnt 0x0
	s_or_b32 exec_lo, exec_lo, s6
	v_add_nc_u64_e32 v[50:51], s[0:1], v[50:51]
	v_add_nc_u64_e32 v[52:53], s[0:1], v[52:53]
	;; [unrolled: 1-line block ×8, first 2 shown]
	s_add_co_i32 s16, s16, 1
	s_add_nc_u64 s[2:3], s[2:3], 8
	s_cmp_ge_i32 s16, s33
	s_add_nc_u64 s[26:27], s[26:27], s[4:5]
	s_cbranch_scc1 .LBB38_149
.LBB38_21:                              ; =>This Inner Loop Header: Depth=1
	s_load_b64 s[6:7], s[2:3], 0x0
	v_add_nc_u64_e32 v[98:99], v[48:49], v[64:65]
	v_add_nc_u64_e32 v[100:101], s[26:27], v[2:3]
	;; [unrolled: 1-line block ×3, first 2 shown]
	s_wait_kmcnt 0x0
	s_sub_nc_u64 s[6:7], s[6:7], s[20:21]
	s_delay_alu instid0(SALU_CYCLE_1) | instskip(NEXT) | instid1(SALU_CYCLE_1)
	s_mul_u64 s[6:7], s[6:7], s[22:23]
	s_add_nc_u64 s[6:7], s[6:7], s[18:19]
	s_delay_alu instid0(SALU_CYCLE_1)
	v_add_nc_u64_e32 v[76:77], s[6:7], v[0:1]
	s_and_saveexec_b32 s15, s35
	s_cbranch_execz .LBB38_23
; %bb.22:                               ;   in Loop: Header=BB38_21 Depth=1
	v_dual_cndmask_b32 v67, v91, v101 :: v_dual_cndmask_b32 v66, v90, v100
	v_ashrrev_i64 v[68:69], 30, v[98:99]
	global_load_b32 v70, v[66:67], off
	s_wait_xcnt 0x0
	v_ashrrev_i64 v[66:67], 29, v[98:99]
	v_add_nc_u64_e32 v[68:69], s[24:25], v[68:69]
	s_delay_alu instid0(VALU_DEP_2)
	v_add_nc_u64_e32 v[66:67], s[28:29], v[66:67]
	global_store_b64 v[66:67], v[76:77], off
	s_wait_loadcnt 0x0
	global_store_b32 v[68:69], v70, off
.LBB38_23:                              ;   in Loop: Header=BB38_21 Depth=1
	s_wait_xcnt 0x0
	s_or_b32 exec_lo, exec_lo, s15
	v_add_nc_u64_e32 v[66:67], s[6:7], v[34:35]
	v_add_nc_u64_e32 v[82:83], s[26:27], v[20:21]
	s_and_saveexec_b32 s15, s38
	s_cbranch_execz .LBB38_25
; %bb.24:                               ;   in Loop: Header=BB38_21 Depth=1
	v_add_nc_u64_e32 v[68:69], 0x80, v[100:101]
	s_delay_alu instid0(VALU_DEP_1) | instskip(SKIP_3) | instid1(VALU_DEP_1)
	v_dual_cndmask_b32 v69, v83, v69 :: v_dual_cndmask_b32 v68, v82, v68
	global_load_b32 v72, v[68:69], off
	s_wait_xcnt 0x0
	v_dual_mov_b32 v68, v98 :: v_dual_add_nc_u32 v69, 32, v99
	v_ashrrev_i64 v[70:71], 29, v[68:69]
	v_ashrrev_i64 v[68:69], 30, v[68:69]
	s_delay_alu instid0(VALU_DEP_2) | instskip(NEXT) | instid1(VALU_DEP_2)
	v_add_nc_u64_e32 v[70:71], s[28:29], v[70:71]
	v_add_nc_u64_e32 v[68:69], s[24:25], v[68:69]
	global_store_b64 v[70:71], v[66:67], off
	s_wait_loadcnt 0x0
	global_store_b32 v[68:69], v72, off
.LBB38_25:                              ;   in Loop: Header=BB38_21 Depth=1
	s_wait_xcnt 0x0
	s_or_b32 exec_lo, exec_lo, s15
	v_add_nc_u64_e32 v[68:69], s[6:7], v[36:37]
	v_add_nc_u64_e32 v[84:85], s[26:27], v[22:23]
	s_and_saveexec_b32 s15, s39
	s_cbranch_execz .LBB38_27
; %bb.26:                               ;   in Loop: Header=BB38_21 Depth=1
	v_add_nc_u64_e32 v[70:71], 0x100, v[100:101]
	s_delay_alu instid0(VALU_DEP_1) | instskip(SKIP_3) | instid1(VALU_DEP_1)
	v_dual_cndmask_b32 v71, v85, v71 :: v_dual_cndmask_b32 v70, v84, v70
	global_load_b32 v74, v[70:71], off
	s_wait_xcnt 0x0
	v_dual_mov_b32 v70, v98 :: v_dual_add_nc_u32 v71, 64, v99
	v_ashrrev_i64 v[72:73], 29, v[70:71]
	v_ashrrev_i64 v[70:71], 30, v[70:71]
	s_delay_alu instid0(VALU_DEP_2) | instskip(NEXT) | instid1(VALU_DEP_2)
	v_add_nc_u64_e32 v[72:73], s[28:29], v[72:73]
	v_add_nc_u64_e32 v[70:71], s[24:25], v[70:71]
	global_store_b64 v[72:73], v[68:69], off
	s_wait_loadcnt 0x0
	global_store_b32 v[70:71], v74, off
.LBB38_27:                              ;   in Loop: Header=BB38_21 Depth=1
	;; [unrolled: 22-line block ×6, first 2 shown]
	s_wait_xcnt 0x0
	s_or_b32 exec_lo, exec_lo, s15
	v_add_nc_u64_e32 v[80:81], s[6:7], v[46:47]
	v_add_nc_u64_e32 v[96:97], s[26:27], v[32:33]
	s_and_saveexec_b32 s6, s44
	s_cbranch_execz .LBB38_37
; %bb.36:                               ;   in Loop: Header=BB38_21 Depth=1
	v_add_nc_u64_e32 v[100:101], 0x380, v[100:101]
	v_add_nc_u32_e32 v99, 0xe0, v99
	s_delay_alu instid0(VALU_DEP_2) | instskip(SKIP_4) | instid1(VALU_DEP_2)
	v_dual_cndmask_b32 v101, v97, v101 :: v_dual_cndmask_b32 v100, v96, v100
	global_load_b32 v102, v[100:101], off
	s_wait_xcnt 0x0
	v_ashrrev_i64 v[100:101], 29, v[98:99]
	v_ashrrev_i64 v[98:99], 30, v[98:99]
	v_add_nc_u64_e32 v[100:101], s[28:29], v[100:101]
	s_delay_alu instid0(VALU_DEP_2)
	v_add_nc_u64_e32 v[98:99], s[24:25], v[98:99]
	global_store_b64 v[100:101], v[80:81], off
	s_wait_loadcnt 0x0
	global_store_b32 v[98:99], v102, off
.LBB38_37:                              ;   in Loop: Header=BB38_21 Depth=1
	s_wait_xcnt 0x0
	s_or_b32 exec_lo, exec_lo, s6
	v_add_nc_u64_e32 v[98:99], v[48:49], v[62:63]
	v_add_nc_u64_e32 v[100:101], s[26:27], v[18:19]
	s_and_saveexec_b32 s6, s45
	s_cbranch_execnz .LBB38_99
; %bb.38:                               ;   in Loop: Header=BB38_21 Depth=1
	s_or_b32 exec_lo, exec_lo, s6
	s_and_saveexec_b32 s6, s46
	s_cbranch_execnz .LBB38_100
.LBB38_39:                              ;   in Loop: Header=BB38_21 Depth=1
	s_or_b32 exec_lo, exec_lo, s6
	s_and_saveexec_b32 s6, s47
	s_cbranch_execnz .LBB38_101
.LBB38_40:                              ;   in Loop: Header=BB38_21 Depth=1
	s_or_b32 exec_lo, exec_lo, s6
	s_and_saveexec_b32 s6, s48
	s_cbranch_execnz .LBB38_102
.LBB38_41:                              ;   in Loop: Header=BB38_21 Depth=1
	s_or_b32 exec_lo, exec_lo, s6
	s_and_saveexec_b32 s6, s49
	s_cbranch_execnz .LBB38_103
.LBB38_42:                              ;   in Loop: Header=BB38_21 Depth=1
	s_or_b32 exec_lo, exec_lo, s6
	s_and_saveexec_b32 s6, s50
	s_cbranch_execnz .LBB38_104
.LBB38_43:                              ;   in Loop: Header=BB38_21 Depth=1
	s_or_b32 exec_lo, exec_lo, s6
	s_and_saveexec_b32 s6, s51
	s_cbranch_execnz .LBB38_105
.LBB38_44:                              ;   in Loop: Header=BB38_21 Depth=1
	s_or_b32 exec_lo, exec_lo, s6
	s_and_saveexec_b32 s6, s52
	s_cbranch_execz .LBB38_46
.LBB38_45:                              ;   in Loop: Header=BB38_21 Depth=1
	v_add_nc_u64_e32 v[100:101], 0x380, v[100:101]
	v_add_nc_u64_e32 v[102:103], 0x80, v[96:97]
	v_add_nc_u32_e32 v99, 0xe0, v99
	s_delay_alu instid0(VALU_DEP_2) | instskip(SKIP_4) | instid1(VALU_DEP_2)
	v_dual_cndmask_b32 v101, v103, v101 :: v_dual_cndmask_b32 v100, v102, v100
	global_load_b32 v102, v[100:101], off
	s_wait_xcnt 0x0
	v_ashrrev_i64 v[100:101], 29, v[98:99]
	v_ashrrev_i64 v[98:99], 30, v[98:99]
	v_add_nc_u64_e32 v[100:101], s[28:29], v[100:101]
	s_delay_alu instid0(VALU_DEP_2)
	v_add_nc_u64_e32 v[98:99], s[24:25], v[98:99]
	global_store_b64 v[100:101], v[80:81], off
	s_wait_loadcnt 0x0
	global_store_b32 v[98:99], v102, off
.LBB38_46:                              ;   in Loop: Header=BB38_21 Depth=1
	s_wait_xcnt 0x0
	s_or_b32 exec_lo, exec_lo, s6
	v_add_nc_u64_e32 v[98:99], v[48:49], v[60:61]
	v_add_nc_u64_e32 v[100:101], s[26:27], v[16:17]
	s_and_saveexec_b32 s6, s53
	s_cbranch_execnz .LBB38_106
; %bb.47:                               ;   in Loop: Header=BB38_21 Depth=1
	s_or_b32 exec_lo, exec_lo, s6
	s_and_saveexec_b32 s6, s54
	s_cbranch_execnz .LBB38_107
.LBB38_48:                              ;   in Loop: Header=BB38_21 Depth=1
	s_or_b32 exec_lo, exec_lo, s6
	s_and_saveexec_b32 s6, s55
	s_cbranch_execnz .LBB38_108
.LBB38_49:                              ;   in Loop: Header=BB38_21 Depth=1
	s_or_b32 exec_lo, exec_lo, s6
	s_and_saveexec_b32 s6, s56
	s_cbranch_execnz .LBB38_109
.LBB38_50:                              ;   in Loop: Header=BB38_21 Depth=1
	s_or_b32 exec_lo, exec_lo, s6
	s_and_saveexec_b32 s6, s57
	s_cbranch_execnz .LBB38_110
.LBB38_51:                              ;   in Loop: Header=BB38_21 Depth=1
	s_or_b32 exec_lo, exec_lo, s6
	s_and_saveexec_b32 s6, s58
	s_cbranch_execnz .LBB38_111
.LBB38_52:                              ;   in Loop: Header=BB38_21 Depth=1
	s_or_b32 exec_lo, exec_lo, s6
	s_and_saveexec_b32 s6, s59
	s_cbranch_execnz .LBB38_112
.LBB38_53:                              ;   in Loop: Header=BB38_21 Depth=1
	s_or_b32 exec_lo, exec_lo, s6
	s_and_saveexec_b32 s6, s60
	s_cbranch_execz .LBB38_55
.LBB38_54:                              ;   in Loop: Header=BB38_21 Depth=1
	v_add_nc_u64_e32 v[100:101], 0x380, v[100:101]
	v_add_nc_u64_e32 v[102:103], 0x100, v[96:97]
	v_add_nc_u32_e32 v99, 0xe0, v99
	s_delay_alu instid0(VALU_DEP_2) | instskip(SKIP_4) | instid1(VALU_DEP_2)
	v_dual_cndmask_b32 v101, v103, v101 :: v_dual_cndmask_b32 v100, v102, v100
	global_load_b32 v102, v[100:101], off
	s_wait_xcnt 0x0
	v_ashrrev_i64 v[100:101], 29, v[98:99]
	v_ashrrev_i64 v[98:99], 30, v[98:99]
	v_add_nc_u64_e32 v[100:101], s[28:29], v[100:101]
	s_delay_alu instid0(VALU_DEP_2)
	v_add_nc_u64_e32 v[98:99], s[24:25], v[98:99]
	global_store_b64 v[100:101], v[80:81], off
	s_wait_loadcnt 0x0
	global_store_b32 v[98:99], v102, off
.LBB38_55:                              ;   in Loop: Header=BB38_21 Depth=1
	s_wait_xcnt 0x0
	s_or_b32 exec_lo, exec_lo, s6
	v_add_nc_u64_e32 v[98:99], v[48:49], v[58:59]
	v_add_nc_u64_e32 v[100:101], s[26:27], v[14:15]
	s_and_saveexec_b32 s6, s61
	s_cbranch_execnz .LBB38_113
; %bb.56:                               ;   in Loop: Header=BB38_21 Depth=1
	s_or_b32 exec_lo, exec_lo, s6
	s_and_saveexec_b32 s6, s62
	s_cbranch_execnz .LBB38_114
.LBB38_57:                              ;   in Loop: Header=BB38_21 Depth=1
	s_or_b32 exec_lo, exec_lo, s6
	s_and_saveexec_b32 s6, s63
	s_cbranch_execnz .LBB38_115
.LBB38_58:                              ;   in Loop: Header=BB38_21 Depth=1
	s_or_b32 exec_lo, exec_lo, s6
	s_and_saveexec_b32 s6, s64
	s_cbranch_execnz .LBB38_116
.LBB38_59:                              ;   in Loop: Header=BB38_21 Depth=1
	s_or_b32 exec_lo, exec_lo, s6
	s_and_saveexec_b32 s6, s65
	s_cbranch_execnz .LBB38_117
.LBB38_60:                              ;   in Loop: Header=BB38_21 Depth=1
	s_or_b32 exec_lo, exec_lo, s6
	s_and_saveexec_b32 s6, s66
	s_cbranch_execnz .LBB38_118
.LBB38_61:                              ;   in Loop: Header=BB38_21 Depth=1
	s_or_b32 exec_lo, exec_lo, s6
	s_and_saveexec_b32 s6, s67
	s_cbranch_execnz .LBB38_119
.LBB38_62:                              ;   in Loop: Header=BB38_21 Depth=1
	s_or_b32 exec_lo, exec_lo, s6
	s_and_saveexec_b32 s6, s68
	s_cbranch_execz .LBB38_64
.LBB38_63:                              ;   in Loop: Header=BB38_21 Depth=1
	v_add_nc_u64_e32 v[100:101], 0x380, v[100:101]
	v_add_nc_u64_e32 v[102:103], 0x180, v[96:97]
	v_add_nc_u32_e32 v99, 0xe0, v99
	s_delay_alu instid0(VALU_DEP_2) | instskip(SKIP_4) | instid1(VALU_DEP_2)
	v_dual_cndmask_b32 v101, v103, v101 :: v_dual_cndmask_b32 v100, v102, v100
	global_load_b32 v102, v[100:101], off
	s_wait_xcnt 0x0
	v_ashrrev_i64 v[100:101], 29, v[98:99]
	v_ashrrev_i64 v[98:99], 30, v[98:99]
	v_add_nc_u64_e32 v[100:101], s[28:29], v[100:101]
	s_delay_alu instid0(VALU_DEP_2)
	v_add_nc_u64_e32 v[98:99], s[24:25], v[98:99]
	global_store_b64 v[100:101], v[80:81], off
	s_wait_loadcnt 0x0
	global_store_b32 v[98:99], v102, off
.LBB38_64:                              ;   in Loop: Header=BB38_21 Depth=1
	s_wait_xcnt 0x0
	s_or_b32 exec_lo, exec_lo, s6
	v_add_nc_u64_e32 v[98:99], v[48:49], v[56:57]
	v_add_nc_u64_e32 v[100:101], s[26:27], v[12:13]
	s_and_saveexec_b32 s6, s69
	s_cbranch_execnz .LBB38_120
; %bb.65:                               ;   in Loop: Header=BB38_21 Depth=1
	s_or_b32 exec_lo, exec_lo, s6
	s_and_saveexec_b32 s6, s70
	s_cbranch_execnz .LBB38_121
.LBB38_66:                              ;   in Loop: Header=BB38_21 Depth=1
	s_or_b32 exec_lo, exec_lo, s6
	s_and_saveexec_b32 s6, s71
	s_cbranch_execnz .LBB38_122
.LBB38_67:                              ;   in Loop: Header=BB38_21 Depth=1
	s_or_b32 exec_lo, exec_lo, s6
	s_and_saveexec_b32 s6, s72
	s_cbranch_execnz .LBB38_123
.LBB38_68:                              ;   in Loop: Header=BB38_21 Depth=1
	s_or_b32 exec_lo, exec_lo, s6
	s_and_saveexec_b32 s6, s73
	s_cbranch_execnz .LBB38_124
.LBB38_69:                              ;   in Loop: Header=BB38_21 Depth=1
	s_or_b32 exec_lo, exec_lo, s6
	s_and_saveexec_b32 s6, s74
	s_cbranch_execnz .LBB38_125
.LBB38_70:                              ;   in Loop: Header=BB38_21 Depth=1
	s_or_b32 exec_lo, exec_lo, s6
	s_and_saveexec_b32 s6, s75
	s_cbranch_execnz .LBB38_126
.LBB38_71:                              ;   in Loop: Header=BB38_21 Depth=1
	s_or_b32 exec_lo, exec_lo, s6
	s_and_saveexec_b32 s6, s76
	s_cbranch_execz .LBB38_73
.LBB38_72:                              ;   in Loop: Header=BB38_21 Depth=1
	v_add_nc_u64_e32 v[100:101], 0x380, v[100:101]
	v_add_nc_u64_e32 v[102:103], 0x200, v[96:97]
	v_add_nc_u32_e32 v99, 0xe0, v99
	s_delay_alu instid0(VALU_DEP_2) | instskip(SKIP_4) | instid1(VALU_DEP_2)
	v_dual_cndmask_b32 v101, v103, v101 :: v_dual_cndmask_b32 v100, v102, v100
	global_load_b32 v102, v[100:101], off
	s_wait_xcnt 0x0
	v_ashrrev_i64 v[100:101], 29, v[98:99]
	v_ashrrev_i64 v[98:99], 30, v[98:99]
	v_add_nc_u64_e32 v[100:101], s[28:29], v[100:101]
	s_delay_alu instid0(VALU_DEP_2)
	v_add_nc_u64_e32 v[98:99], s[24:25], v[98:99]
	global_store_b64 v[100:101], v[80:81], off
	s_wait_loadcnt 0x0
	global_store_b32 v[98:99], v102, off
.LBB38_73:                              ;   in Loop: Header=BB38_21 Depth=1
	s_wait_xcnt 0x0
	s_or_b32 exec_lo, exec_lo, s6
	v_add_nc_u64_e32 v[98:99], v[48:49], v[54:55]
	v_add_nc_u64_e32 v[100:101], s[26:27], v[10:11]
	s_and_saveexec_b32 s6, s77
	s_cbranch_execnz .LBB38_127
; %bb.74:                               ;   in Loop: Header=BB38_21 Depth=1
	s_or_b32 exec_lo, exec_lo, s6
	s_and_saveexec_b32 s6, s78
	s_cbranch_execnz .LBB38_128
.LBB38_75:                              ;   in Loop: Header=BB38_21 Depth=1
	s_or_b32 exec_lo, exec_lo, s6
	s_and_saveexec_b32 s6, s79
	s_cbranch_execnz .LBB38_129
.LBB38_76:                              ;   in Loop: Header=BB38_21 Depth=1
	s_or_b32 exec_lo, exec_lo, s6
	s_and_saveexec_b32 s6, s80
	s_cbranch_execnz .LBB38_130
.LBB38_77:                              ;   in Loop: Header=BB38_21 Depth=1
	s_or_b32 exec_lo, exec_lo, s6
	s_and_saveexec_b32 s6, s81
	s_cbranch_execnz .LBB38_131
.LBB38_78:                              ;   in Loop: Header=BB38_21 Depth=1
	s_or_b32 exec_lo, exec_lo, s6
	s_and_saveexec_b32 s6, s82
	s_cbranch_execnz .LBB38_132
.LBB38_79:                              ;   in Loop: Header=BB38_21 Depth=1
	s_or_b32 exec_lo, exec_lo, s6
	s_and_saveexec_b32 s6, s83
	s_cbranch_execnz .LBB38_133
.LBB38_80:                              ;   in Loop: Header=BB38_21 Depth=1
	s_or_b32 exec_lo, exec_lo, s6
	s_and_saveexec_b32 s6, s84
	s_cbranch_execz .LBB38_82
.LBB38_81:                              ;   in Loop: Header=BB38_21 Depth=1
	v_add_nc_u64_e32 v[100:101], 0x380, v[100:101]
	v_add_nc_u64_e32 v[102:103], 0x280, v[96:97]
	v_add_nc_u32_e32 v99, 0xe0, v99
	s_delay_alu instid0(VALU_DEP_2) | instskip(SKIP_4) | instid1(VALU_DEP_2)
	v_dual_cndmask_b32 v101, v103, v101 :: v_dual_cndmask_b32 v100, v102, v100
	global_load_b32 v102, v[100:101], off
	s_wait_xcnt 0x0
	v_ashrrev_i64 v[100:101], 29, v[98:99]
	v_ashrrev_i64 v[98:99], 30, v[98:99]
	v_add_nc_u64_e32 v[100:101], s[28:29], v[100:101]
	s_delay_alu instid0(VALU_DEP_2)
	v_add_nc_u64_e32 v[98:99], s[24:25], v[98:99]
	global_store_b64 v[100:101], v[80:81], off
	s_wait_loadcnt 0x0
	global_store_b32 v[98:99], v102, off
.LBB38_82:                              ;   in Loop: Header=BB38_21 Depth=1
	s_wait_xcnt 0x0
	s_or_b32 exec_lo, exec_lo, s6
	v_add_nc_u64_e32 v[98:99], v[48:49], v[52:53]
	v_add_nc_u64_e32 v[100:101], s[26:27], v[8:9]
	s_and_saveexec_b32 s6, s85
	s_cbranch_execnz .LBB38_134
; %bb.83:                               ;   in Loop: Header=BB38_21 Depth=1
	s_or_b32 exec_lo, exec_lo, s6
	s_and_saveexec_b32 s6, s86
	s_cbranch_execnz .LBB38_135
.LBB38_84:                              ;   in Loop: Header=BB38_21 Depth=1
	s_or_b32 exec_lo, exec_lo, s6
	s_and_saveexec_b32 s6, s87
	s_cbranch_execnz .LBB38_136
.LBB38_85:                              ;   in Loop: Header=BB38_21 Depth=1
	s_or_b32 exec_lo, exec_lo, s6
	s_and_saveexec_b32 s6, s88
	s_cbranch_execnz .LBB38_137
.LBB38_86:                              ;   in Loop: Header=BB38_21 Depth=1
	s_or_b32 exec_lo, exec_lo, s6
	s_and_saveexec_b32 s6, s89
	s_cbranch_execnz .LBB38_138
.LBB38_87:                              ;   in Loop: Header=BB38_21 Depth=1
	s_or_b32 exec_lo, exec_lo, s6
	s_and_saveexec_b32 s6, s90
	s_cbranch_execnz .LBB38_139
.LBB38_88:                              ;   in Loop: Header=BB38_21 Depth=1
	s_or_b32 exec_lo, exec_lo, s6
	s_and_saveexec_b32 s6, s91
	s_cbranch_execnz .LBB38_140
.LBB38_89:                              ;   in Loop: Header=BB38_21 Depth=1
	s_or_b32 exec_lo, exec_lo, s6
	s_and_saveexec_b32 s6, s8
	s_cbranch_execz .LBB38_91
.LBB38_90:                              ;   in Loop: Header=BB38_21 Depth=1
	v_add_nc_u64_e32 v[100:101], 0x380, v[100:101]
	v_add_nc_u64_e32 v[102:103], 0x300, v[96:97]
	v_add_nc_u32_e32 v99, 0xe0, v99
	s_delay_alu instid0(VALU_DEP_2) | instskip(SKIP_4) | instid1(VALU_DEP_2)
	v_dual_cndmask_b32 v101, v103, v101 :: v_dual_cndmask_b32 v100, v102, v100
	global_load_b32 v102, v[100:101], off
	s_wait_xcnt 0x0
	v_ashrrev_i64 v[100:101], 29, v[98:99]
	v_ashrrev_i64 v[98:99], 30, v[98:99]
	v_add_nc_u64_e32 v[100:101], s[28:29], v[100:101]
	s_delay_alu instid0(VALU_DEP_2)
	v_add_nc_u64_e32 v[98:99], s[24:25], v[98:99]
	global_store_b64 v[100:101], v[80:81], off
	s_wait_loadcnt 0x0
	global_store_b32 v[98:99], v102, off
.LBB38_91:                              ;   in Loop: Header=BB38_21 Depth=1
	s_wait_xcnt 0x0
	s_or_b32 exec_lo, exec_lo, s6
	v_add_nc_u64_e32 v[98:99], v[48:49], v[50:51]
	v_add_nc_u64_e32 v[100:101], s[26:27], v[6:7]
	s_and_saveexec_b32 s6, s92
	s_cbranch_execnz .LBB38_141
; %bb.92:                               ;   in Loop: Header=BB38_21 Depth=1
	s_or_b32 exec_lo, exec_lo, s6
	s_and_saveexec_b32 s6, s93
	s_cbranch_execnz .LBB38_142
.LBB38_93:                              ;   in Loop: Header=BB38_21 Depth=1
	s_or_b32 exec_lo, exec_lo, s6
	s_and_saveexec_b32 s6, s10
	s_cbranch_execnz .LBB38_143
.LBB38_94:                              ;   in Loop: Header=BB38_21 Depth=1
	s_or_b32 exec_lo, exec_lo, s6
	s_and_saveexec_b32 s6, s11
	s_cbranch_execnz .LBB38_144
.LBB38_95:                              ;   in Loop: Header=BB38_21 Depth=1
	s_or_b32 exec_lo, exec_lo, s6
	s_and_saveexec_b32 s6, s12
	s_cbranch_execnz .LBB38_145
.LBB38_96:                              ;   in Loop: Header=BB38_21 Depth=1
	s_or_b32 exec_lo, exec_lo, s6
	s_and_saveexec_b32 s6, s13
	s_cbranch_execnz .LBB38_146
.LBB38_97:                              ;   in Loop: Header=BB38_21 Depth=1
	s_or_b32 exec_lo, exec_lo, s6
	s_and_saveexec_b32 s6, s14
	s_cbranch_execnz .LBB38_147
.LBB38_98:                              ;   in Loop: Header=BB38_21 Depth=1
	s_or_b32 exec_lo, exec_lo, s6
	s_and_saveexec_b32 s6, s9
	s_cbranch_execz .LBB38_20
	s_branch .LBB38_148
.LBB38_99:                              ;   in Loop: Header=BB38_21 Depth=1
	v_add_nc_u64_e32 v[102:103], 0x80, v[90:91]
	s_delay_alu instid0(VALU_DEP_3) | instskip(NEXT) | instid1(VALU_DEP_2)
	v_ashrrev_i64 v[104:105], 30, v[98:99]
	v_dual_cndmask_b32 v103, v103, v101 :: v_dual_cndmask_b32 v102, v102, v100
	s_delay_alu instid0(VALU_DEP_2) | instskip(SKIP_3) | instid1(VALU_DEP_1)
	v_add_nc_u64_e32 v[104:105], s[24:25], v[104:105]
	global_load_b32 v106, v[102:103], off
	s_wait_xcnt 0x0
	v_ashrrev_i64 v[102:103], 29, v[98:99]
	v_add_nc_u64_e32 v[102:103], s[28:29], v[102:103]
	global_store_b64 v[102:103], v[76:77], off
	s_wait_loadcnt 0x0
	global_store_b32 v[104:105], v106, off
	s_wait_xcnt 0x0
	s_or_b32 exec_lo, exec_lo, s6
	s_and_saveexec_b32 s6, s46
	s_cbranch_execz .LBB38_39
.LBB38_100:                             ;   in Loop: Header=BB38_21 Depth=1
	s_delay_alu instid0(VALU_DEP_1) | instskip(SKIP_3) | instid1(VALU_DEP_1)
	v_dual_cndmask_b32 v103, v83, v101 :: v_dual_cndmask_b32 v102, v82, v100
	global_load_b32 v106, v[102:103], off offset:128
	s_wait_xcnt 0x0
	v_dual_mov_b32 v102, v98 :: v_dual_add_nc_u32 v103, 32, v99
	v_ashrrev_i64 v[104:105], 29, v[102:103]
	v_ashrrev_i64 v[102:103], 30, v[102:103]
	s_delay_alu instid0(VALU_DEP_2) | instskip(NEXT) | instid1(VALU_DEP_2)
	v_add_nc_u64_e32 v[104:105], s[28:29], v[104:105]
	v_add_nc_u64_e32 v[102:103], s[24:25], v[102:103]
	global_store_b64 v[104:105], v[66:67], off
	s_wait_loadcnt 0x0
	global_store_b32 v[102:103], v106, off
	s_wait_xcnt 0x0
	s_or_b32 exec_lo, exec_lo, s6
	s_and_saveexec_b32 s6, s47
	s_cbranch_execz .LBB38_40
.LBB38_101:                             ;   in Loop: Header=BB38_21 Depth=1
	v_add_nc_u64_e32 v[102:103], 0x100, v[100:101]
	v_add_nc_u64_e32 v[104:105], 0x80, v[84:85]
	s_delay_alu instid0(VALU_DEP_1) | instskip(SKIP_3) | instid1(VALU_DEP_1)
	v_dual_cndmask_b32 v103, v105, v103 :: v_dual_cndmask_b32 v102, v104, v102
	global_load_b32 v106, v[102:103], off
	s_wait_xcnt 0x0
	v_dual_mov_b32 v102, v98 :: v_dual_add_nc_u32 v103, 64, v99
	v_ashrrev_i64 v[104:105], 29, v[102:103]
	v_ashrrev_i64 v[102:103], 30, v[102:103]
	s_delay_alu instid0(VALU_DEP_2) | instskip(NEXT) | instid1(VALU_DEP_2)
	v_add_nc_u64_e32 v[104:105], s[28:29], v[104:105]
	v_add_nc_u64_e32 v[102:103], s[24:25], v[102:103]
	global_store_b64 v[104:105], v[68:69], off
	s_wait_loadcnt 0x0
	global_store_b32 v[102:103], v106, off
	s_wait_xcnt 0x0
	s_or_b32 exec_lo, exec_lo, s6
	s_and_saveexec_b32 s6, s48
	s_cbranch_execz .LBB38_41
.LBB38_102:                             ;   in Loop: Header=BB38_21 Depth=1
	v_add_nc_u64_e32 v[102:103], 0x180, v[100:101]
	v_add_nc_u64_e32 v[104:105], 0x80, v[86:87]
	s_delay_alu instid0(VALU_DEP_1) | instskip(SKIP_3) | instid1(VALU_DEP_1)
	v_dual_cndmask_b32 v103, v105, v103 :: v_dual_cndmask_b32 v102, v104, v102
	global_load_b32 v106, v[102:103], off
	s_wait_xcnt 0x0
	v_dual_mov_b32 v102, v98 :: v_dual_add_nc_u32 v103, 0x60, v99
	v_ashrrev_i64 v[104:105], 29, v[102:103]
	v_ashrrev_i64 v[102:103], 30, v[102:103]
	s_delay_alu instid0(VALU_DEP_2) | instskip(NEXT) | instid1(VALU_DEP_2)
	v_add_nc_u64_e32 v[104:105], s[28:29], v[104:105]
	v_add_nc_u64_e32 v[102:103], s[24:25], v[102:103]
	global_store_b64 v[104:105], v[70:71], off
	s_wait_loadcnt 0x0
	global_store_b32 v[102:103], v106, off
	s_wait_xcnt 0x0
	s_or_b32 exec_lo, exec_lo, s6
	s_and_saveexec_b32 s6, s49
	s_cbranch_execz .LBB38_42
.LBB38_103:                             ;   in Loop: Header=BB38_21 Depth=1
	v_add_nc_u64_e32 v[102:103], 0x200, v[100:101]
	v_add_nc_u64_e32 v[104:105], 0x80, v[88:89]
	s_delay_alu instid0(VALU_DEP_1) | instskip(SKIP_3) | instid1(VALU_DEP_1)
	v_dual_cndmask_b32 v103, v105, v103 :: v_dual_cndmask_b32 v102, v104, v102
	global_load_b32 v106, v[102:103], off
	s_wait_xcnt 0x0
	v_dual_mov_b32 v102, v98 :: v_dual_add_nc_u32 v103, 0x80, v99
	v_ashrrev_i64 v[104:105], 29, v[102:103]
	v_ashrrev_i64 v[102:103], 30, v[102:103]
	s_delay_alu instid0(VALU_DEP_2) | instskip(NEXT) | instid1(VALU_DEP_2)
	v_add_nc_u64_e32 v[104:105], s[28:29], v[104:105]
	v_add_nc_u64_e32 v[102:103], s[24:25], v[102:103]
	global_store_b64 v[104:105], v[72:73], off
	s_wait_loadcnt 0x0
	global_store_b32 v[102:103], v106, off
	s_wait_xcnt 0x0
	s_or_b32 exec_lo, exec_lo, s6
	s_and_saveexec_b32 s6, s50
	s_cbranch_execz .LBB38_43
.LBB38_104:                             ;   in Loop: Header=BB38_21 Depth=1
	v_add_nc_u64_e32 v[102:103], 0x280, v[100:101]
	v_add_nc_u64_e32 v[104:105], 0x80, v[92:93]
	s_delay_alu instid0(VALU_DEP_1) | instskip(SKIP_3) | instid1(VALU_DEP_1)
	v_dual_cndmask_b32 v103, v105, v103 :: v_dual_cndmask_b32 v102, v104, v102
	global_load_b32 v106, v[102:103], off
	s_wait_xcnt 0x0
	v_dual_mov_b32 v102, v98 :: v_dual_add_nc_u32 v103, 0xa0, v99
	v_ashrrev_i64 v[104:105], 29, v[102:103]
	v_ashrrev_i64 v[102:103], 30, v[102:103]
	s_delay_alu instid0(VALU_DEP_2) | instskip(NEXT) | instid1(VALU_DEP_2)
	v_add_nc_u64_e32 v[104:105], s[28:29], v[104:105]
	v_add_nc_u64_e32 v[102:103], s[24:25], v[102:103]
	global_store_b64 v[104:105], v[74:75], off
	s_wait_loadcnt 0x0
	global_store_b32 v[102:103], v106, off
	s_wait_xcnt 0x0
	s_or_b32 exec_lo, exec_lo, s6
	s_and_saveexec_b32 s6, s51
	s_cbranch_execz .LBB38_44
.LBB38_105:                             ;   in Loop: Header=BB38_21 Depth=1
	v_add_nc_u64_e32 v[102:103], 0x300, v[100:101]
	v_add_nc_u64_e32 v[104:105], 0x80, v[94:95]
	s_delay_alu instid0(VALU_DEP_1) | instskip(SKIP_3) | instid1(VALU_DEP_1)
	v_dual_cndmask_b32 v103, v105, v103 :: v_dual_cndmask_b32 v102, v104, v102
	global_load_b32 v106, v[102:103], off
	s_wait_xcnt 0x0
	v_dual_mov_b32 v102, v98 :: v_dual_add_nc_u32 v103, 0xc0, v99
	v_ashrrev_i64 v[104:105], 29, v[102:103]
	v_ashrrev_i64 v[102:103], 30, v[102:103]
	s_delay_alu instid0(VALU_DEP_2) | instskip(NEXT) | instid1(VALU_DEP_2)
	v_add_nc_u64_e32 v[104:105], s[28:29], v[104:105]
	v_add_nc_u64_e32 v[102:103], s[24:25], v[102:103]
	global_store_b64 v[104:105], v[78:79], off
	s_wait_loadcnt 0x0
	global_store_b32 v[102:103], v106, off
	s_wait_xcnt 0x0
	s_or_b32 exec_lo, exec_lo, s6
	s_and_saveexec_b32 s6, s52
	s_cbranch_execnz .LBB38_45
	s_branch .LBB38_46
.LBB38_106:                             ;   in Loop: Header=BB38_21 Depth=1
	v_add_nc_u64_e32 v[102:103], 0x100, v[90:91]
	s_delay_alu instid0(VALU_DEP_3) | instskip(NEXT) | instid1(VALU_DEP_2)
	v_ashrrev_i64 v[104:105], 30, v[98:99]
	v_dual_cndmask_b32 v103, v103, v101 :: v_dual_cndmask_b32 v102, v102, v100
	s_delay_alu instid0(VALU_DEP_2) | instskip(SKIP_3) | instid1(VALU_DEP_1)
	v_add_nc_u64_e32 v[104:105], s[24:25], v[104:105]
	global_load_b32 v106, v[102:103], off
	s_wait_xcnt 0x0
	v_ashrrev_i64 v[102:103], 29, v[98:99]
	v_add_nc_u64_e32 v[102:103], s[28:29], v[102:103]
	global_store_b64 v[102:103], v[76:77], off
	s_wait_loadcnt 0x0
	global_store_b32 v[104:105], v106, off
	s_wait_xcnt 0x0
	s_or_b32 exec_lo, exec_lo, s6
	s_and_saveexec_b32 s6, s54
	s_cbranch_execz .LBB38_48
.LBB38_107:                             ;   in Loop: Header=BB38_21 Depth=1
	s_delay_alu instid0(VALU_DEP_1) | instskip(SKIP_1) | instid1(VALU_DEP_1)
	v_add_nc_u64_e32 v[102:103], 0x80, v[100:101]
	v_add_nc_u64_e32 v[104:105], 0x100, v[82:83]
	v_dual_cndmask_b32 v103, v105, v103 :: v_dual_cndmask_b32 v102, v104, v102
	global_load_b32 v106, v[102:103], off
	s_wait_xcnt 0x0
	v_dual_mov_b32 v102, v98 :: v_dual_add_nc_u32 v103, 32, v99
	s_delay_alu instid0(VALU_DEP_1) | instskip(SKIP_1) | instid1(VALU_DEP_2)
	v_ashrrev_i64 v[104:105], 29, v[102:103]
	v_ashrrev_i64 v[102:103], 30, v[102:103]
	v_add_nc_u64_e32 v[104:105], s[28:29], v[104:105]
	s_delay_alu instid0(VALU_DEP_2)
	v_add_nc_u64_e32 v[102:103], s[24:25], v[102:103]
	global_store_b64 v[104:105], v[66:67], off
	s_wait_loadcnt 0x0
	global_store_b32 v[102:103], v106, off
	s_wait_xcnt 0x0
	s_or_b32 exec_lo, exec_lo, s6
	s_and_saveexec_b32 s6, s55
	s_cbranch_execz .LBB38_49
.LBB38_108:                             ;   in Loop: Header=BB38_21 Depth=1
	v_dual_cndmask_b32 v103, v85, v101 :: v_dual_cndmask_b32 v102, v84, v100
	global_load_b32 v106, v[102:103], off offset:256
	s_wait_xcnt 0x0
	v_dual_mov_b32 v102, v98 :: v_dual_add_nc_u32 v103, 64, v99
	s_delay_alu instid0(VALU_DEP_1) | instskip(SKIP_1) | instid1(VALU_DEP_2)
	v_ashrrev_i64 v[104:105], 29, v[102:103]
	v_ashrrev_i64 v[102:103], 30, v[102:103]
	v_add_nc_u64_e32 v[104:105], s[28:29], v[104:105]
	s_delay_alu instid0(VALU_DEP_2)
	v_add_nc_u64_e32 v[102:103], s[24:25], v[102:103]
	global_store_b64 v[104:105], v[68:69], off
	s_wait_loadcnt 0x0
	global_store_b32 v[102:103], v106, off
	s_wait_xcnt 0x0
	s_or_b32 exec_lo, exec_lo, s6
	s_and_saveexec_b32 s6, s56
	s_cbranch_execz .LBB38_50
.LBB38_109:                             ;   in Loop: Header=BB38_21 Depth=1
	v_add_nc_u64_e32 v[102:103], 0x180, v[100:101]
	v_add_nc_u64_e32 v[104:105], 0x100, v[86:87]
	s_delay_alu instid0(VALU_DEP_1) | instskip(SKIP_3) | instid1(VALU_DEP_1)
	v_dual_cndmask_b32 v103, v105, v103 :: v_dual_cndmask_b32 v102, v104, v102
	global_load_b32 v106, v[102:103], off
	s_wait_xcnt 0x0
	v_dual_mov_b32 v102, v98 :: v_dual_add_nc_u32 v103, 0x60, v99
	v_ashrrev_i64 v[104:105], 29, v[102:103]
	v_ashrrev_i64 v[102:103], 30, v[102:103]
	s_delay_alu instid0(VALU_DEP_2) | instskip(NEXT) | instid1(VALU_DEP_2)
	v_add_nc_u64_e32 v[104:105], s[28:29], v[104:105]
	v_add_nc_u64_e32 v[102:103], s[24:25], v[102:103]
	global_store_b64 v[104:105], v[70:71], off
	s_wait_loadcnt 0x0
	global_store_b32 v[102:103], v106, off
	s_wait_xcnt 0x0
	s_or_b32 exec_lo, exec_lo, s6
	s_and_saveexec_b32 s6, s57
	s_cbranch_execz .LBB38_51
.LBB38_110:                             ;   in Loop: Header=BB38_21 Depth=1
	v_add_nc_u64_e32 v[102:103], 0x200, v[100:101]
	v_add_nc_u64_e32 v[104:105], 0x100, v[88:89]
	s_delay_alu instid0(VALU_DEP_1) | instskip(SKIP_3) | instid1(VALU_DEP_1)
	v_dual_cndmask_b32 v103, v105, v103 :: v_dual_cndmask_b32 v102, v104, v102
	global_load_b32 v106, v[102:103], off
	s_wait_xcnt 0x0
	v_dual_mov_b32 v102, v98 :: v_dual_add_nc_u32 v103, 0x80, v99
	v_ashrrev_i64 v[104:105], 29, v[102:103]
	v_ashrrev_i64 v[102:103], 30, v[102:103]
	s_delay_alu instid0(VALU_DEP_2) | instskip(NEXT) | instid1(VALU_DEP_2)
	v_add_nc_u64_e32 v[104:105], s[28:29], v[104:105]
	v_add_nc_u64_e32 v[102:103], s[24:25], v[102:103]
	global_store_b64 v[104:105], v[72:73], off
	s_wait_loadcnt 0x0
	global_store_b32 v[102:103], v106, off
	s_wait_xcnt 0x0
	s_or_b32 exec_lo, exec_lo, s6
	s_and_saveexec_b32 s6, s58
	s_cbranch_execz .LBB38_52
.LBB38_111:                             ;   in Loop: Header=BB38_21 Depth=1
	v_add_nc_u64_e32 v[102:103], 0x280, v[100:101]
	v_add_nc_u64_e32 v[104:105], 0x100, v[92:93]
	s_delay_alu instid0(VALU_DEP_1) | instskip(SKIP_3) | instid1(VALU_DEP_1)
	v_dual_cndmask_b32 v103, v105, v103 :: v_dual_cndmask_b32 v102, v104, v102
	global_load_b32 v106, v[102:103], off
	s_wait_xcnt 0x0
	v_dual_mov_b32 v102, v98 :: v_dual_add_nc_u32 v103, 0xa0, v99
	v_ashrrev_i64 v[104:105], 29, v[102:103]
	v_ashrrev_i64 v[102:103], 30, v[102:103]
	s_delay_alu instid0(VALU_DEP_2) | instskip(NEXT) | instid1(VALU_DEP_2)
	v_add_nc_u64_e32 v[104:105], s[28:29], v[104:105]
	v_add_nc_u64_e32 v[102:103], s[24:25], v[102:103]
	global_store_b64 v[104:105], v[74:75], off
	s_wait_loadcnt 0x0
	global_store_b32 v[102:103], v106, off
	s_wait_xcnt 0x0
	s_or_b32 exec_lo, exec_lo, s6
	s_and_saveexec_b32 s6, s59
	s_cbranch_execz .LBB38_53
.LBB38_112:                             ;   in Loop: Header=BB38_21 Depth=1
	v_add_nc_u64_e32 v[102:103], 0x300, v[100:101]
	v_add_nc_u64_e32 v[104:105], 0x100, v[94:95]
	s_delay_alu instid0(VALU_DEP_1) | instskip(SKIP_3) | instid1(VALU_DEP_1)
	v_dual_cndmask_b32 v103, v105, v103 :: v_dual_cndmask_b32 v102, v104, v102
	global_load_b32 v106, v[102:103], off
	s_wait_xcnt 0x0
	v_dual_mov_b32 v102, v98 :: v_dual_add_nc_u32 v103, 0xc0, v99
	v_ashrrev_i64 v[104:105], 29, v[102:103]
	v_ashrrev_i64 v[102:103], 30, v[102:103]
	s_delay_alu instid0(VALU_DEP_2) | instskip(NEXT) | instid1(VALU_DEP_2)
	v_add_nc_u64_e32 v[104:105], s[28:29], v[104:105]
	v_add_nc_u64_e32 v[102:103], s[24:25], v[102:103]
	global_store_b64 v[104:105], v[78:79], off
	s_wait_loadcnt 0x0
	global_store_b32 v[102:103], v106, off
	s_wait_xcnt 0x0
	s_or_b32 exec_lo, exec_lo, s6
	s_and_saveexec_b32 s6, s60
	s_cbranch_execnz .LBB38_54
	s_branch .LBB38_55
.LBB38_113:                             ;   in Loop: Header=BB38_21 Depth=1
	v_add_nc_u64_e32 v[102:103], 0x180, v[90:91]
	s_delay_alu instid0(VALU_DEP_3) | instskip(NEXT) | instid1(VALU_DEP_2)
	v_ashrrev_i64 v[104:105], 30, v[98:99]
	v_dual_cndmask_b32 v103, v103, v101 :: v_dual_cndmask_b32 v102, v102, v100
	s_delay_alu instid0(VALU_DEP_2) | instskip(SKIP_3) | instid1(VALU_DEP_1)
	v_add_nc_u64_e32 v[104:105], s[24:25], v[104:105]
	global_load_b32 v106, v[102:103], off
	s_wait_xcnt 0x0
	v_ashrrev_i64 v[102:103], 29, v[98:99]
	v_add_nc_u64_e32 v[102:103], s[28:29], v[102:103]
	global_store_b64 v[102:103], v[76:77], off
	s_wait_loadcnt 0x0
	global_store_b32 v[104:105], v106, off
	s_wait_xcnt 0x0
	s_or_b32 exec_lo, exec_lo, s6
	s_and_saveexec_b32 s6, s62
	s_cbranch_execz .LBB38_57
.LBB38_114:                             ;   in Loop: Header=BB38_21 Depth=1
	s_delay_alu instid0(VALU_DEP_1) | instskip(SKIP_1) | instid1(VALU_DEP_1)
	v_add_nc_u64_e32 v[102:103], 0x80, v[100:101]
	v_add_nc_u64_e32 v[104:105], 0x180, v[82:83]
	v_dual_cndmask_b32 v103, v105, v103 :: v_dual_cndmask_b32 v102, v104, v102
	global_load_b32 v106, v[102:103], off
	s_wait_xcnt 0x0
	v_dual_mov_b32 v102, v98 :: v_dual_add_nc_u32 v103, 32, v99
	s_delay_alu instid0(VALU_DEP_1) | instskip(SKIP_1) | instid1(VALU_DEP_2)
	v_ashrrev_i64 v[104:105], 29, v[102:103]
	v_ashrrev_i64 v[102:103], 30, v[102:103]
	v_add_nc_u64_e32 v[104:105], s[28:29], v[104:105]
	s_delay_alu instid0(VALU_DEP_2)
	v_add_nc_u64_e32 v[102:103], s[24:25], v[102:103]
	global_store_b64 v[104:105], v[66:67], off
	s_wait_loadcnt 0x0
	global_store_b32 v[102:103], v106, off
	s_wait_xcnt 0x0
	s_or_b32 exec_lo, exec_lo, s6
	s_and_saveexec_b32 s6, s63
	s_cbranch_execz .LBB38_58
.LBB38_115:                             ;   in Loop: Header=BB38_21 Depth=1
	v_add_nc_u64_e32 v[102:103], 0x100, v[100:101]
	v_add_nc_u64_e32 v[104:105], 0x180, v[84:85]
	s_delay_alu instid0(VALU_DEP_1) | instskip(SKIP_3) | instid1(VALU_DEP_1)
	v_dual_cndmask_b32 v103, v105, v103 :: v_dual_cndmask_b32 v102, v104, v102
	global_load_b32 v106, v[102:103], off
	s_wait_xcnt 0x0
	v_dual_mov_b32 v102, v98 :: v_dual_add_nc_u32 v103, 64, v99
	v_ashrrev_i64 v[104:105], 29, v[102:103]
	v_ashrrev_i64 v[102:103], 30, v[102:103]
	s_delay_alu instid0(VALU_DEP_2) | instskip(NEXT) | instid1(VALU_DEP_2)
	v_add_nc_u64_e32 v[104:105], s[28:29], v[104:105]
	v_add_nc_u64_e32 v[102:103], s[24:25], v[102:103]
	global_store_b64 v[104:105], v[68:69], off
	s_wait_loadcnt 0x0
	global_store_b32 v[102:103], v106, off
	s_wait_xcnt 0x0
	s_or_b32 exec_lo, exec_lo, s6
	s_and_saveexec_b32 s6, s64
	s_cbranch_execz .LBB38_59
.LBB38_116:                             ;   in Loop: Header=BB38_21 Depth=1
	v_dual_cndmask_b32 v103, v87, v101 :: v_dual_cndmask_b32 v102, v86, v100
	global_load_b32 v106, v[102:103], off offset:384
	s_wait_xcnt 0x0
	v_dual_mov_b32 v102, v98 :: v_dual_add_nc_u32 v103, 0x60, v99
	s_delay_alu instid0(VALU_DEP_1) | instskip(SKIP_1) | instid1(VALU_DEP_2)
	v_ashrrev_i64 v[104:105], 29, v[102:103]
	v_ashrrev_i64 v[102:103], 30, v[102:103]
	v_add_nc_u64_e32 v[104:105], s[28:29], v[104:105]
	s_delay_alu instid0(VALU_DEP_2)
	v_add_nc_u64_e32 v[102:103], s[24:25], v[102:103]
	global_store_b64 v[104:105], v[70:71], off
	s_wait_loadcnt 0x0
	global_store_b32 v[102:103], v106, off
	s_wait_xcnt 0x0
	s_or_b32 exec_lo, exec_lo, s6
	s_and_saveexec_b32 s6, s65
	s_cbranch_execz .LBB38_60
.LBB38_117:                             ;   in Loop: Header=BB38_21 Depth=1
	v_add_nc_u64_e32 v[102:103], 0x200, v[100:101]
	v_add_nc_u64_e32 v[104:105], 0x180, v[88:89]
	s_delay_alu instid0(VALU_DEP_1) | instskip(SKIP_3) | instid1(VALU_DEP_1)
	v_dual_cndmask_b32 v103, v105, v103 :: v_dual_cndmask_b32 v102, v104, v102
	global_load_b32 v106, v[102:103], off
	s_wait_xcnt 0x0
	v_dual_mov_b32 v102, v98 :: v_dual_add_nc_u32 v103, 0x80, v99
	v_ashrrev_i64 v[104:105], 29, v[102:103]
	v_ashrrev_i64 v[102:103], 30, v[102:103]
	s_delay_alu instid0(VALU_DEP_2) | instskip(NEXT) | instid1(VALU_DEP_2)
	v_add_nc_u64_e32 v[104:105], s[28:29], v[104:105]
	v_add_nc_u64_e32 v[102:103], s[24:25], v[102:103]
	global_store_b64 v[104:105], v[72:73], off
	s_wait_loadcnt 0x0
	global_store_b32 v[102:103], v106, off
	s_wait_xcnt 0x0
	s_or_b32 exec_lo, exec_lo, s6
	s_and_saveexec_b32 s6, s66
	s_cbranch_execz .LBB38_61
.LBB38_118:                             ;   in Loop: Header=BB38_21 Depth=1
	v_add_nc_u64_e32 v[102:103], 0x280, v[100:101]
	v_add_nc_u64_e32 v[104:105], 0x180, v[92:93]
	s_delay_alu instid0(VALU_DEP_1) | instskip(SKIP_3) | instid1(VALU_DEP_1)
	v_dual_cndmask_b32 v103, v105, v103 :: v_dual_cndmask_b32 v102, v104, v102
	global_load_b32 v106, v[102:103], off
	s_wait_xcnt 0x0
	v_dual_mov_b32 v102, v98 :: v_dual_add_nc_u32 v103, 0xa0, v99
	v_ashrrev_i64 v[104:105], 29, v[102:103]
	v_ashrrev_i64 v[102:103], 30, v[102:103]
	s_delay_alu instid0(VALU_DEP_2) | instskip(NEXT) | instid1(VALU_DEP_2)
	v_add_nc_u64_e32 v[104:105], s[28:29], v[104:105]
	v_add_nc_u64_e32 v[102:103], s[24:25], v[102:103]
	global_store_b64 v[104:105], v[74:75], off
	s_wait_loadcnt 0x0
	global_store_b32 v[102:103], v106, off
	s_wait_xcnt 0x0
	s_or_b32 exec_lo, exec_lo, s6
	s_and_saveexec_b32 s6, s67
	s_cbranch_execz .LBB38_62
.LBB38_119:                             ;   in Loop: Header=BB38_21 Depth=1
	v_add_nc_u64_e32 v[102:103], 0x300, v[100:101]
	v_add_nc_u64_e32 v[104:105], 0x180, v[94:95]
	s_delay_alu instid0(VALU_DEP_1) | instskip(SKIP_3) | instid1(VALU_DEP_1)
	v_dual_cndmask_b32 v103, v105, v103 :: v_dual_cndmask_b32 v102, v104, v102
	global_load_b32 v106, v[102:103], off
	s_wait_xcnt 0x0
	v_dual_mov_b32 v102, v98 :: v_dual_add_nc_u32 v103, 0xc0, v99
	v_ashrrev_i64 v[104:105], 29, v[102:103]
	v_ashrrev_i64 v[102:103], 30, v[102:103]
	s_delay_alu instid0(VALU_DEP_2) | instskip(NEXT) | instid1(VALU_DEP_2)
	v_add_nc_u64_e32 v[104:105], s[28:29], v[104:105]
	v_add_nc_u64_e32 v[102:103], s[24:25], v[102:103]
	global_store_b64 v[104:105], v[78:79], off
	s_wait_loadcnt 0x0
	global_store_b32 v[102:103], v106, off
	s_wait_xcnt 0x0
	s_or_b32 exec_lo, exec_lo, s6
	s_and_saveexec_b32 s6, s68
	s_cbranch_execnz .LBB38_63
	s_branch .LBB38_64
.LBB38_120:                             ;   in Loop: Header=BB38_21 Depth=1
	v_add_nc_u64_e32 v[102:103], 0x200, v[90:91]
	s_delay_alu instid0(VALU_DEP_3) | instskip(NEXT) | instid1(VALU_DEP_2)
	v_ashrrev_i64 v[104:105], 30, v[98:99]
	v_dual_cndmask_b32 v103, v103, v101 :: v_dual_cndmask_b32 v102, v102, v100
	s_delay_alu instid0(VALU_DEP_2) | instskip(SKIP_3) | instid1(VALU_DEP_1)
	v_add_nc_u64_e32 v[104:105], s[24:25], v[104:105]
	global_load_b32 v106, v[102:103], off
	s_wait_xcnt 0x0
	v_ashrrev_i64 v[102:103], 29, v[98:99]
	v_add_nc_u64_e32 v[102:103], s[28:29], v[102:103]
	global_store_b64 v[102:103], v[76:77], off
	s_wait_loadcnt 0x0
	global_store_b32 v[104:105], v106, off
	s_wait_xcnt 0x0
	s_or_b32 exec_lo, exec_lo, s6
	s_and_saveexec_b32 s6, s70
	s_cbranch_execz .LBB38_66
.LBB38_121:                             ;   in Loop: Header=BB38_21 Depth=1
	s_delay_alu instid0(VALU_DEP_1) | instskip(SKIP_1) | instid1(VALU_DEP_1)
	v_add_nc_u64_e32 v[102:103], 0x80, v[100:101]
	v_add_nc_u64_e32 v[104:105], 0x200, v[82:83]
	v_dual_cndmask_b32 v103, v105, v103 :: v_dual_cndmask_b32 v102, v104, v102
	global_load_b32 v106, v[102:103], off
	s_wait_xcnt 0x0
	v_dual_mov_b32 v102, v98 :: v_dual_add_nc_u32 v103, 32, v99
	s_delay_alu instid0(VALU_DEP_1) | instskip(SKIP_1) | instid1(VALU_DEP_2)
	v_ashrrev_i64 v[104:105], 29, v[102:103]
	v_ashrrev_i64 v[102:103], 30, v[102:103]
	v_add_nc_u64_e32 v[104:105], s[28:29], v[104:105]
	s_delay_alu instid0(VALU_DEP_2)
	v_add_nc_u64_e32 v[102:103], s[24:25], v[102:103]
	global_store_b64 v[104:105], v[66:67], off
	s_wait_loadcnt 0x0
	global_store_b32 v[102:103], v106, off
	s_wait_xcnt 0x0
	s_or_b32 exec_lo, exec_lo, s6
	s_and_saveexec_b32 s6, s71
	s_cbranch_execz .LBB38_67
.LBB38_122:                             ;   in Loop: Header=BB38_21 Depth=1
	v_add_nc_u64_e32 v[102:103], 0x100, v[100:101]
	v_add_nc_u64_e32 v[104:105], 0x200, v[84:85]
	s_delay_alu instid0(VALU_DEP_1) | instskip(SKIP_3) | instid1(VALU_DEP_1)
	v_dual_cndmask_b32 v103, v105, v103 :: v_dual_cndmask_b32 v102, v104, v102
	global_load_b32 v106, v[102:103], off
	s_wait_xcnt 0x0
	v_dual_mov_b32 v102, v98 :: v_dual_add_nc_u32 v103, 64, v99
	v_ashrrev_i64 v[104:105], 29, v[102:103]
	v_ashrrev_i64 v[102:103], 30, v[102:103]
	s_delay_alu instid0(VALU_DEP_2) | instskip(NEXT) | instid1(VALU_DEP_2)
	v_add_nc_u64_e32 v[104:105], s[28:29], v[104:105]
	v_add_nc_u64_e32 v[102:103], s[24:25], v[102:103]
	global_store_b64 v[104:105], v[68:69], off
	s_wait_loadcnt 0x0
	global_store_b32 v[102:103], v106, off
	s_wait_xcnt 0x0
	s_or_b32 exec_lo, exec_lo, s6
	s_and_saveexec_b32 s6, s72
	s_cbranch_execz .LBB38_68
.LBB38_123:                             ;   in Loop: Header=BB38_21 Depth=1
	v_add_nc_u64_e32 v[102:103], 0x180, v[100:101]
	v_add_nc_u64_e32 v[104:105], 0x200, v[86:87]
	s_delay_alu instid0(VALU_DEP_1) | instskip(SKIP_3) | instid1(VALU_DEP_1)
	v_dual_cndmask_b32 v103, v105, v103 :: v_dual_cndmask_b32 v102, v104, v102
	global_load_b32 v106, v[102:103], off
	s_wait_xcnt 0x0
	v_dual_mov_b32 v102, v98 :: v_dual_add_nc_u32 v103, 0x60, v99
	v_ashrrev_i64 v[104:105], 29, v[102:103]
	v_ashrrev_i64 v[102:103], 30, v[102:103]
	s_delay_alu instid0(VALU_DEP_2) | instskip(NEXT) | instid1(VALU_DEP_2)
	v_add_nc_u64_e32 v[104:105], s[28:29], v[104:105]
	v_add_nc_u64_e32 v[102:103], s[24:25], v[102:103]
	global_store_b64 v[104:105], v[70:71], off
	s_wait_loadcnt 0x0
	global_store_b32 v[102:103], v106, off
	s_wait_xcnt 0x0
	s_or_b32 exec_lo, exec_lo, s6
	s_and_saveexec_b32 s6, s73
	s_cbranch_execz .LBB38_69
.LBB38_124:                             ;   in Loop: Header=BB38_21 Depth=1
	v_dual_cndmask_b32 v103, v89, v101 :: v_dual_cndmask_b32 v102, v88, v100
	global_load_b32 v106, v[102:103], off offset:512
	s_wait_xcnt 0x0
	v_dual_mov_b32 v102, v98 :: v_dual_add_nc_u32 v103, 0x80, v99
	s_delay_alu instid0(VALU_DEP_1) | instskip(SKIP_1) | instid1(VALU_DEP_2)
	v_ashrrev_i64 v[104:105], 29, v[102:103]
	v_ashrrev_i64 v[102:103], 30, v[102:103]
	v_add_nc_u64_e32 v[104:105], s[28:29], v[104:105]
	s_delay_alu instid0(VALU_DEP_2)
	v_add_nc_u64_e32 v[102:103], s[24:25], v[102:103]
	global_store_b64 v[104:105], v[72:73], off
	s_wait_loadcnt 0x0
	global_store_b32 v[102:103], v106, off
	s_wait_xcnt 0x0
	s_or_b32 exec_lo, exec_lo, s6
	s_and_saveexec_b32 s6, s74
	s_cbranch_execz .LBB38_70
.LBB38_125:                             ;   in Loop: Header=BB38_21 Depth=1
	v_add_nc_u64_e32 v[102:103], 0x280, v[100:101]
	v_add_nc_u64_e32 v[104:105], 0x200, v[92:93]
	s_delay_alu instid0(VALU_DEP_1) | instskip(SKIP_3) | instid1(VALU_DEP_1)
	v_dual_cndmask_b32 v103, v105, v103 :: v_dual_cndmask_b32 v102, v104, v102
	global_load_b32 v106, v[102:103], off
	s_wait_xcnt 0x0
	v_dual_mov_b32 v102, v98 :: v_dual_add_nc_u32 v103, 0xa0, v99
	v_ashrrev_i64 v[104:105], 29, v[102:103]
	v_ashrrev_i64 v[102:103], 30, v[102:103]
	s_delay_alu instid0(VALU_DEP_2) | instskip(NEXT) | instid1(VALU_DEP_2)
	v_add_nc_u64_e32 v[104:105], s[28:29], v[104:105]
	v_add_nc_u64_e32 v[102:103], s[24:25], v[102:103]
	global_store_b64 v[104:105], v[74:75], off
	s_wait_loadcnt 0x0
	global_store_b32 v[102:103], v106, off
	s_wait_xcnt 0x0
	s_or_b32 exec_lo, exec_lo, s6
	s_and_saveexec_b32 s6, s75
	s_cbranch_execz .LBB38_71
.LBB38_126:                             ;   in Loop: Header=BB38_21 Depth=1
	v_add_nc_u64_e32 v[102:103], 0x300, v[100:101]
	v_add_nc_u64_e32 v[104:105], 0x200, v[94:95]
	s_delay_alu instid0(VALU_DEP_1) | instskip(SKIP_3) | instid1(VALU_DEP_1)
	v_dual_cndmask_b32 v103, v105, v103 :: v_dual_cndmask_b32 v102, v104, v102
	global_load_b32 v106, v[102:103], off
	s_wait_xcnt 0x0
	v_dual_mov_b32 v102, v98 :: v_dual_add_nc_u32 v103, 0xc0, v99
	v_ashrrev_i64 v[104:105], 29, v[102:103]
	v_ashrrev_i64 v[102:103], 30, v[102:103]
	s_delay_alu instid0(VALU_DEP_2) | instskip(NEXT) | instid1(VALU_DEP_2)
	v_add_nc_u64_e32 v[104:105], s[28:29], v[104:105]
	v_add_nc_u64_e32 v[102:103], s[24:25], v[102:103]
	global_store_b64 v[104:105], v[78:79], off
	s_wait_loadcnt 0x0
	global_store_b32 v[102:103], v106, off
	s_wait_xcnt 0x0
	s_or_b32 exec_lo, exec_lo, s6
	s_and_saveexec_b32 s6, s76
	s_cbranch_execnz .LBB38_72
	s_branch .LBB38_73
.LBB38_127:                             ;   in Loop: Header=BB38_21 Depth=1
	v_add_nc_u64_e32 v[102:103], 0x280, v[90:91]
	s_delay_alu instid0(VALU_DEP_3) | instskip(NEXT) | instid1(VALU_DEP_2)
	v_ashrrev_i64 v[104:105], 30, v[98:99]
	v_dual_cndmask_b32 v103, v103, v101 :: v_dual_cndmask_b32 v102, v102, v100
	s_delay_alu instid0(VALU_DEP_2) | instskip(SKIP_3) | instid1(VALU_DEP_1)
	v_add_nc_u64_e32 v[104:105], s[24:25], v[104:105]
	global_load_b32 v106, v[102:103], off
	s_wait_xcnt 0x0
	v_ashrrev_i64 v[102:103], 29, v[98:99]
	v_add_nc_u64_e32 v[102:103], s[28:29], v[102:103]
	global_store_b64 v[102:103], v[76:77], off
	s_wait_loadcnt 0x0
	global_store_b32 v[104:105], v106, off
	s_wait_xcnt 0x0
	s_or_b32 exec_lo, exec_lo, s6
	s_and_saveexec_b32 s6, s78
	s_cbranch_execz .LBB38_75
.LBB38_128:                             ;   in Loop: Header=BB38_21 Depth=1
	s_delay_alu instid0(VALU_DEP_1) | instskip(SKIP_1) | instid1(VALU_DEP_1)
	v_add_nc_u64_e32 v[102:103], 0x80, v[100:101]
	v_add_nc_u64_e32 v[104:105], 0x280, v[82:83]
	v_dual_cndmask_b32 v103, v105, v103 :: v_dual_cndmask_b32 v102, v104, v102
	global_load_b32 v106, v[102:103], off
	s_wait_xcnt 0x0
	v_dual_mov_b32 v102, v98 :: v_dual_add_nc_u32 v103, 32, v99
	s_delay_alu instid0(VALU_DEP_1) | instskip(SKIP_1) | instid1(VALU_DEP_2)
	v_ashrrev_i64 v[104:105], 29, v[102:103]
	v_ashrrev_i64 v[102:103], 30, v[102:103]
	v_add_nc_u64_e32 v[104:105], s[28:29], v[104:105]
	s_delay_alu instid0(VALU_DEP_2)
	v_add_nc_u64_e32 v[102:103], s[24:25], v[102:103]
	global_store_b64 v[104:105], v[66:67], off
	s_wait_loadcnt 0x0
	global_store_b32 v[102:103], v106, off
	s_wait_xcnt 0x0
	s_or_b32 exec_lo, exec_lo, s6
	s_and_saveexec_b32 s6, s79
	s_cbranch_execz .LBB38_76
.LBB38_129:                             ;   in Loop: Header=BB38_21 Depth=1
	v_add_nc_u64_e32 v[102:103], 0x100, v[100:101]
	v_add_nc_u64_e32 v[104:105], 0x280, v[84:85]
	s_delay_alu instid0(VALU_DEP_1) | instskip(SKIP_3) | instid1(VALU_DEP_1)
	v_dual_cndmask_b32 v103, v105, v103 :: v_dual_cndmask_b32 v102, v104, v102
	global_load_b32 v106, v[102:103], off
	s_wait_xcnt 0x0
	v_dual_mov_b32 v102, v98 :: v_dual_add_nc_u32 v103, 64, v99
	v_ashrrev_i64 v[104:105], 29, v[102:103]
	v_ashrrev_i64 v[102:103], 30, v[102:103]
	s_delay_alu instid0(VALU_DEP_2) | instskip(NEXT) | instid1(VALU_DEP_2)
	v_add_nc_u64_e32 v[104:105], s[28:29], v[104:105]
	v_add_nc_u64_e32 v[102:103], s[24:25], v[102:103]
	global_store_b64 v[104:105], v[68:69], off
	s_wait_loadcnt 0x0
	global_store_b32 v[102:103], v106, off
	s_wait_xcnt 0x0
	s_or_b32 exec_lo, exec_lo, s6
	s_and_saveexec_b32 s6, s80
	s_cbranch_execz .LBB38_77
.LBB38_130:                             ;   in Loop: Header=BB38_21 Depth=1
	v_add_nc_u64_e32 v[102:103], 0x180, v[100:101]
	v_add_nc_u64_e32 v[104:105], 0x280, v[86:87]
	s_delay_alu instid0(VALU_DEP_1) | instskip(SKIP_3) | instid1(VALU_DEP_1)
	v_dual_cndmask_b32 v103, v105, v103 :: v_dual_cndmask_b32 v102, v104, v102
	global_load_b32 v106, v[102:103], off
	s_wait_xcnt 0x0
	v_dual_mov_b32 v102, v98 :: v_dual_add_nc_u32 v103, 0x60, v99
	v_ashrrev_i64 v[104:105], 29, v[102:103]
	v_ashrrev_i64 v[102:103], 30, v[102:103]
	s_delay_alu instid0(VALU_DEP_2) | instskip(NEXT) | instid1(VALU_DEP_2)
	v_add_nc_u64_e32 v[104:105], s[28:29], v[104:105]
	v_add_nc_u64_e32 v[102:103], s[24:25], v[102:103]
	global_store_b64 v[104:105], v[70:71], off
	s_wait_loadcnt 0x0
	global_store_b32 v[102:103], v106, off
	s_wait_xcnt 0x0
	s_or_b32 exec_lo, exec_lo, s6
	s_and_saveexec_b32 s6, s81
	s_cbranch_execz .LBB38_78
.LBB38_131:                             ;   in Loop: Header=BB38_21 Depth=1
	v_add_nc_u64_e32 v[102:103], 0x200, v[100:101]
	v_add_nc_u64_e32 v[104:105], 0x280, v[88:89]
	s_delay_alu instid0(VALU_DEP_1) | instskip(SKIP_3) | instid1(VALU_DEP_1)
	v_dual_cndmask_b32 v103, v105, v103 :: v_dual_cndmask_b32 v102, v104, v102
	global_load_b32 v106, v[102:103], off
	s_wait_xcnt 0x0
	v_dual_mov_b32 v102, v98 :: v_dual_add_nc_u32 v103, 0x80, v99
	v_ashrrev_i64 v[104:105], 29, v[102:103]
	v_ashrrev_i64 v[102:103], 30, v[102:103]
	s_delay_alu instid0(VALU_DEP_2) | instskip(NEXT) | instid1(VALU_DEP_2)
	v_add_nc_u64_e32 v[104:105], s[28:29], v[104:105]
	v_add_nc_u64_e32 v[102:103], s[24:25], v[102:103]
	global_store_b64 v[104:105], v[72:73], off
	s_wait_loadcnt 0x0
	global_store_b32 v[102:103], v106, off
	s_wait_xcnt 0x0
	s_or_b32 exec_lo, exec_lo, s6
	s_and_saveexec_b32 s6, s82
	s_cbranch_execz .LBB38_79
.LBB38_132:                             ;   in Loop: Header=BB38_21 Depth=1
	v_dual_cndmask_b32 v103, v93, v101 :: v_dual_cndmask_b32 v102, v92, v100
	global_load_b32 v106, v[102:103], off offset:640
	s_wait_xcnt 0x0
	v_dual_mov_b32 v102, v98 :: v_dual_add_nc_u32 v103, 0xa0, v99
	s_delay_alu instid0(VALU_DEP_1) | instskip(SKIP_1) | instid1(VALU_DEP_2)
	v_ashrrev_i64 v[104:105], 29, v[102:103]
	v_ashrrev_i64 v[102:103], 30, v[102:103]
	v_add_nc_u64_e32 v[104:105], s[28:29], v[104:105]
	s_delay_alu instid0(VALU_DEP_2)
	v_add_nc_u64_e32 v[102:103], s[24:25], v[102:103]
	global_store_b64 v[104:105], v[74:75], off
	s_wait_loadcnt 0x0
	global_store_b32 v[102:103], v106, off
	s_wait_xcnt 0x0
	s_or_b32 exec_lo, exec_lo, s6
	s_and_saveexec_b32 s6, s83
	s_cbranch_execz .LBB38_80
.LBB38_133:                             ;   in Loop: Header=BB38_21 Depth=1
	v_add_nc_u64_e32 v[102:103], 0x300, v[100:101]
	v_add_nc_u64_e32 v[104:105], 0x280, v[94:95]
	s_delay_alu instid0(VALU_DEP_1) | instskip(SKIP_3) | instid1(VALU_DEP_1)
	v_dual_cndmask_b32 v103, v105, v103 :: v_dual_cndmask_b32 v102, v104, v102
	global_load_b32 v106, v[102:103], off
	s_wait_xcnt 0x0
	v_dual_mov_b32 v102, v98 :: v_dual_add_nc_u32 v103, 0xc0, v99
	v_ashrrev_i64 v[104:105], 29, v[102:103]
	v_ashrrev_i64 v[102:103], 30, v[102:103]
	s_delay_alu instid0(VALU_DEP_2) | instskip(NEXT) | instid1(VALU_DEP_2)
	v_add_nc_u64_e32 v[104:105], s[28:29], v[104:105]
	v_add_nc_u64_e32 v[102:103], s[24:25], v[102:103]
	global_store_b64 v[104:105], v[78:79], off
	s_wait_loadcnt 0x0
	global_store_b32 v[102:103], v106, off
	s_wait_xcnt 0x0
	s_or_b32 exec_lo, exec_lo, s6
	s_and_saveexec_b32 s6, s84
	s_cbranch_execnz .LBB38_81
	s_branch .LBB38_82
.LBB38_134:                             ;   in Loop: Header=BB38_21 Depth=1
	v_add_nc_u64_e32 v[102:103], 0x300, v[90:91]
	s_delay_alu instid0(VALU_DEP_3) | instskip(NEXT) | instid1(VALU_DEP_2)
	v_ashrrev_i64 v[104:105], 30, v[98:99]
	v_dual_cndmask_b32 v103, v103, v101 :: v_dual_cndmask_b32 v102, v102, v100
	s_delay_alu instid0(VALU_DEP_2) | instskip(SKIP_3) | instid1(VALU_DEP_1)
	v_add_nc_u64_e32 v[104:105], s[24:25], v[104:105]
	global_load_b32 v106, v[102:103], off
	s_wait_xcnt 0x0
	v_ashrrev_i64 v[102:103], 29, v[98:99]
	v_add_nc_u64_e32 v[102:103], s[28:29], v[102:103]
	global_store_b64 v[102:103], v[76:77], off
	s_wait_loadcnt 0x0
	global_store_b32 v[104:105], v106, off
	s_wait_xcnt 0x0
	s_or_b32 exec_lo, exec_lo, s6
	s_and_saveexec_b32 s6, s86
	s_cbranch_execz .LBB38_84
.LBB38_135:                             ;   in Loop: Header=BB38_21 Depth=1
	s_delay_alu instid0(VALU_DEP_1) | instskip(SKIP_1) | instid1(VALU_DEP_1)
	v_add_nc_u64_e32 v[102:103], 0x80, v[100:101]
	v_add_nc_u64_e32 v[104:105], 0x300, v[82:83]
	v_dual_cndmask_b32 v103, v105, v103 :: v_dual_cndmask_b32 v102, v104, v102
	global_load_b32 v106, v[102:103], off
	s_wait_xcnt 0x0
	v_dual_mov_b32 v102, v98 :: v_dual_add_nc_u32 v103, 32, v99
	s_delay_alu instid0(VALU_DEP_1) | instskip(SKIP_1) | instid1(VALU_DEP_2)
	v_ashrrev_i64 v[104:105], 29, v[102:103]
	v_ashrrev_i64 v[102:103], 30, v[102:103]
	v_add_nc_u64_e32 v[104:105], s[28:29], v[104:105]
	s_delay_alu instid0(VALU_DEP_2)
	v_add_nc_u64_e32 v[102:103], s[24:25], v[102:103]
	global_store_b64 v[104:105], v[66:67], off
	s_wait_loadcnt 0x0
	global_store_b32 v[102:103], v106, off
	s_wait_xcnt 0x0
	s_or_b32 exec_lo, exec_lo, s6
	s_and_saveexec_b32 s6, s87
	s_cbranch_execz .LBB38_85
.LBB38_136:                             ;   in Loop: Header=BB38_21 Depth=1
	v_add_nc_u64_e32 v[102:103], 0x100, v[100:101]
	v_add_nc_u64_e32 v[104:105], 0x300, v[84:85]
	s_delay_alu instid0(VALU_DEP_1) | instskip(SKIP_3) | instid1(VALU_DEP_1)
	v_dual_cndmask_b32 v103, v105, v103 :: v_dual_cndmask_b32 v102, v104, v102
	global_load_b32 v106, v[102:103], off
	s_wait_xcnt 0x0
	v_dual_mov_b32 v102, v98 :: v_dual_add_nc_u32 v103, 64, v99
	v_ashrrev_i64 v[104:105], 29, v[102:103]
	v_ashrrev_i64 v[102:103], 30, v[102:103]
	s_delay_alu instid0(VALU_DEP_2) | instskip(NEXT) | instid1(VALU_DEP_2)
	v_add_nc_u64_e32 v[104:105], s[28:29], v[104:105]
	v_add_nc_u64_e32 v[102:103], s[24:25], v[102:103]
	global_store_b64 v[104:105], v[68:69], off
	s_wait_loadcnt 0x0
	global_store_b32 v[102:103], v106, off
	s_wait_xcnt 0x0
	s_or_b32 exec_lo, exec_lo, s6
	s_and_saveexec_b32 s6, s88
	s_cbranch_execz .LBB38_86
.LBB38_137:                             ;   in Loop: Header=BB38_21 Depth=1
	v_add_nc_u64_e32 v[102:103], 0x180, v[100:101]
	v_add_nc_u64_e32 v[104:105], 0x300, v[86:87]
	s_delay_alu instid0(VALU_DEP_1) | instskip(SKIP_3) | instid1(VALU_DEP_1)
	v_dual_cndmask_b32 v103, v105, v103 :: v_dual_cndmask_b32 v102, v104, v102
	global_load_b32 v106, v[102:103], off
	s_wait_xcnt 0x0
	v_dual_mov_b32 v102, v98 :: v_dual_add_nc_u32 v103, 0x60, v99
	v_ashrrev_i64 v[104:105], 29, v[102:103]
	v_ashrrev_i64 v[102:103], 30, v[102:103]
	s_delay_alu instid0(VALU_DEP_2) | instskip(NEXT) | instid1(VALU_DEP_2)
	v_add_nc_u64_e32 v[104:105], s[28:29], v[104:105]
	v_add_nc_u64_e32 v[102:103], s[24:25], v[102:103]
	global_store_b64 v[104:105], v[70:71], off
	s_wait_loadcnt 0x0
	global_store_b32 v[102:103], v106, off
	s_wait_xcnt 0x0
	s_or_b32 exec_lo, exec_lo, s6
	s_and_saveexec_b32 s6, s89
	s_cbranch_execz .LBB38_87
.LBB38_138:                             ;   in Loop: Header=BB38_21 Depth=1
	v_add_nc_u64_e32 v[102:103], 0x200, v[100:101]
	v_add_nc_u64_e32 v[104:105], 0x300, v[88:89]
	s_delay_alu instid0(VALU_DEP_1) | instskip(SKIP_3) | instid1(VALU_DEP_1)
	v_dual_cndmask_b32 v103, v105, v103 :: v_dual_cndmask_b32 v102, v104, v102
	global_load_b32 v106, v[102:103], off
	s_wait_xcnt 0x0
	v_dual_mov_b32 v102, v98 :: v_dual_add_nc_u32 v103, 0x80, v99
	v_ashrrev_i64 v[104:105], 29, v[102:103]
	v_ashrrev_i64 v[102:103], 30, v[102:103]
	s_delay_alu instid0(VALU_DEP_2) | instskip(NEXT) | instid1(VALU_DEP_2)
	v_add_nc_u64_e32 v[104:105], s[28:29], v[104:105]
	v_add_nc_u64_e32 v[102:103], s[24:25], v[102:103]
	global_store_b64 v[104:105], v[72:73], off
	s_wait_loadcnt 0x0
	global_store_b32 v[102:103], v106, off
	s_wait_xcnt 0x0
	s_or_b32 exec_lo, exec_lo, s6
	s_and_saveexec_b32 s6, s90
	s_cbranch_execz .LBB38_88
.LBB38_139:                             ;   in Loop: Header=BB38_21 Depth=1
	v_add_nc_u64_e32 v[102:103], 0x280, v[100:101]
	v_add_nc_u64_e32 v[104:105], 0x300, v[92:93]
	s_delay_alu instid0(VALU_DEP_1) | instskip(SKIP_3) | instid1(VALU_DEP_1)
	v_dual_cndmask_b32 v103, v105, v103 :: v_dual_cndmask_b32 v102, v104, v102
	global_load_b32 v106, v[102:103], off
	s_wait_xcnt 0x0
	v_dual_mov_b32 v102, v98 :: v_dual_add_nc_u32 v103, 0xa0, v99
	v_ashrrev_i64 v[104:105], 29, v[102:103]
	v_ashrrev_i64 v[102:103], 30, v[102:103]
	s_delay_alu instid0(VALU_DEP_2) | instskip(NEXT) | instid1(VALU_DEP_2)
	v_add_nc_u64_e32 v[104:105], s[28:29], v[104:105]
	v_add_nc_u64_e32 v[102:103], s[24:25], v[102:103]
	global_store_b64 v[104:105], v[74:75], off
	s_wait_loadcnt 0x0
	global_store_b32 v[102:103], v106, off
	s_wait_xcnt 0x0
	s_or_b32 exec_lo, exec_lo, s6
	s_and_saveexec_b32 s6, s91
	s_cbranch_execz .LBB38_89
.LBB38_140:                             ;   in Loop: Header=BB38_21 Depth=1
	v_dual_cndmask_b32 v103, v95, v101 :: v_dual_cndmask_b32 v102, v94, v100
	global_load_b32 v106, v[102:103], off offset:768
	s_wait_xcnt 0x0
	v_dual_mov_b32 v102, v98 :: v_dual_add_nc_u32 v103, 0xc0, v99
	s_delay_alu instid0(VALU_DEP_1) | instskip(SKIP_1) | instid1(VALU_DEP_2)
	v_ashrrev_i64 v[104:105], 29, v[102:103]
	v_ashrrev_i64 v[102:103], 30, v[102:103]
	v_add_nc_u64_e32 v[104:105], s[28:29], v[104:105]
	s_delay_alu instid0(VALU_DEP_2)
	v_add_nc_u64_e32 v[102:103], s[24:25], v[102:103]
	global_store_b64 v[104:105], v[78:79], off
	s_wait_loadcnt 0x0
	global_store_b32 v[102:103], v106, off
	s_wait_xcnt 0x0
	s_or_b32 exec_lo, exec_lo, s6
	s_and_saveexec_b32 s6, s8
	s_cbranch_execnz .LBB38_90
	s_branch .LBB38_91
.LBB38_141:                             ;   in Loop: Header=BB38_21 Depth=1
	v_add_nc_u64_e32 v[90:91], 0x380, v[90:91]
	s_delay_alu instid0(VALU_DEP_3) | instskip(NEXT) | instid1(VALU_DEP_2)
	v_ashrrev_i64 v[102:103], 30, v[98:99]
	v_dual_cndmask_b32 v91, v91, v101 :: v_dual_cndmask_b32 v90, v90, v100
	s_delay_alu instid0(VALU_DEP_2) | instskip(SKIP_3) | instid1(VALU_DEP_1)
	v_add_nc_u64_e32 v[102:103], s[24:25], v[102:103]
	global_load_b32 v104, v[90:91], off
	s_wait_xcnt 0x0
	v_ashrrev_i64 v[90:91], 29, v[98:99]
	v_add_nc_u64_e32 v[90:91], s[28:29], v[90:91]
	global_store_b64 v[90:91], v[76:77], off
	s_wait_loadcnt 0x0
	global_store_b32 v[102:103], v104, off
	s_wait_xcnt 0x0
	s_or_b32 exec_lo, exec_lo, s6
	s_and_saveexec_b32 s6, s93
	s_cbranch_execz .LBB38_93
.LBB38_142:                             ;   in Loop: Header=BB38_21 Depth=1
	s_delay_alu instid0(VALU_DEP_1) | instskip(SKIP_1) | instid1(VALU_DEP_1)
	v_add_nc_u64_e32 v[76:77], 0x80, v[100:101]
	v_add_nc_u64_e32 v[82:83], 0x380, v[82:83]
	v_dual_cndmask_b32 v77, v83, v77 :: v_dual_cndmask_b32 v76, v82, v76
	global_load_b32 v90, v[76:77], off
	s_wait_xcnt 0x0
	v_dual_mov_b32 v76, v98 :: v_dual_add_nc_u32 v77, 32, v99
	s_delay_alu instid0(VALU_DEP_1) | instskip(SKIP_1) | instid1(VALU_DEP_2)
	v_ashrrev_i64 v[82:83], 29, v[76:77]
	v_ashrrev_i64 v[76:77], 30, v[76:77]
	v_add_nc_u64_e32 v[82:83], s[28:29], v[82:83]
	s_delay_alu instid0(VALU_DEP_2)
	v_add_nc_u64_e32 v[76:77], s[24:25], v[76:77]
	global_store_b64 v[82:83], v[66:67], off
	s_wait_loadcnt 0x0
	global_store_b32 v[76:77], v90, off
	s_wait_xcnt 0x0
	s_or_b32 exec_lo, exec_lo, s6
	s_and_saveexec_b32 s6, s10
	s_cbranch_execz .LBB38_94
.LBB38_143:                             ;   in Loop: Header=BB38_21 Depth=1
	v_add_nc_u64_e32 v[66:67], 0x100, v[100:101]
	v_add_nc_u64_e32 v[76:77], 0x380, v[84:85]
	s_delay_alu instid0(VALU_DEP_1) | instskip(SKIP_3) | instid1(VALU_DEP_1)
	v_dual_cndmask_b32 v67, v77, v67 :: v_dual_cndmask_b32 v66, v76, v66
	global_load_b32 v82, v[66:67], off
	s_wait_xcnt 0x0
	v_dual_mov_b32 v66, v98 :: v_dual_add_nc_u32 v67, 64, v99
	v_ashrrev_i64 v[76:77], 29, v[66:67]
	v_ashrrev_i64 v[66:67], 30, v[66:67]
	s_delay_alu instid0(VALU_DEP_2) | instskip(NEXT) | instid1(VALU_DEP_2)
	v_add_nc_u64_e32 v[76:77], s[28:29], v[76:77]
	v_add_nc_u64_e32 v[66:67], s[24:25], v[66:67]
	global_store_b64 v[76:77], v[68:69], off
	s_wait_loadcnt 0x0
	global_store_b32 v[66:67], v82, off
	s_wait_xcnt 0x0
	s_or_b32 exec_lo, exec_lo, s6
	s_and_saveexec_b32 s6, s11
	s_cbranch_execz .LBB38_95
.LBB38_144:                             ;   in Loop: Header=BB38_21 Depth=1
	v_add_nc_u64_e32 v[66:67], 0x180, v[100:101]
	v_add_nc_u64_e32 v[68:69], 0x380, v[86:87]
	s_delay_alu instid0(VALU_DEP_1) | instskip(SKIP_3) | instid1(VALU_DEP_1)
	v_dual_cndmask_b32 v67, v69, v67 :: v_dual_cndmask_b32 v66, v68, v66
	global_load_b32 v76, v[66:67], off
	s_wait_xcnt 0x0
	v_dual_mov_b32 v66, v98 :: v_dual_add_nc_u32 v67, 0x60, v99
	v_ashrrev_i64 v[68:69], 29, v[66:67]
	v_ashrrev_i64 v[66:67], 30, v[66:67]
	s_delay_alu instid0(VALU_DEP_2) | instskip(NEXT) | instid1(VALU_DEP_2)
	v_add_nc_u64_e32 v[68:69], s[28:29], v[68:69]
	v_add_nc_u64_e32 v[66:67], s[24:25], v[66:67]
	global_store_b64 v[68:69], v[70:71], off
	s_wait_loadcnt 0x0
	global_store_b32 v[66:67], v76, off
	s_wait_xcnt 0x0
	s_or_b32 exec_lo, exec_lo, s6
	s_and_saveexec_b32 s6, s12
	s_cbranch_execz .LBB38_96
.LBB38_145:                             ;   in Loop: Header=BB38_21 Depth=1
	v_add_nc_u64_e32 v[66:67], 0x200, v[100:101]
	v_add_nc_u64_e32 v[68:69], 0x380, v[88:89]
	s_delay_alu instid0(VALU_DEP_1) | instskip(SKIP_3) | instid1(VALU_DEP_1)
	v_dual_cndmask_b32 v67, v69, v67 :: v_dual_cndmask_b32 v66, v68, v66
	global_load_b32 v70, v[66:67], off
	s_wait_xcnt 0x0
	v_dual_mov_b32 v66, v98 :: v_dual_add_nc_u32 v67, 0x80, v99
	v_ashrrev_i64 v[68:69], 29, v[66:67]
	v_ashrrev_i64 v[66:67], 30, v[66:67]
	s_delay_alu instid0(VALU_DEP_2) | instskip(NEXT) | instid1(VALU_DEP_2)
	v_add_nc_u64_e32 v[68:69], s[28:29], v[68:69]
	v_add_nc_u64_e32 v[66:67], s[24:25], v[66:67]
	global_store_b64 v[68:69], v[72:73], off
	s_wait_loadcnt 0x0
	global_store_b32 v[66:67], v70, off
	s_wait_xcnt 0x0
	s_or_b32 exec_lo, exec_lo, s6
	s_and_saveexec_b32 s6, s13
	s_cbranch_execz .LBB38_97
.LBB38_146:                             ;   in Loop: Header=BB38_21 Depth=1
	v_add_nc_u64_e32 v[66:67], 0x280, v[100:101]
	v_add_nc_u64_e32 v[68:69], 0x380, v[92:93]
	s_delay_alu instid0(VALU_DEP_1) | instskip(SKIP_3) | instid1(VALU_DEP_1)
	v_dual_cndmask_b32 v67, v69, v67 :: v_dual_cndmask_b32 v66, v68, v66
	global_load_b32 v70, v[66:67], off
	s_wait_xcnt 0x0
	v_dual_mov_b32 v66, v98 :: v_dual_add_nc_u32 v67, 0xa0, v99
	v_ashrrev_i64 v[68:69], 29, v[66:67]
	v_ashrrev_i64 v[66:67], 30, v[66:67]
	s_delay_alu instid0(VALU_DEP_2) | instskip(NEXT) | instid1(VALU_DEP_2)
	v_add_nc_u64_e32 v[68:69], s[28:29], v[68:69]
	v_add_nc_u64_e32 v[66:67], s[24:25], v[66:67]
	global_store_b64 v[68:69], v[74:75], off
	s_wait_loadcnt 0x0
	global_store_b32 v[66:67], v70, off
	s_wait_xcnt 0x0
	s_or_b32 exec_lo, exec_lo, s6
	s_and_saveexec_b32 s6, s14
	s_cbranch_execz .LBB38_98
.LBB38_147:                             ;   in Loop: Header=BB38_21 Depth=1
	v_add_nc_u64_e32 v[66:67], 0x300, v[100:101]
	v_add_nc_u64_e32 v[68:69], 0x380, v[94:95]
	s_delay_alu instid0(VALU_DEP_1) | instskip(SKIP_3) | instid1(VALU_DEP_1)
	v_dual_cndmask_b32 v67, v69, v67 :: v_dual_cndmask_b32 v66, v68, v66
	global_load_b32 v70, v[66:67], off
	s_wait_xcnt 0x0
	v_dual_mov_b32 v66, v98 :: v_dual_add_nc_u32 v67, 0xc0, v99
	v_ashrrev_i64 v[68:69], 29, v[66:67]
	v_ashrrev_i64 v[66:67], 30, v[66:67]
	s_delay_alu instid0(VALU_DEP_2) | instskip(NEXT) | instid1(VALU_DEP_2)
	v_add_nc_u64_e32 v[68:69], s[28:29], v[68:69]
	v_add_nc_u64_e32 v[66:67], s[24:25], v[66:67]
	global_store_b64 v[68:69], v[78:79], off
	s_wait_loadcnt 0x0
	global_store_b32 v[66:67], v70, off
	s_wait_xcnt 0x0
	s_or_b32 exec_lo, exec_lo, s6
	s_and_saveexec_b32 s6, s9
	s_cbranch_execz .LBB38_20
.LBB38_148:                             ;   in Loop: Header=BB38_21 Depth=1
	v_dual_cndmask_b32 v67, v97, v101 :: v_dual_cndmask_b32 v66, v96, v100
	v_add_nc_u32_e32 v99, 0xe0, v99
	global_load_b32 v70, v[66:67], off offset:896
	s_wait_xcnt 0x0
	v_ashrrev_i64 v[66:67], 29, v[98:99]
	v_ashrrev_i64 v[68:69], 30, v[98:99]
	s_delay_alu instid0(VALU_DEP_2) | instskip(NEXT) | instid1(VALU_DEP_2)
	v_add_nc_u64_e32 v[66:67], s[28:29], v[66:67]
	v_add_nc_u64_e32 v[68:69], s[24:25], v[68:69]
	global_store_b64 v[66:67], v[80:81], off
	s_wait_loadcnt 0x0
	global_store_b32 v[68:69], v70, off
	s_branch .LBB38_20
.LBB38_149:
	s_sendmsg sendmsg(MSG_DEALLOC_VGPRS)
	s_endpgm
	.section	.rodata,"a",@progbits
	.p2align	6, 0x0
	.amdhsa_kernel _ZN9rocsparseL35bsr2csr_block_per_row_33_256_kernelILj1024ELj256ELj32EiilEEv20rocsparse_direction_T4_S2_21rocsparse_index_base_PKT2_PKT3_PKS2_S2_S3_PS4_PS7_PS2_
		.amdhsa_group_segment_fixed_size 0
		.amdhsa_private_segment_fixed_size 0
		.amdhsa_kernarg_size 96
		.amdhsa_user_sgpr_count 2
		.amdhsa_user_sgpr_dispatch_ptr 0
		.amdhsa_user_sgpr_queue_ptr 0
		.amdhsa_user_sgpr_kernarg_segment_ptr 1
		.amdhsa_user_sgpr_dispatch_id 0
		.amdhsa_user_sgpr_kernarg_preload_length 0
		.amdhsa_user_sgpr_kernarg_preload_offset 0
		.amdhsa_user_sgpr_private_segment_size 0
		.amdhsa_wavefront_size32 1
		.amdhsa_uses_dynamic_stack 0
		.amdhsa_enable_private_segment 0
		.amdhsa_system_sgpr_workgroup_id_x 1
		.amdhsa_system_sgpr_workgroup_id_y 0
		.amdhsa_system_sgpr_workgroup_id_z 0
		.amdhsa_system_sgpr_workgroup_info 0
		.amdhsa_system_vgpr_workitem_id 0
		.amdhsa_next_free_vgpr 107
		.amdhsa_next_free_sgpr 95
		.amdhsa_named_barrier_count 0
		.amdhsa_reserve_vcc 1
		.amdhsa_float_round_mode_32 0
		.amdhsa_float_round_mode_16_64 0
		.amdhsa_float_denorm_mode_32 3
		.amdhsa_float_denorm_mode_16_64 3
		.amdhsa_fp16_overflow 0
		.amdhsa_memory_ordered 1
		.amdhsa_forward_progress 1
		.amdhsa_inst_pref_size 83
		.amdhsa_round_robin_scheduling 0
		.amdhsa_exception_fp_ieee_invalid_op 0
		.amdhsa_exception_fp_denorm_src 0
		.amdhsa_exception_fp_ieee_div_zero 0
		.amdhsa_exception_fp_ieee_overflow 0
		.amdhsa_exception_fp_ieee_underflow 0
		.amdhsa_exception_fp_ieee_inexact 0
		.amdhsa_exception_int_div_zero 0
	.end_amdhsa_kernel
	.section	.text._ZN9rocsparseL35bsr2csr_block_per_row_33_256_kernelILj1024ELj256ELj32EiilEEv20rocsparse_direction_T4_S2_21rocsparse_index_base_PKT2_PKT3_PKS2_S2_S3_PS4_PS7_PS2_,"axG",@progbits,_ZN9rocsparseL35bsr2csr_block_per_row_33_256_kernelILj1024ELj256ELj32EiilEEv20rocsparse_direction_T4_S2_21rocsparse_index_base_PKT2_PKT3_PKS2_S2_S3_PS4_PS7_PS2_,comdat
.Lfunc_end38:
	.size	_ZN9rocsparseL35bsr2csr_block_per_row_33_256_kernelILj1024ELj256ELj32EiilEEv20rocsparse_direction_T4_S2_21rocsparse_index_base_PKT2_PKT3_PKS2_S2_S3_PS4_PS7_PS2_, .Lfunc_end38-_ZN9rocsparseL35bsr2csr_block_per_row_33_256_kernelILj1024ELj256ELj32EiilEEv20rocsparse_direction_T4_S2_21rocsparse_index_base_PKT2_PKT3_PKS2_S2_S3_PS4_PS7_PS2_
                                        ; -- End function
	.set _ZN9rocsparseL35bsr2csr_block_per_row_33_256_kernelILj1024ELj256ELj32EiilEEv20rocsparse_direction_T4_S2_21rocsparse_index_base_PKT2_PKT3_PKS2_S2_S3_PS4_PS7_PS2_.num_vgpr, 107
	.set _ZN9rocsparseL35bsr2csr_block_per_row_33_256_kernelILj1024ELj256ELj32EiilEEv20rocsparse_direction_T4_S2_21rocsparse_index_base_PKT2_PKT3_PKS2_S2_S3_PS4_PS7_PS2_.num_agpr, 0
	.set _ZN9rocsparseL35bsr2csr_block_per_row_33_256_kernelILj1024ELj256ELj32EiilEEv20rocsparse_direction_T4_S2_21rocsparse_index_base_PKT2_PKT3_PKS2_S2_S3_PS4_PS7_PS2_.numbered_sgpr, 95
	.set _ZN9rocsparseL35bsr2csr_block_per_row_33_256_kernelILj1024ELj256ELj32EiilEEv20rocsparse_direction_T4_S2_21rocsparse_index_base_PKT2_PKT3_PKS2_S2_S3_PS4_PS7_PS2_.num_named_barrier, 0
	.set _ZN9rocsparseL35bsr2csr_block_per_row_33_256_kernelILj1024ELj256ELj32EiilEEv20rocsparse_direction_T4_S2_21rocsparse_index_base_PKT2_PKT3_PKS2_S2_S3_PS4_PS7_PS2_.private_seg_size, 0
	.set _ZN9rocsparseL35bsr2csr_block_per_row_33_256_kernelILj1024ELj256ELj32EiilEEv20rocsparse_direction_T4_S2_21rocsparse_index_base_PKT2_PKT3_PKS2_S2_S3_PS4_PS7_PS2_.uses_vcc, 1
	.set _ZN9rocsparseL35bsr2csr_block_per_row_33_256_kernelILj1024ELj256ELj32EiilEEv20rocsparse_direction_T4_S2_21rocsparse_index_base_PKT2_PKT3_PKS2_S2_S3_PS4_PS7_PS2_.uses_flat_scratch, 0
	.set _ZN9rocsparseL35bsr2csr_block_per_row_33_256_kernelILj1024ELj256ELj32EiilEEv20rocsparse_direction_T4_S2_21rocsparse_index_base_PKT2_PKT3_PKS2_S2_S3_PS4_PS7_PS2_.has_dyn_sized_stack, 0
	.set _ZN9rocsparseL35bsr2csr_block_per_row_33_256_kernelILj1024ELj256ELj32EiilEEv20rocsparse_direction_T4_S2_21rocsparse_index_base_PKT2_PKT3_PKS2_S2_S3_PS4_PS7_PS2_.has_recursion, 0
	.set _ZN9rocsparseL35bsr2csr_block_per_row_33_256_kernelILj1024ELj256ELj32EiilEEv20rocsparse_direction_T4_S2_21rocsparse_index_base_PKT2_PKT3_PKS2_S2_S3_PS4_PS7_PS2_.has_indirect_call, 0
	.section	.AMDGPU.csdata,"",@progbits
; Kernel info:
; codeLenInByte = 10608
; TotalNumSgprs: 97
; NumVgprs: 107
; ScratchSize: 0
; MemoryBound: 0
; FloatMode: 240
; IeeeMode: 1
; LDSByteSize: 0 bytes/workgroup (compile time only)
; SGPRBlocks: 0
; VGPRBlocks: 6
; NumSGPRsForWavesPerEU: 97
; NumVGPRsForWavesPerEU: 107
; NamedBarCnt: 0
; Occupancy: 9
; WaveLimiterHint : 1
; COMPUTE_PGM_RSRC2:SCRATCH_EN: 0
; COMPUTE_PGM_RSRC2:USER_SGPR: 2
; COMPUTE_PGM_RSRC2:TRAP_HANDLER: 0
; COMPUTE_PGM_RSRC2:TGID_X_EN: 1
; COMPUTE_PGM_RSRC2:TGID_Y_EN: 0
; COMPUTE_PGM_RSRC2:TGID_Z_EN: 0
; COMPUTE_PGM_RSRC2:TIDIG_COMP_CNT: 0
	.section	.text._ZN9rocsparseL35bsr2csr_block_dim_equals_one_kernelILj1024EillEEvT2_S1_21rocsparse_index_base_PKT0_PKT1_PKS1_S2_PS3_PS6_PS1_,"axG",@progbits,_ZN9rocsparseL35bsr2csr_block_dim_equals_one_kernelILj1024EillEEvT2_S1_21rocsparse_index_base_PKT0_PKT1_PKS1_S2_PS3_PS6_PS1_,comdat
	.globl	_ZN9rocsparseL35bsr2csr_block_dim_equals_one_kernelILj1024EillEEvT2_S1_21rocsparse_index_base_PKT0_PKT1_PKS1_S2_PS3_PS6_PS1_ ; -- Begin function _ZN9rocsparseL35bsr2csr_block_dim_equals_one_kernelILj1024EillEEvT2_S1_21rocsparse_index_base_PKT0_PKT1_PKS1_S2_PS3_PS6_PS1_
	.p2align	8
	.type	_ZN9rocsparseL35bsr2csr_block_dim_equals_one_kernelILj1024EillEEvT2_S1_21rocsparse_index_base_PKT0_PKT1_PKS1_S2_PS3_PS6_PS1_,@function
_ZN9rocsparseL35bsr2csr_block_dim_equals_one_kernelILj1024EillEEvT2_S1_21rocsparse_index_base_PKT0_PKT1_PKS1_S2_PS3_PS6_PS1_: ; @_ZN9rocsparseL35bsr2csr_block_dim_equals_one_kernelILj1024EillEEvT2_S1_21rocsparse_index_base_PKT0_PKT1_PKS1_S2_PS3_PS6_PS1_
; %bb.0:
	s_clause 0x3
	s_load_b32 s2, s[0:1], 0x10
	s_load_b64 s[8:9], s[0:1], 0x20
	s_load_b32 s4, s[0:1], 0x30
	s_load_b64 s[6:7], s[0:1], 0x0
	s_bfe_u32 s3, ttmp6, 0x4000c
	s_and_b32 s5, ttmp6, 15
	s_add_co_i32 s3, s3, 1
	s_getreg_b32 s10, hwreg(HW_REG_IB_STS2, 6, 4)
	s_mul_i32 s3, ttmp9, s3
	v_mov_b32_e32 v1, 0
	s_add_co_i32 s5, s5, s3
	s_cmp_eq_u32 s10, 0
	s_mov_b32 s14, exec_lo
	s_cselect_b32 s3, ttmp9, s5
	s_delay_alu instid0(SALU_CYCLE_1) | instskip(SKIP_1) | instid1(VALU_DEP_1)
	v_lshl_or_b32 v0, s3, 10, v0
	s_wait_kmcnt 0x0
	v_cmpx_gt_i64_e64 s[6:7], v[0:1]
	s_cbranch_execz .LBB39_6
; %bb.1:
                                        ; implicit-def: $sgpr12_sgpr13
	s_mov_b32 s3, exec_lo
	v_cmpx_ne_u32_e32 0, v0
	s_xor_b32 s10, exec_lo, s3
; %bb.2:
	s_mov_b32 s3, 0
	s_delay_alu instid0(SALU_CYCLE_1) | instskip(NEXT) | instid1(SALU_CYCLE_1)
	s_mov_b32 s5, s3
	s_sub_nc_u64 s[12:13], s[4:5], s[2:3]
; %bb.3:
	s_or_saveexec_b32 s15, s10
	s_load_b64 s[10:11], s[0:1], 0x40
	v_mov_b64_e32 v[2:3], s[12:13]
	s_xor_b32 exec_lo, exec_lo, s15
	s_cbranch_execz .LBB39_5
; %bb.4:
	s_load_b64 s[12:13], s[8:9], 0x0
	s_mov_b32 s5, 0
	v_mov_b32_e32 v6, 0
	s_mov_b32 s3, s5
	s_delay_alu instid0(SALU_CYCLE_1) | instskip(NEXT) | instid1(SALU_CYCLE_1)
	s_sub_nc_u64 s[16:17], s[4:5], s[2:3]
	v_mov_b64_e32 v[2:3], s[16:17]
	s_wait_kmcnt 0x0
	s_add_nc_u64 s[12:13], s[16:17], s[12:13]
	s_delay_alu instid0(SALU_CYCLE_1)
	v_mov_b64_e32 v[4:5], s[12:13]
	global_store_b64 v6, v[4:5], s[10:11]
.LBB39_5:
	s_wait_xcnt 0x0
	s_or_b32 exec_lo, exec_lo, s15
	v_lshlrev_b64_e32 v[4:5], 3, v[0:1]
	s_delay_alu instid0(VALU_DEP_1)
	v_add_nc_u64_e32 v[6:7], s[8:9], v[4:5]
	s_wait_kmcnt 0x0
	v_add_nc_u64_e32 v[4:5], s[10:11], v[4:5]
	global_load_b64 v[6:7], v[6:7], off offset:8
	s_wait_loadcnt 0x0
	v_add_nc_u64_e32 v[2:3], v[2:3], v[6:7]
	global_store_b64 v[4:5], v[2:3], off offset:8
.LBB39_6:
	s_wait_xcnt 0x0
	s_or_b32 exec_lo, exec_lo, s14
	s_lshl_b64 s[6:7], s[6:7], 3
	s_clause 0x3
	s_load_b64 s[10:11], s[0:1], 0x48
	s_load_b64 s[12:13], s[0:1], 0x18
	;; [unrolled: 1-line block ×4, first 2 shown]
	s_add_nc_u64 s[6:7], s[8:9], s[6:7]
	s_mov_b32 s3, exec_lo
	s_clause 0x1
	s_load_b64 s[18:19], s[6:7], 0x0
	s_load_b64 s[20:21], s[8:9], 0x0
	s_wait_kmcnt 0x0
	s_sub_nc_u64 s[6:7], s[18:19], s[20:21]
	s_delay_alu instid0(SALU_CYCLE_1)
	v_cmpx_gt_i64_e64 s[6:7], v[0:1]
	s_cbranch_execz .LBB39_9
; %bb.7:
	s_load_b32 s8, s[0:1], 0x50
	s_mov_b32 s3, 0
	v_lshlrev_b64_e32 v[2:3], 2, v[0:1]
	v_lshlrev_b64_e32 v[4:5], 3, v[0:1]
	s_mov_b32 s5, s3
	s_mov_b32 s18, s3
	s_wait_xcnt 0x0
	s_sub_nc_u64 s[0:1], s[4:5], s[2:3]
	s_wait_kmcnt 0x0
	s_lshl_b32 s2, s8, 10
	s_delay_alu instid0(SALU_CYCLE_1)
	s_lshl_b64 s[4:5], s[2:3], 2
	s_lshl_b64 s[8:9], s[2:3], 3
.LBB39_8:                               ; =>This Inner Loop Header: Depth=1
	v_add_nc_u64_e32 v[6:7], s[14:15], v[4:5]
	v_add_nc_u64_e32 v[8:9], s[12:13], v[2:3]
	;; [unrolled: 1-line block ×3, first 2 shown]
	global_load_b64 v[10:11], v[6:7], off
	global_load_b32 v12, v[8:9], off
	s_wait_xcnt 0x1
	v_add_nc_u64_e32 v[6:7], s[10:11], v[4:5]
	v_cmp_le_i64_e32 vcc_lo, s[6:7], v[0:1]
	s_wait_xcnt 0x0
	v_add_nc_u64_e32 v[8:9], s[16:17], v[2:3]
	v_add_nc_u64_e32 v[2:3], s[4:5], v[2:3]
	;; [unrolled: 1-line block ×3, first 2 shown]
	s_or_b32 s18, vcc_lo, s18
	s_wait_loadcnt 0x1
	v_add_nc_u64_e32 v[10:11], s[0:1], v[10:11]
	s_wait_loadcnt 0x0
	global_store_b32 v[8:9], v12, off
	global_store_b64 v[6:7], v[10:11], off
	s_wait_xcnt 0x0
	s_and_not1_b32 exec_lo, exec_lo, s18
	s_cbranch_execnz .LBB39_8
.LBB39_9:
	s_endpgm
	.section	.rodata,"a",@progbits
	.p2align	6, 0x0
	.amdhsa_kernel _ZN9rocsparseL35bsr2csr_block_dim_equals_one_kernelILj1024EillEEvT2_S1_21rocsparse_index_base_PKT0_PKT1_PKS1_S2_PS3_PS6_PS1_
		.amdhsa_group_segment_fixed_size 0
		.amdhsa_private_segment_fixed_size 0
		.amdhsa_kernarg_size 336
		.amdhsa_user_sgpr_count 2
		.amdhsa_user_sgpr_dispatch_ptr 0
		.amdhsa_user_sgpr_queue_ptr 0
		.amdhsa_user_sgpr_kernarg_segment_ptr 1
		.amdhsa_user_sgpr_dispatch_id 0
		.amdhsa_user_sgpr_kernarg_preload_length 0
		.amdhsa_user_sgpr_kernarg_preload_offset 0
		.amdhsa_user_sgpr_private_segment_size 0
		.amdhsa_wavefront_size32 1
		.amdhsa_uses_dynamic_stack 0
		.amdhsa_enable_private_segment 0
		.amdhsa_system_sgpr_workgroup_id_x 1
		.amdhsa_system_sgpr_workgroup_id_y 0
		.amdhsa_system_sgpr_workgroup_id_z 0
		.amdhsa_system_sgpr_workgroup_info 0
		.amdhsa_system_vgpr_workitem_id 0
		.amdhsa_next_free_vgpr 13
		.amdhsa_next_free_sgpr 22
		.amdhsa_named_barrier_count 0
		.amdhsa_reserve_vcc 1
		.amdhsa_float_round_mode_32 0
		.amdhsa_float_round_mode_16_64 0
		.amdhsa_float_denorm_mode_32 3
		.amdhsa_float_denorm_mode_16_64 3
		.amdhsa_fp16_overflow 0
		.amdhsa_memory_ordered 1
		.amdhsa_forward_progress 1
		.amdhsa_inst_pref_size 5
		.amdhsa_round_robin_scheduling 0
		.amdhsa_exception_fp_ieee_invalid_op 0
		.amdhsa_exception_fp_denorm_src 0
		.amdhsa_exception_fp_ieee_div_zero 0
		.amdhsa_exception_fp_ieee_overflow 0
		.amdhsa_exception_fp_ieee_underflow 0
		.amdhsa_exception_fp_ieee_inexact 0
		.amdhsa_exception_int_div_zero 0
	.end_amdhsa_kernel
	.section	.text._ZN9rocsparseL35bsr2csr_block_dim_equals_one_kernelILj1024EillEEvT2_S1_21rocsparse_index_base_PKT0_PKT1_PKS1_S2_PS3_PS6_PS1_,"axG",@progbits,_ZN9rocsparseL35bsr2csr_block_dim_equals_one_kernelILj1024EillEEvT2_S1_21rocsparse_index_base_PKT0_PKT1_PKS1_S2_PS3_PS6_PS1_,comdat
.Lfunc_end39:
	.size	_ZN9rocsparseL35bsr2csr_block_dim_equals_one_kernelILj1024EillEEvT2_S1_21rocsparse_index_base_PKT0_PKT1_PKS1_S2_PS3_PS6_PS1_, .Lfunc_end39-_ZN9rocsparseL35bsr2csr_block_dim_equals_one_kernelILj1024EillEEvT2_S1_21rocsparse_index_base_PKT0_PKT1_PKS1_S2_PS3_PS6_PS1_
                                        ; -- End function
	.set _ZN9rocsparseL35bsr2csr_block_dim_equals_one_kernelILj1024EillEEvT2_S1_21rocsparse_index_base_PKT0_PKT1_PKS1_S2_PS3_PS6_PS1_.num_vgpr, 13
	.set _ZN9rocsparseL35bsr2csr_block_dim_equals_one_kernelILj1024EillEEvT2_S1_21rocsparse_index_base_PKT0_PKT1_PKS1_S2_PS3_PS6_PS1_.num_agpr, 0
	.set _ZN9rocsparseL35bsr2csr_block_dim_equals_one_kernelILj1024EillEEvT2_S1_21rocsparse_index_base_PKT0_PKT1_PKS1_S2_PS3_PS6_PS1_.numbered_sgpr, 22
	.set _ZN9rocsparseL35bsr2csr_block_dim_equals_one_kernelILj1024EillEEvT2_S1_21rocsparse_index_base_PKT0_PKT1_PKS1_S2_PS3_PS6_PS1_.num_named_barrier, 0
	.set _ZN9rocsparseL35bsr2csr_block_dim_equals_one_kernelILj1024EillEEvT2_S1_21rocsparse_index_base_PKT0_PKT1_PKS1_S2_PS3_PS6_PS1_.private_seg_size, 0
	.set _ZN9rocsparseL35bsr2csr_block_dim_equals_one_kernelILj1024EillEEvT2_S1_21rocsparse_index_base_PKT0_PKT1_PKS1_S2_PS3_PS6_PS1_.uses_vcc, 1
	.set _ZN9rocsparseL35bsr2csr_block_dim_equals_one_kernelILj1024EillEEvT2_S1_21rocsparse_index_base_PKT0_PKT1_PKS1_S2_PS3_PS6_PS1_.uses_flat_scratch, 0
	.set _ZN9rocsparseL35bsr2csr_block_dim_equals_one_kernelILj1024EillEEvT2_S1_21rocsparse_index_base_PKT0_PKT1_PKS1_S2_PS3_PS6_PS1_.has_dyn_sized_stack, 0
	.set _ZN9rocsparseL35bsr2csr_block_dim_equals_one_kernelILj1024EillEEvT2_S1_21rocsparse_index_base_PKT0_PKT1_PKS1_S2_PS3_PS6_PS1_.has_recursion, 0
	.set _ZN9rocsparseL35bsr2csr_block_dim_equals_one_kernelILj1024EillEEvT2_S1_21rocsparse_index_base_PKT0_PKT1_PKS1_S2_PS3_PS6_PS1_.has_indirect_call, 0
	.section	.AMDGPU.csdata,"",@progbits
; Kernel info:
; codeLenInByte = 556
; TotalNumSgprs: 24
; NumVgprs: 13
; ScratchSize: 0
; MemoryBound: 0
; FloatMode: 240
; IeeeMode: 1
; LDSByteSize: 0 bytes/workgroup (compile time only)
; SGPRBlocks: 0
; VGPRBlocks: 0
; NumSGPRsForWavesPerEU: 24
; NumVGPRsForWavesPerEU: 13
; NamedBarCnt: 0
; Occupancy: 16
; WaveLimiterHint : 0
; COMPUTE_PGM_RSRC2:SCRATCH_EN: 0
; COMPUTE_PGM_RSRC2:USER_SGPR: 2
; COMPUTE_PGM_RSRC2:TRAP_HANDLER: 0
; COMPUTE_PGM_RSRC2:TGID_X_EN: 1
; COMPUTE_PGM_RSRC2:TGID_Y_EN: 0
; COMPUTE_PGM_RSRC2:TGID_Z_EN: 0
; COMPUTE_PGM_RSRC2:TIDIG_COMP_CNT: 0
	.section	.text._ZN9rocsparseL32bsr2csr_block_per_row_2_7_kernelILj256ELj2EillEEv20rocsparse_direction_T3_S2_21rocsparse_index_base_PKT1_PKT2_PKS2_S2_S3_PS4_PS7_PS2_,"axG",@progbits,_ZN9rocsparseL32bsr2csr_block_per_row_2_7_kernelILj256ELj2EillEEv20rocsparse_direction_T3_S2_21rocsparse_index_base_PKT1_PKT2_PKS2_S2_S3_PS4_PS7_PS2_,comdat
	.globl	_ZN9rocsparseL32bsr2csr_block_per_row_2_7_kernelILj256ELj2EillEEv20rocsparse_direction_T3_S2_21rocsparse_index_base_PKT1_PKT2_PKS2_S2_S3_PS4_PS7_PS2_ ; -- Begin function _ZN9rocsparseL32bsr2csr_block_per_row_2_7_kernelILj256ELj2EillEEv20rocsparse_direction_T3_S2_21rocsparse_index_base_PKT1_PKT2_PKS2_S2_S3_PS4_PS7_PS2_
	.p2align	8
	.type	_ZN9rocsparseL32bsr2csr_block_per_row_2_7_kernelILj256ELj2EillEEv20rocsparse_direction_T3_S2_21rocsparse_index_base_PKT1_PKT2_PKS2_S2_S3_PS4_PS7_PS2_,@function
_ZN9rocsparseL32bsr2csr_block_per_row_2_7_kernelILj256ELj2EillEEv20rocsparse_direction_T3_S2_21rocsparse_index_base_PKT1_PKT2_PKS2_S2_S3_PS4_PS7_PS2_: ; @_ZN9rocsparseL32bsr2csr_block_per_row_2_7_kernelILj256ELj2EillEEv20rocsparse_direction_T3_S2_21rocsparse_index_base_PKT1_PKT2_PKS2_S2_S3_PS4_PS7_PS2_
; %bb.0:
	s_load_b64 s[4:5], s[0:1], 0x28
	s_bfe_u32 s2, ttmp6, 0x4000c
	s_and_b32 s3, ttmp6, 15
	s_add_co_i32 s2, s2, 1
	s_getreg_b32 s6, hwreg(HW_REG_IB_STS2, 6, 4)
	s_mul_i32 s2, ttmp9, s2
	s_clause 0x1
	s_load_b32 s8, s[0:1], 0x40
	s_load_b64 s[12:13], s[0:1], 0x50
	s_add_co_i32 s2, s3, s2
	s_cmp_eq_u32 s6, 0
	s_mov_b32 s3, 0
	s_cselect_b32 s10, ttmp9, s2
	s_mov_b32 s11, s3
	v_or_b32_e32 v1, s10, v0
	s_lshl_b64 s[6:7], s[10:11], 3
	s_mov_b32 s9, s3
	s_mov_b32 s2, exec_lo
	s_wait_kmcnt 0x0
	s_add_nc_u64 s[14:15], s[4:5], s[6:7]
	s_load_b128 s[4:7], s[14:15], 0x0
	v_cmpx_eq_u32_e32 0, v1
	s_cbranch_execz .LBB40_2
; %bb.1:
	v_mov_b64_e32 v[2:3], s[8:9]
	v_mov_b32_e32 v1, 0
	global_store_b64 v1, v[2:3], s[12:13]
.LBB40_2:
	s_wait_xcnt 0x0
	s_or_b32 exec_lo, exec_lo, s2
	s_load_b32 s2, s[0:1], 0x18
	v_dual_mov_b32 v3, 0 :: v_dual_bitop2_b32 v2, 1, v0 bitop3:0x40
	v_lshrrev_b32_e32 v6, 1, v0
	s_lshl_b64 s[10:11], s[10:11], 4
	s_delay_alu instid0(SALU_CYCLE_1) | instskip(NEXT) | instid1(VALU_DEP_2)
	s_add_nc_u64 s[10:11], s[12:13], s[10:11]
	v_mov_b32_e32 v7, v3
	s_wait_kmcnt 0x0
	s_sub_nc_u64 s[14:15], s[4:5], s[2:3]
	s_sub_nc_u64 s[6:7], s[6:7], s[2:3]
	s_delay_alu instid0(VALU_DEP_1) | instskip(SKIP_3) | instid1(SALU_CYCLE_1)
	v_add_nc_u64_e32 v[0:1], s[14:15], v[6:7]
	s_sub_nc_u64 s[16:17], s[6:7], s[14:15]
	s_lshl_b64 s[14:15], s[14:15], 2
	s_lshl_b64 s[16:17], s[16:17], 1
	v_mul_u64_e32 v[4:5], s[16:17], v[2:3]
	s_add_nc_u64 s[16:17], s[16:17], s[8:9]
	s_delay_alu instid0(SALU_CYCLE_1)
	s_add_nc_u64 s[14:15], s[16:17], s[14:15]
	s_delay_alu instid0(VALU_DEP_1) | instid1(SALU_CYCLE_1)
	v_add_nc_u64_e32 v[8:9], s[14:15], v[4:5]
	global_store_b64 v2, v[8:9], s[10:11] offset:8 scale_offset
	s_wait_xcnt 0x0
	s_mov_b32 s10, exec_lo
	v_cmpx_gt_i64_e64 s[6:7], v[0:1]
	s_cbranch_execz .LBB40_5
; %bb.3:
	s_clause 0x4
	s_load_b64 s[10:11], s[0:1], 0x30
	s_load_b64 s[12:13], s[0:1], 0x48
	s_load_b32 s18, s[0:1], 0x0
	s_load_b64 s[14:15], s[0:1], 0x20
	s_load_b64 s[16:17], s[0:1], 0x58
	v_lshl_add_u64 v[8:9], s[4:5], 2, v[4:5]
	v_dual_mov_b32 v11, v3 :: v_dual_lshlrev_b32 v10, 1, v6
	v_dual_mov_b32 v7, v3 :: v_dual_lshlrev_b32 v6, 4, v6
	s_delay_alu instid0(VALU_DEP_2)
	v_add_nc_u64_e32 v[8:9], v[8:9], v[10:11]
	v_lshlrev_b64_e32 v[10:11], 4, v[0:1]
	s_wait_kmcnt 0x0
	s_cmp_eq_u32 s18, 0
	s_cselect_b32 vcc_lo, -1, 0
	s_lshl_b64 s[0:1], s[4:5], 5
	s_mov_b64 s[4:5], 0
	v_lshl_add_u64 v[4:5], v[4:5], 3, s[0:1]
	s_lshl_b64 s[0:1], s[2:3], 2
	s_delay_alu instid0(VALU_DEP_1)
	v_add_nc_u64_e32 v[4:5], v[4:5], v[6:7]
	v_sub_nc_u64_e64 v[6:7], v[8:9], s[0:1]
	s_lshl_b64 s[0:1], s[2:3], 5
	v_lshl_or_b32 v8, v2, 2, v10
	v_mov_b32_e32 v9, v11
	v_lshl_or_b32 v10, v2, 3, v10
	v_sub_nc_u64_e64 v[12:13], v[4:5], s[0:1]
	v_lshl_add_u64 v[4:5], v[6:7], 2, s[12:13]
	s_delay_alu instid0(VALU_DEP_4) | instskip(NEXT) | instid1(VALU_DEP_4)
	v_add_nc_u64_e32 v[2:3], s[14:15], v[8:9]
	v_add_nc_u64_e32 v[8:9], s[14:15], v[10:11]
	v_lshl_add_u64 v[10:11], v[0:1], 3, s[10:11]
	s_mov_b32 s1, 0
	v_add_nc_u64_e32 v[4:5], 4, v[4:5]
	v_add_nc_u64_e32 v[6:7], s[16:17], v[12:13]
.LBB40_4:                               ; =>This Inner Loop Header: Depth=1
	s_delay_alu instid0(VALU_DEP_4)
	v_add_nc_u64_e32 v[12:13], s[4:5], v[8:9]
	v_add_nc_u64_e32 v[14:15], s[4:5], v[2:3]
	global_load_b64 v[16:17], v[10:11], off
	v_add_nc_u64_e32 v[0:1], 0x80, v[0:1]
	s_wait_xcnt 0x0
	v_add_nc_u64_e32 v[10:11], 0x400, v[10:11]
	v_add_nc_u64_e32 v[18:19], 4, v[12:13]
	;; [unrolled: 1-line block ×3, first 2 shown]
	v_dual_cndmask_b32 v13, v15, v13 :: v_dual_cndmask_b32 v12, v14, v12
	v_cmp_le_i64_e64 s0, s[6:7], v[0:1]
	s_delay_alu instid0(VALU_DEP_3)
	v_dual_cndmask_b32 v15, v21, v19 :: v_dual_cndmask_b32 v14, v20, v18
	global_load_b32 v18, v[12:13], off
	global_load_b32 v19, v[14:15], off
	s_or_b32 s1, s0, s1
	s_wait_loadcnt 0x2
	s_wait_xcnt 0x1
	v_sub_nc_u64_e64 v[12:13], v[16:17], s[2:3]
	v_add_nc_u64_e32 v[16:17], s[4:5], v[6:7]
	s_add_nc_u64 s[4:5], s[4:5], 0x800
	s_delay_alu instid0(VALU_DEP_2) | instskip(SKIP_1) | instid1(VALU_DEP_1)
	v_lshl_add_u64 v[12:13], v[12:13], 1, s[8:9]
	s_wait_xcnt 0x0
	v_add_nc_u64_e32 v[14:15], 1, v[12:13]
	s_wait_loadcnt 0x0
	global_store_b64 v[4:5], v[18:19], off offset:-4
	s_wait_xcnt 0x0
	v_add_nc_u64_e32 v[4:5], 0x400, v[4:5]
	global_store_b128 v[16:17], v[12:15], off
	s_wait_xcnt 0x0
	s_and_not1_b32 exec_lo, exec_lo, s1
	s_cbranch_execnz .LBB40_4
.LBB40_5:
	s_endpgm
	.section	.rodata,"a",@progbits
	.p2align	6, 0x0
	.amdhsa_kernel _ZN9rocsparseL32bsr2csr_block_per_row_2_7_kernelILj256ELj2EillEEv20rocsparse_direction_T3_S2_21rocsparse_index_base_PKT1_PKT2_PKS2_S2_S3_PS4_PS7_PS2_
		.amdhsa_group_segment_fixed_size 0
		.amdhsa_private_segment_fixed_size 0
		.amdhsa_kernarg_size 96
		.amdhsa_user_sgpr_count 2
		.amdhsa_user_sgpr_dispatch_ptr 0
		.amdhsa_user_sgpr_queue_ptr 0
		.amdhsa_user_sgpr_kernarg_segment_ptr 1
		.amdhsa_user_sgpr_dispatch_id 0
		.amdhsa_user_sgpr_kernarg_preload_length 0
		.amdhsa_user_sgpr_kernarg_preload_offset 0
		.amdhsa_user_sgpr_private_segment_size 0
		.amdhsa_wavefront_size32 1
		.amdhsa_uses_dynamic_stack 0
		.amdhsa_enable_private_segment 0
		.amdhsa_system_sgpr_workgroup_id_x 1
		.amdhsa_system_sgpr_workgroup_id_y 0
		.amdhsa_system_sgpr_workgroup_id_z 0
		.amdhsa_system_sgpr_workgroup_info 0
		.amdhsa_system_vgpr_workitem_id 0
		.amdhsa_next_free_vgpr 22
		.amdhsa_next_free_sgpr 19
		.amdhsa_named_barrier_count 0
		.amdhsa_reserve_vcc 1
		.amdhsa_float_round_mode_32 0
		.amdhsa_float_round_mode_16_64 0
		.amdhsa_float_denorm_mode_32 3
		.amdhsa_float_denorm_mode_16_64 3
		.amdhsa_fp16_overflow 0
		.amdhsa_memory_ordered 1
		.amdhsa_forward_progress 1
		.amdhsa_inst_pref_size 6
		.amdhsa_round_robin_scheduling 0
		.amdhsa_exception_fp_ieee_invalid_op 0
		.amdhsa_exception_fp_denorm_src 0
		.amdhsa_exception_fp_ieee_div_zero 0
		.amdhsa_exception_fp_ieee_overflow 0
		.amdhsa_exception_fp_ieee_underflow 0
		.amdhsa_exception_fp_ieee_inexact 0
		.amdhsa_exception_int_div_zero 0
	.end_amdhsa_kernel
	.section	.text._ZN9rocsparseL32bsr2csr_block_per_row_2_7_kernelILj256ELj2EillEEv20rocsparse_direction_T3_S2_21rocsparse_index_base_PKT1_PKT2_PKS2_S2_S3_PS4_PS7_PS2_,"axG",@progbits,_ZN9rocsparseL32bsr2csr_block_per_row_2_7_kernelILj256ELj2EillEEv20rocsparse_direction_T3_S2_21rocsparse_index_base_PKT1_PKT2_PKS2_S2_S3_PS4_PS7_PS2_,comdat
.Lfunc_end40:
	.size	_ZN9rocsparseL32bsr2csr_block_per_row_2_7_kernelILj256ELj2EillEEv20rocsparse_direction_T3_S2_21rocsparse_index_base_PKT1_PKT2_PKS2_S2_S3_PS4_PS7_PS2_, .Lfunc_end40-_ZN9rocsparseL32bsr2csr_block_per_row_2_7_kernelILj256ELj2EillEEv20rocsparse_direction_T3_S2_21rocsparse_index_base_PKT1_PKT2_PKS2_S2_S3_PS4_PS7_PS2_
                                        ; -- End function
	.set _ZN9rocsparseL32bsr2csr_block_per_row_2_7_kernelILj256ELj2EillEEv20rocsparse_direction_T3_S2_21rocsparse_index_base_PKT1_PKT2_PKS2_S2_S3_PS4_PS7_PS2_.num_vgpr, 22
	.set _ZN9rocsparseL32bsr2csr_block_per_row_2_7_kernelILj256ELj2EillEEv20rocsparse_direction_T3_S2_21rocsparse_index_base_PKT1_PKT2_PKS2_S2_S3_PS4_PS7_PS2_.num_agpr, 0
	.set _ZN9rocsparseL32bsr2csr_block_per_row_2_7_kernelILj256ELj2EillEEv20rocsparse_direction_T3_S2_21rocsparse_index_base_PKT1_PKT2_PKS2_S2_S3_PS4_PS7_PS2_.numbered_sgpr, 19
	.set _ZN9rocsparseL32bsr2csr_block_per_row_2_7_kernelILj256ELj2EillEEv20rocsparse_direction_T3_S2_21rocsparse_index_base_PKT1_PKT2_PKS2_S2_S3_PS4_PS7_PS2_.num_named_barrier, 0
	.set _ZN9rocsparseL32bsr2csr_block_per_row_2_7_kernelILj256ELj2EillEEv20rocsparse_direction_T3_S2_21rocsparse_index_base_PKT1_PKT2_PKS2_S2_S3_PS4_PS7_PS2_.private_seg_size, 0
	.set _ZN9rocsparseL32bsr2csr_block_per_row_2_7_kernelILj256ELj2EillEEv20rocsparse_direction_T3_S2_21rocsparse_index_base_PKT1_PKT2_PKS2_S2_S3_PS4_PS7_PS2_.uses_vcc, 1
	.set _ZN9rocsparseL32bsr2csr_block_per_row_2_7_kernelILj256ELj2EillEEv20rocsparse_direction_T3_S2_21rocsparse_index_base_PKT1_PKT2_PKS2_S2_S3_PS4_PS7_PS2_.uses_flat_scratch, 0
	.set _ZN9rocsparseL32bsr2csr_block_per_row_2_7_kernelILj256ELj2EillEEv20rocsparse_direction_T3_S2_21rocsparse_index_base_PKT1_PKT2_PKS2_S2_S3_PS4_PS7_PS2_.has_dyn_sized_stack, 0
	.set _ZN9rocsparseL32bsr2csr_block_per_row_2_7_kernelILj256ELj2EillEEv20rocsparse_direction_T3_S2_21rocsparse_index_base_PKT1_PKT2_PKS2_S2_S3_PS4_PS7_PS2_.has_recursion, 0
	.set _ZN9rocsparseL32bsr2csr_block_per_row_2_7_kernelILj256ELj2EillEEv20rocsparse_direction_T3_S2_21rocsparse_index_base_PKT1_PKT2_PKS2_S2_S3_PS4_PS7_PS2_.has_indirect_call, 0
	.section	.AMDGPU.csdata,"",@progbits
; Kernel info:
; codeLenInByte = 680
; TotalNumSgprs: 21
; NumVgprs: 22
; ScratchSize: 0
; MemoryBound: 0
; FloatMode: 240
; IeeeMode: 1
; LDSByteSize: 0 bytes/workgroup (compile time only)
; SGPRBlocks: 0
; VGPRBlocks: 1
; NumSGPRsForWavesPerEU: 21
; NumVGPRsForWavesPerEU: 22
; NamedBarCnt: 0
; Occupancy: 16
; WaveLimiterHint : 1
; COMPUTE_PGM_RSRC2:SCRATCH_EN: 0
; COMPUTE_PGM_RSRC2:USER_SGPR: 2
; COMPUTE_PGM_RSRC2:TRAP_HANDLER: 0
; COMPUTE_PGM_RSRC2:TGID_X_EN: 1
; COMPUTE_PGM_RSRC2:TGID_Y_EN: 0
; COMPUTE_PGM_RSRC2:TGID_Z_EN: 0
; COMPUTE_PGM_RSRC2:TIDIG_COMP_CNT: 0
	.section	.text._ZN9rocsparseL32bsr2csr_block_per_row_2_7_kernelILj256ELj3EillEEv20rocsparse_direction_T3_S2_21rocsparse_index_base_PKT1_PKT2_PKS2_S2_S3_PS4_PS7_PS2_,"axG",@progbits,_ZN9rocsparseL32bsr2csr_block_per_row_2_7_kernelILj256ELj3EillEEv20rocsparse_direction_T3_S2_21rocsparse_index_base_PKT1_PKT2_PKS2_S2_S3_PS4_PS7_PS2_,comdat
	.globl	_ZN9rocsparseL32bsr2csr_block_per_row_2_7_kernelILj256ELj3EillEEv20rocsparse_direction_T3_S2_21rocsparse_index_base_PKT1_PKT2_PKS2_S2_S3_PS4_PS7_PS2_ ; -- Begin function _ZN9rocsparseL32bsr2csr_block_per_row_2_7_kernelILj256ELj3EillEEv20rocsparse_direction_T3_S2_21rocsparse_index_base_PKT1_PKT2_PKS2_S2_S3_PS4_PS7_PS2_
	.p2align	8
	.type	_ZN9rocsparseL32bsr2csr_block_per_row_2_7_kernelILj256ELj3EillEEv20rocsparse_direction_T3_S2_21rocsparse_index_base_PKT1_PKT2_PKS2_S2_S3_PS4_PS7_PS2_,@function
_ZN9rocsparseL32bsr2csr_block_per_row_2_7_kernelILj256ELj3EillEEv20rocsparse_direction_T3_S2_21rocsparse_index_base_PKT1_PKT2_PKS2_S2_S3_PS4_PS7_PS2_: ; @_ZN9rocsparseL32bsr2csr_block_per_row_2_7_kernelILj256ELj3EillEEv20rocsparse_direction_T3_S2_21rocsparse_index_base_PKT1_PKT2_PKS2_S2_S3_PS4_PS7_PS2_
; %bb.0:
	s_clause 0x1
	s_load_b32 s2, s[0:1], 0x40
	s_load_b64 s[10:11], s[0:1], 0x50
	s_bfe_u32 s3, ttmp6, 0x4000c
	s_and_b32 s4, ttmp6, 15
	s_add_co_i32 s3, s3, 1
	s_getreg_b32 s5, hwreg(HW_REG_IB_STS2, 6, 4)
	s_mul_i32 s3, ttmp9, s3
	s_mov_b32 s13, 0
	s_add_co_i32 s4, s4, s3
	s_cmp_eq_u32 s5, 0
	s_mov_b32 s3, exec_lo
	s_cselect_b32 s12, ttmp9, s4
	s_delay_alu instid0(SALU_CYCLE_1) | instskip(NEXT) | instid1(VALU_DEP_1)
	v_or_b32_e32 v1, s12, v0
	v_cmpx_eq_u32_e32 0, v1
	s_cbranch_execz .LBB41_2
; %bb.1:
	s_wait_kmcnt 0x0
	v_dual_mov_b32 v2, s2 :: v_dual_mov_b32 v3, 0
	global_store_b64 v3, v[2:3], s[10:11]
.LBB41_2:
	s_wait_xcnt 0x0
	s_or_b32 exec_lo, exec_lo, s3
	v_and_b32_e32 v2, 3, v0
	s_mov_b32 s3, exec_lo
	s_delay_alu instid0(VALU_DEP_1)
	v_cmpx_ne_u32_e32 3, v2
	s_cbranch_execz .LBB41_6
; %bb.3:
	s_clause 0x1
	s_load_b64 s[4:5], s[0:1], 0x28
	s_load_b32 s8, s[0:1], 0x18
	s_lshl_b64 s[6:7], s[12:13], 3
	s_mov_b32 s9, 0
	v_dual_mov_b32 v3, 0 :: v_dual_lshrrev_b32 v4, 2, v0
	s_mov_b32 s3, s9
	s_mul_u64 s[12:13], s[12:13], 24
	s_delay_alu instid0(VALU_DEP_1)
	v_mov_b32_e32 v5, v3
	s_wait_kmcnt 0x0
	s_add_nc_u64 s[10:11], s[10:11], s[12:13]
	s_add_nc_u64 s[14:15], s[4:5], s[6:7]
	s_load_b128 s[4:7], s[14:15], 0x0
	s_wait_kmcnt 0x0
	s_sub_nc_u64 s[14:15], s[4:5], s[8:9]
	s_sub_nc_u64 s[6:7], s[6:7], s[8:9]
	v_add_nc_u64_e32 v[0:1], s[14:15], v[4:5]
	s_sub_nc_u64 s[16:17], s[6:7], s[14:15]
	s_mul_u64 s[14:15], s[14:15], 9
	s_mul_u64 s[16:17], s[16:17], 3
	s_delay_alu instid0(SALU_CYCLE_1) | instskip(SKIP_1) | instid1(VALU_DEP_2)
	v_mul_u64_e32 v[6:7], s[16:17], v[2:3]
	s_add_nc_u64 s[16:17], s[16:17], s[2:3]
	v_cmp_gt_i64_e32 vcc_lo, s[6:7], v[0:1]
	s_add_nc_u64 s[14:15], s[16:17], s[14:15]
	s_delay_alu instid0(VALU_DEP_2) | instid1(SALU_CYCLE_1)
	v_add_nc_u64_e32 v[8:9], s[14:15], v[6:7]
	global_store_b64 v2, v[8:9], s[10:11] offset:8 scale_offset
	s_wait_xcnt 0x0
	s_and_b32 exec_lo, exec_lo, vcc_lo
	s_cbranch_execz .LBB41_6
; %bb.4:
	v_mad_nc_u64_u32 v[6:7], s4, 9, v[6:7]
	s_delay_alu instid0(VALU_DEP_1)
	v_mad_u32 v7, s5, 9, v7
	s_clause 0x4
	s_load_b64 s[4:5], s[0:1], 0x20
	s_load_b64 s[10:11], s[0:1], 0x48
	;; [unrolled: 1-line block ×4, first 2 shown]
	s_load_b32 s16, s[0:1], 0x0
	s_wait_xcnt 0x0
	s_mul_u64 s[0:1], s[8:9], 9
	s_delay_alu instid0(VALU_DEP_1) | instskip(SKIP_3) | instid1(VALU_DEP_2)
	v_mad_nc_u64_u32 v[6:7], v4, 3, v[6:7]
	s_wait_kmcnt 0x0
	v_mad_nc_u64_u32 v[4:5], v0, 36, s[4:5]
	s_cmp_eq_u32 s16, 0
	v_sub_nc_u64_e64 v[8:9], v[6:7], s[0:1]
	v_dual_mov_b32 v7, v3 :: v_dual_lshlrev_b32 v6, 2, v2
	v_mul_hi_u32_u24_e32 v3, 12, v2
	v_mul_u32_u24_e32 v2, 12, v2
	s_cselect_b32 vcc_lo, -1, 0
	s_mov_b32 s1, s9
	s_delay_alu instid0(VALU_DEP_4) | instskip(SKIP_3) | instid1(VALU_DEP_4)
	v_lshl_add_u64 v[10:11], v[8:9], 2, s[10:11]
	v_lshl_add_u64 v[12:13], v[8:9], 3, s[12:13]
	v_mad_u32 v5, v1, 36, v5
	v_lshl_add_u64 v[8:9], v[0:1], 3, s[14:15]
	v_add_nc_u64_e32 v[10:11], 4, v[10:11]
	s_delay_alu instid0(VALU_DEP_4)
	v_add_nc_u64_e32 v[12:13], 8, v[12:13]
.LBB41_5:                               ; =>This Inner Loop Header: Depth=1
	global_load_b64 v[14:15], v[8:9], off
	v_add_nc_u64_e32 v[16:17], v[4:5], v[6:7]
	v_add_nc_u64_e32 v[18:19], v[4:5], v[2:3]
	;; [unrolled: 1-line block ×3, first 2 shown]
	s_wait_xcnt 0x0
	v_add_nc_u64_e32 v[8:9], 0x200, v[8:9]
	v_add_nc_u64_e32 v[4:5], 0x900, v[4:5]
	;; [unrolled: 1-line block ×4, first 2 shown]
	v_dual_cndmask_b32 v21, v17, v19 :: v_dual_cndmask_b32 v20, v16, v18
	v_add_nc_u64_e32 v[26:27], 8, v[18:19]
	v_add_nc_u64_e32 v[16:17], 24, v[16:17]
	v_cmp_le_i64_e64 s0, s[6:7], v[0:1]
	v_dual_cndmask_b32 v23, v25, v23 :: v_dual_cndmask_b32 v22, v24, v22
	global_load_b32 v18, v[20:21], off
	v_dual_cndmask_b32 v17, v17, v27 :: v_dual_cndmask_b32 v16, v16, v26
	global_load_b32 v19, v[22:23], off
	global_load_b32 v20, v[16:17], off
	s_or_b32 s1, s0, s1
	s_wait_loadcnt 0x3
	s_wait_xcnt 0x0
	v_sub_nc_u64_e64 v[16:17], v[14:15], s[8:9]
	s_delay_alu instid0(VALU_DEP_1) | instskip(NEXT) | instid1(VALU_DEP_1)
	v_mad_nc_u64_u32 v[14:15], v16, 3, s[2:3]
	v_mad_u32 v15, v17, 3, v15
	s_wait_loadcnt 0x0
	global_store_b96 v[10:11], v[18:20], off offset:-4
	s_wait_xcnt 0x0
	v_add_nc_u64_e32 v[10:11], 0x300, v[10:11]
	v_add_nc_u64_e32 v[16:17], 1, v[14:15]
	;; [unrolled: 1-line block ×3, first 2 shown]
	s_clause 0x1
	global_store_b128 v[12:13], v[14:17], off offset:-8
	global_store_b64 v[12:13], v[22:23], off offset:8
	s_wait_xcnt 0x0
	v_add_nc_u64_e32 v[12:13], 0x600, v[12:13]
	s_and_not1_b32 exec_lo, exec_lo, s1
	s_cbranch_execnz .LBB41_5
.LBB41_6:
	s_endpgm
	.section	.rodata,"a",@progbits
	.p2align	6, 0x0
	.amdhsa_kernel _ZN9rocsparseL32bsr2csr_block_per_row_2_7_kernelILj256ELj3EillEEv20rocsparse_direction_T3_S2_21rocsparse_index_base_PKT1_PKT2_PKS2_S2_S3_PS4_PS7_PS2_
		.amdhsa_group_segment_fixed_size 0
		.amdhsa_private_segment_fixed_size 0
		.amdhsa_kernarg_size 96
		.amdhsa_user_sgpr_count 2
		.amdhsa_user_sgpr_dispatch_ptr 0
		.amdhsa_user_sgpr_queue_ptr 0
		.amdhsa_user_sgpr_kernarg_segment_ptr 1
		.amdhsa_user_sgpr_dispatch_id 0
		.amdhsa_user_sgpr_kernarg_preload_length 0
		.amdhsa_user_sgpr_kernarg_preload_offset 0
		.amdhsa_user_sgpr_private_segment_size 0
		.amdhsa_wavefront_size32 1
		.amdhsa_uses_dynamic_stack 0
		.amdhsa_enable_private_segment 0
		.amdhsa_system_sgpr_workgroup_id_x 1
		.amdhsa_system_sgpr_workgroup_id_y 0
		.amdhsa_system_sgpr_workgroup_id_z 0
		.amdhsa_system_sgpr_workgroup_info 0
		.amdhsa_system_vgpr_workitem_id 0
		.amdhsa_next_free_vgpr 28
		.amdhsa_next_free_sgpr 18
		.amdhsa_named_barrier_count 0
		.amdhsa_reserve_vcc 1
		.amdhsa_float_round_mode_32 0
		.amdhsa_float_round_mode_16_64 0
		.amdhsa_float_denorm_mode_32 3
		.amdhsa_float_denorm_mode_16_64 3
		.amdhsa_fp16_overflow 0
		.amdhsa_memory_ordered 1
		.amdhsa_forward_progress 1
		.amdhsa_inst_pref_size 6
		.amdhsa_round_robin_scheduling 0
		.amdhsa_exception_fp_ieee_invalid_op 0
		.amdhsa_exception_fp_denorm_src 0
		.amdhsa_exception_fp_ieee_div_zero 0
		.amdhsa_exception_fp_ieee_overflow 0
		.amdhsa_exception_fp_ieee_underflow 0
		.amdhsa_exception_fp_ieee_inexact 0
		.amdhsa_exception_int_div_zero 0
	.end_amdhsa_kernel
	.section	.text._ZN9rocsparseL32bsr2csr_block_per_row_2_7_kernelILj256ELj3EillEEv20rocsparse_direction_T3_S2_21rocsparse_index_base_PKT1_PKT2_PKS2_S2_S3_PS4_PS7_PS2_,"axG",@progbits,_ZN9rocsparseL32bsr2csr_block_per_row_2_7_kernelILj256ELj3EillEEv20rocsparse_direction_T3_S2_21rocsparse_index_base_PKT1_PKT2_PKS2_S2_S3_PS4_PS7_PS2_,comdat
.Lfunc_end41:
	.size	_ZN9rocsparseL32bsr2csr_block_per_row_2_7_kernelILj256ELj3EillEEv20rocsparse_direction_T3_S2_21rocsparse_index_base_PKT1_PKT2_PKS2_S2_S3_PS4_PS7_PS2_, .Lfunc_end41-_ZN9rocsparseL32bsr2csr_block_per_row_2_7_kernelILj256ELj3EillEEv20rocsparse_direction_T3_S2_21rocsparse_index_base_PKT1_PKT2_PKS2_S2_S3_PS4_PS7_PS2_
                                        ; -- End function
	.set _ZN9rocsparseL32bsr2csr_block_per_row_2_7_kernelILj256ELj3EillEEv20rocsparse_direction_T3_S2_21rocsparse_index_base_PKT1_PKT2_PKS2_S2_S3_PS4_PS7_PS2_.num_vgpr, 28
	.set _ZN9rocsparseL32bsr2csr_block_per_row_2_7_kernelILj256ELj3EillEEv20rocsparse_direction_T3_S2_21rocsparse_index_base_PKT1_PKT2_PKS2_S2_S3_PS4_PS7_PS2_.num_agpr, 0
	.set _ZN9rocsparseL32bsr2csr_block_per_row_2_7_kernelILj256ELj3EillEEv20rocsparse_direction_T3_S2_21rocsparse_index_base_PKT1_PKT2_PKS2_S2_S3_PS4_PS7_PS2_.numbered_sgpr, 18
	.set _ZN9rocsparseL32bsr2csr_block_per_row_2_7_kernelILj256ELj3EillEEv20rocsparse_direction_T3_S2_21rocsparse_index_base_PKT1_PKT2_PKS2_S2_S3_PS4_PS7_PS2_.num_named_barrier, 0
	.set _ZN9rocsparseL32bsr2csr_block_per_row_2_7_kernelILj256ELj3EillEEv20rocsparse_direction_T3_S2_21rocsparse_index_base_PKT1_PKT2_PKS2_S2_S3_PS4_PS7_PS2_.private_seg_size, 0
	.set _ZN9rocsparseL32bsr2csr_block_per_row_2_7_kernelILj256ELj3EillEEv20rocsparse_direction_T3_S2_21rocsparse_index_base_PKT1_PKT2_PKS2_S2_S3_PS4_PS7_PS2_.uses_vcc, 1
	.set _ZN9rocsparseL32bsr2csr_block_per_row_2_7_kernelILj256ELj3EillEEv20rocsparse_direction_T3_S2_21rocsparse_index_base_PKT1_PKT2_PKS2_S2_S3_PS4_PS7_PS2_.uses_flat_scratch, 0
	.set _ZN9rocsparseL32bsr2csr_block_per_row_2_7_kernelILj256ELj3EillEEv20rocsparse_direction_T3_S2_21rocsparse_index_base_PKT1_PKT2_PKS2_S2_S3_PS4_PS7_PS2_.has_dyn_sized_stack, 0
	.set _ZN9rocsparseL32bsr2csr_block_per_row_2_7_kernelILj256ELj3EillEEv20rocsparse_direction_T3_S2_21rocsparse_index_base_PKT1_PKT2_PKS2_S2_S3_PS4_PS7_PS2_.has_recursion, 0
	.set _ZN9rocsparseL32bsr2csr_block_per_row_2_7_kernelILj256ELj3EillEEv20rocsparse_direction_T3_S2_21rocsparse_index_base_PKT1_PKT2_PKS2_S2_S3_PS4_PS7_PS2_.has_indirect_call, 0
	.section	.AMDGPU.csdata,"",@progbits
; Kernel info:
; codeLenInByte = 720
; TotalNumSgprs: 20
; NumVgprs: 28
; ScratchSize: 0
; MemoryBound: 0
; FloatMode: 240
; IeeeMode: 1
; LDSByteSize: 0 bytes/workgroup (compile time only)
; SGPRBlocks: 0
; VGPRBlocks: 1
; NumSGPRsForWavesPerEU: 20
; NumVGPRsForWavesPerEU: 28
; NamedBarCnt: 0
; Occupancy: 16
; WaveLimiterHint : 0
; COMPUTE_PGM_RSRC2:SCRATCH_EN: 0
; COMPUTE_PGM_RSRC2:USER_SGPR: 2
; COMPUTE_PGM_RSRC2:TRAP_HANDLER: 0
; COMPUTE_PGM_RSRC2:TGID_X_EN: 1
; COMPUTE_PGM_RSRC2:TGID_Y_EN: 0
; COMPUTE_PGM_RSRC2:TGID_Z_EN: 0
; COMPUTE_PGM_RSRC2:TIDIG_COMP_CNT: 0
	.section	.text._ZN9rocsparseL32bsr2csr_block_per_row_2_7_kernelILj256ELj4EillEEv20rocsparse_direction_T3_S2_21rocsparse_index_base_PKT1_PKT2_PKS2_S2_S3_PS4_PS7_PS2_,"axG",@progbits,_ZN9rocsparseL32bsr2csr_block_per_row_2_7_kernelILj256ELj4EillEEv20rocsparse_direction_T3_S2_21rocsparse_index_base_PKT1_PKT2_PKS2_S2_S3_PS4_PS7_PS2_,comdat
	.globl	_ZN9rocsparseL32bsr2csr_block_per_row_2_7_kernelILj256ELj4EillEEv20rocsparse_direction_T3_S2_21rocsparse_index_base_PKT1_PKT2_PKS2_S2_S3_PS4_PS7_PS2_ ; -- Begin function _ZN9rocsparseL32bsr2csr_block_per_row_2_7_kernelILj256ELj4EillEEv20rocsparse_direction_T3_S2_21rocsparse_index_base_PKT1_PKT2_PKS2_S2_S3_PS4_PS7_PS2_
	.p2align	8
	.type	_ZN9rocsparseL32bsr2csr_block_per_row_2_7_kernelILj256ELj4EillEEv20rocsparse_direction_T3_S2_21rocsparse_index_base_PKT1_PKT2_PKS2_S2_S3_PS4_PS7_PS2_,@function
_ZN9rocsparseL32bsr2csr_block_per_row_2_7_kernelILj256ELj4EillEEv20rocsparse_direction_T3_S2_21rocsparse_index_base_PKT1_PKT2_PKS2_S2_S3_PS4_PS7_PS2_: ; @_ZN9rocsparseL32bsr2csr_block_per_row_2_7_kernelILj256ELj4EillEEv20rocsparse_direction_T3_S2_21rocsparse_index_base_PKT1_PKT2_PKS2_S2_S3_PS4_PS7_PS2_
; %bb.0:
	s_load_b64 s[4:5], s[0:1], 0x28
	s_bfe_u32 s2, ttmp6, 0x4000c
	s_and_b32 s3, ttmp6, 15
	s_add_co_i32 s2, s2, 1
	s_getreg_b32 s6, hwreg(HW_REG_IB_STS2, 6, 4)
	s_mul_i32 s2, ttmp9, s2
	s_clause 0x1
	s_load_b32 s8, s[0:1], 0x40
	s_load_b64 s[12:13], s[0:1], 0x50
	s_add_co_i32 s2, s3, s2
	s_cmp_eq_u32 s6, 0
	s_mov_b32 s3, 0
	s_cselect_b32 s10, ttmp9, s2
	s_mov_b32 s11, s3
	v_or_b32_e32 v1, s10, v0
	s_lshl_b64 s[6:7], s[10:11], 3
	s_mov_b32 s9, s3
	s_mov_b32 s2, exec_lo
	s_wait_kmcnt 0x0
	s_add_nc_u64 s[14:15], s[4:5], s[6:7]
	s_load_b128 s[4:7], s[14:15], 0x0
	v_cmpx_eq_u32_e32 0, v1
	s_cbranch_execz .LBB42_2
; %bb.1:
	v_mov_b64_e32 v[2:3], s[8:9]
	v_mov_b32_e32 v1, 0
	global_store_b64 v1, v[2:3], s[12:13]
.LBB42_2:
	s_wait_xcnt 0x0
	s_or_b32 exec_lo, exec_lo, s2
	s_load_b32 s2, s[0:1], 0x18
	v_dual_mov_b32 v3, 0 :: v_dual_bitop2_b32 v2, 3, v0 bitop3:0x40
	v_lshrrev_b32_e32 v6, 2, v0
	s_lshl_b64 s[10:11], s[10:11], 5
	s_delay_alu instid0(SALU_CYCLE_1) | instskip(NEXT) | instid1(VALU_DEP_2)
	s_add_nc_u64 s[10:11], s[12:13], s[10:11]
	v_mov_b32_e32 v7, v3
	s_wait_kmcnt 0x0
	s_sub_nc_u64 s[14:15], s[4:5], s[2:3]
	s_sub_nc_u64 s[6:7], s[6:7], s[2:3]
	s_delay_alu instid0(VALU_DEP_1) | instskip(SKIP_3) | instid1(SALU_CYCLE_1)
	v_add_nc_u64_e32 v[0:1], s[14:15], v[6:7]
	s_sub_nc_u64 s[16:17], s[6:7], s[14:15]
	s_lshl_b64 s[14:15], s[14:15], 4
	s_lshl_b64 s[16:17], s[16:17], 2
	v_mul_u64_e32 v[4:5], s[16:17], v[2:3]
	s_add_nc_u64 s[16:17], s[16:17], s[8:9]
	s_delay_alu instid0(SALU_CYCLE_1)
	s_add_nc_u64 s[14:15], s[16:17], s[14:15]
	s_delay_alu instid0(VALU_DEP_1) | instid1(SALU_CYCLE_1)
	v_add_nc_u64_e32 v[8:9], s[14:15], v[4:5]
	global_store_b64 v2, v[8:9], s[10:11] offset:8 scale_offset
	s_wait_xcnt 0x0
	s_mov_b32 s10, exec_lo
	v_cmpx_gt_i64_e64 s[6:7], v[0:1]
	s_cbranch_execz .LBB42_5
; %bb.3:
	s_clause 0x3
	s_load_b64 s[10:11], s[0:1], 0x30
	s_load_b64 s[12:13], s[0:1], 0x48
	s_load_b32 s16, s[0:1], 0x0
	s_load_b64 s[14:15], s[0:1], 0x58
	v_lshl_add_u64 v[4:5], s[4:5], 4, v[4:5]
	v_dual_mov_b32 v7, v3 :: v_dual_lshlrev_b32 v6, 2, v6
	s_wait_xcnt 0x0
	s_load_b64 s[0:1], s[0:1], 0x20
	v_mul_hi_u32_u24_e32 v3, 12, v2
	s_delay_alu instid0(VALU_DEP_2) | instskip(SKIP_1) | instid1(VALU_DEP_1)
	v_add_nc_u64_e32 v[4:5], v[4:5], v[6:7]
	v_lshlrev_b64_e32 v[6:7], 6, v[0:1]
	v_lshl_or_b32 v6, v2, 2, v6
	v_mul_u32_u24_e32 v2, 12, v2
	s_wait_kmcnt 0x0
	s_cmp_eq_u32 s16, 0
	s_cselect_b32 vcc_lo, -1, 0
	s_lshl_b64 s[4:5], s[2:3], 4
	s_delay_alu instid0(SALU_CYCLE_1) | instskip(SKIP_2) | instid1(VALU_DEP_2)
	v_sub_nc_u64_e64 v[10:11], v[4:5], s[4:5]
	v_add_nc_u64_e32 v[4:5], s[0:1], v[6:7]
	s_mov_b32 s1, 0
	v_lshl_add_u64 v[8:9], v[10:11], 3, s[14:15]
	v_lshl_add_u64 v[10:11], v[10:11], 2, s[12:13]
	s_delay_alu instid0(VALU_DEP_2)
	v_add_nc_u64_e32 v[6:7], 16, v[8:9]
	v_lshl_add_u64 v[8:9], v[0:1], 3, s[10:11]
.LBB42_4:                               ; =>This Inner Loop Header: Depth=1
	v_add_nc_u64_e32 v[12:13], v[4:5], v[2:3]
	global_load_b64 v[16:17], v[8:9], off
	v_add_nc_u64_e32 v[14:15], 16, v[4:5]
	v_add_nc_u64_e32 v[18:19], 32, v[4:5]
	;; [unrolled: 1-line block ×4, first 2 shown]
	s_wait_xcnt 0x0
	v_add_nc_u64_e32 v[8:9], 0x200, v[8:9]
	v_add_nc_u64_e32 v[24:25], 4, v[12:13]
	v_add_nc_u64_e32 v[26:27], 8, v[12:13]
	v_dual_cndmask_b32 v23, v5, v13 :: v_dual_cndmask_b32 v22, v4, v12
	v_add_nc_u64_e32 v[28:29], 12, v[12:13]
	v_cmp_le_i64_e64 s0, s[6:7], v[0:1]
	v_add_nc_u64_e32 v[4:5], 0x1000, v[4:5]
	global_load_b32 v12, v[22:23], off
	s_wait_xcnt 0x0
	v_dual_cndmask_b32 v23, v15, v25 :: v_dual_cndmask_b32 v22, v14, v24
	v_dual_cndmask_b32 v19, v19, v27 :: v_dual_cndmask_b32 v18, v18, v26
	;; [unrolled: 1-line block ×3, first 2 shown]
	global_load_b32 v13, v[22:23], off
	global_load_b32 v14, v[18:19], off
	;; [unrolled: 1-line block ×3, first 2 shown]
	s_or_b32 s1, s0, s1
	s_wait_loadcnt 0x4
	v_sub_nc_u64_e64 v[16:17], v[16:17], s[2:3]
	s_delay_alu instid0(VALU_DEP_1) | instskip(SKIP_1) | instid1(VALU_DEP_1)
	v_lshl_add_u64 v[16:17], v[16:17], 2, s[8:9]
	s_wait_xcnt 0x1
	v_add_nc_u64_e32 v[18:19], 1, v[16:17]
	s_wait_xcnt 0x0
	v_add_nc_u64_e32 v[20:21], 2, v[16:17]
	v_add_nc_u64_e32 v[22:23], 3, v[16:17]
	s_clause 0x1
	global_store_b128 v[6:7], v[16:19], off offset:-16
	global_store_b128 v[6:7], v[20:23], off
	s_wait_loadcnt 0x0
	global_store_b128 v[10:11], v[12:15], off
	s_wait_xcnt 0x0
	v_add_nc_u64_e32 v[10:11], 0x400, v[10:11]
	v_add_nc_u64_e32 v[6:7], 0x800, v[6:7]
	s_and_not1_b32 exec_lo, exec_lo, s1
	s_cbranch_execnz .LBB42_4
.LBB42_5:
	s_endpgm
	.section	.rodata,"a",@progbits
	.p2align	6, 0x0
	.amdhsa_kernel _ZN9rocsparseL32bsr2csr_block_per_row_2_7_kernelILj256ELj4EillEEv20rocsparse_direction_T3_S2_21rocsparse_index_base_PKT1_PKT2_PKS2_S2_S3_PS4_PS7_PS2_
		.amdhsa_group_segment_fixed_size 0
		.amdhsa_private_segment_fixed_size 0
		.amdhsa_kernarg_size 96
		.amdhsa_user_sgpr_count 2
		.amdhsa_user_sgpr_dispatch_ptr 0
		.amdhsa_user_sgpr_queue_ptr 0
		.amdhsa_user_sgpr_kernarg_segment_ptr 1
		.amdhsa_user_sgpr_dispatch_id 0
		.amdhsa_user_sgpr_kernarg_preload_length 0
		.amdhsa_user_sgpr_kernarg_preload_offset 0
		.amdhsa_user_sgpr_private_segment_size 0
		.amdhsa_wavefront_size32 1
		.amdhsa_uses_dynamic_stack 0
		.amdhsa_enable_private_segment 0
		.amdhsa_system_sgpr_workgroup_id_x 1
		.amdhsa_system_sgpr_workgroup_id_y 0
		.amdhsa_system_sgpr_workgroup_id_z 0
		.amdhsa_system_sgpr_workgroup_info 0
		.amdhsa_system_vgpr_workitem_id 0
		.amdhsa_next_free_vgpr 30
		.amdhsa_next_free_sgpr 18
		.amdhsa_named_barrier_count 0
		.amdhsa_reserve_vcc 1
		.amdhsa_float_round_mode_32 0
		.amdhsa_float_round_mode_16_64 0
		.amdhsa_float_denorm_mode_32 3
		.amdhsa_float_denorm_mode_16_64 3
		.amdhsa_fp16_overflow 0
		.amdhsa_memory_ordered 1
		.amdhsa_forward_progress 1
		.amdhsa_inst_pref_size 6
		.amdhsa_round_robin_scheduling 0
		.amdhsa_exception_fp_ieee_invalid_op 0
		.amdhsa_exception_fp_denorm_src 0
		.amdhsa_exception_fp_ieee_div_zero 0
		.amdhsa_exception_fp_ieee_overflow 0
		.amdhsa_exception_fp_ieee_underflow 0
		.amdhsa_exception_fp_ieee_inexact 0
		.amdhsa_exception_int_div_zero 0
	.end_amdhsa_kernel
	.section	.text._ZN9rocsparseL32bsr2csr_block_per_row_2_7_kernelILj256ELj4EillEEv20rocsparse_direction_T3_S2_21rocsparse_index_base_PKT1_PKT2_PKS2_S2_S3_PS4_PS7_PS2_,"axG",@progbits,_ZN9rocsparseL32bsr2csr_block_per_row_2_7_kernelILj256ELj4EillEEv20rocsparse_direction_T3_S2_21rocsparse_index_base_PKT1_PKT2_PKS2_S2_S3_PS4_PS7_PS2_,comdat
.Lfunc_end42:
	.size	_ZN9rocsparseL32bsr2csr_block_per_row_2_7_kernelILj256ELj4EillEEv20rocsparse_direction_T3_S2_21rocsparse_index_base_PKT1_PKT2_PKS2_S2_S3_PS4_PS7_PS2_, .Lfunc_end42-_ZN9rocsparseL32bsr2csr_block_per_row_2_7_kernelILj256ELj4EillEEv20rocsparse_direction_T3_S2_21rocsparse_index_base_PKT1_PKT2_PKS2_S2_S3_PS4_PS7_PS2_
                                        ; -- End function
	.set _ZN9rocsparseL32bsr2csr_block_per_row_2_7_kernelILj256ELj4EillEEv20rocsparse_direction_T3_S2_21rocsparse_index_base_PKT1_PKT2_PKS2_S2_S3_PS4_PS7_PS2_.num_vgpr, 30
	.set _ZN9rocsparseL32bsr2csr_block_per_row_2_7_kernelILj256ELj4EillEEv20rocsparse_direction_T3_S2_21rocsparse_index_base_PKT1_PKT2_PKS2_S2_S3_PS4_PS7_PS2_.num_agpr, 0
	.set _ZN9rocsparseL32bsr2csr_block_per_row_2_7_kernelILj256ELj4EillEEv20rocsparse_direction_T3_S2_21rocsparse_index_base_PKT1_PKT2_PKS2_S2_S3_PS4_PS7_PS2_.numbered_sgpr, 18
	.set _ZN9rocsparseL32bsr2csr_block_per_row_2_7_kernelILj256ELj4EillEEv20rocsparse_direction_T3_S2_21rocsparse_index_base_PKT1_PKT2_PKS2_S2_S3_PS4_PS7_PS2_.num_named_barrier, 0
	.set _ZN9rocsparseL32bsr2csr_block_per_row_2_7_kernelILj256ELj4EillEEv20rocsparse_direction_T3_S2_21rocsparse_index_base_PKT1_PKT2_PKS2_S2_S3_PS4_PS7_PS2_.private_seg_size, 0
	.set _ZN9rocsparseL32bsr2csr_block_per_row_2_7_kernelILj256ELj4EillEEv20rocsparse_direction_T3_S2_21rocsparse_index_base_PKT1_PKT2_PKS2_S2_S3_PS4_PS7_PS2_.uses_vcc, 1
	.set _ZN9rocsparseL32bsr2csr_block_per_row_2_7_kernelILj256ELj4EillEEv20rocsparse_direction_T3_S2_21rocsparse_index_base_PKT1_PKT2_PKS2_S2_S3_PS4_PS7_PS2_.uses_flat_scratch, 0
	.set _ZN9rocsparseL32bsr2csr_block_per_row_2_7_kernelILj256ELj4EillEEv20rocsparse_direction_T3_S2_21rocsparse_index_base_PKT1_PKT2_PKS2_S2_S3_PS4_PS7_PS2_.has_dyn_sized_stack, 0
	.set _ZN9rocsparseL32bsr2csr_block_per_row_2_7_kernelILj256ELj4EillEEv20rocsparse_direction_T3_S2_21rocsparse_index_base_PKT1_PKT2_PKS2_S2_S3_PS4_PS7_PS2_.has_recursion, 0
	.set _ZN9rocsparseL32bsr2csr_block_per_row_2_7_kernelILj256ELj4EillEEv20rocsparse_direction_T3_S2_21rocsparse_index_base_PKT1_PKT2_PKS2_S2_S3_PS4_PS7_PS2_.has_indirect_call, 0
	.section	.AMDGPU.csdata,"",@progbits
; Kernel info:
; codeLenInByte = 708
; TotalNumSgprs: 20
; NumVgprs: 30
; ScratchSize: 0
; MemoryBound: 0
; FloatMode: 240
; IeeeMode: 1
; LDSByteSize: 0 bytes/workgroup (compile time only)
; SGPRBlocks: 0
; VGPRBlocks: 1
; NumSGPRsForWavesPerEU: 20
; NumVGPRsForWavesPerEU: 30
; NamedBarCnt: 0
; Occupancy: 16
; WaveLimiterHint : 0
; COMPUTE_PGM_RSRC2:SCRATCH_EN: 0
; COMPUTE_PGM_RSRC2:USER_SGPR: 2
; COMPUTE_PGM_RSRC2:TRAP_HANDLER: 0
; COMPUTE_PGM_RSRC2:TGID_X_EN: 1
; COMPUTE_PGM_RSRC2:TGID_Y_EN: 0
; COMPUTE_PGM_RSRC2:TGID_Z_EN: 0
; COMPUTE_PGM_RSRC2:TIDIG_COMP_CNT: 0
	.section	.text._ZN9rocsparseL32bsr2csr_block_per_row_2_7_kernelILj256ELj5EillEEv20rocsparse_direction_T3_S2_21rocsparse_index_base_PKT1_PKT2_PKS2_S2_S3_PS4_PS7_PS2_,"axG",@progbits,_ZN9rocsparseL32bsr2csr_block_per_row_2_7_kernelILj256ELj5EillEEv20rocsparse_direction_T3_S2_21rocsparse_index_base_PKT1_PKT2_PKS2_S2_S3_PS4_PS7_PS2_,comdat
	.globl	_ZN9rocsparseL32bsr2csr_block_per_row_2_7_kernelILj256ELj5EillEEv20rocsparse_direction_T3_S2_21rocsparse_index_base_PKT1_PKT2_PKS2_S2_S3_PS4_PS7_PS2_ ; -- Begin function _ZN9rocsparseL32bsr2csr_block_per_row_2_7_kernelILj256ELj5EillEEv20rocsparse_direction_T3_S2_21rocsparse_index_base_PKT1_PKT2_PKS2_S2_S3_PS4_PS7_PS2_
	.p2align	8
	.type	_ZN9rocsparseL32bsr2csr_block_per_row_2_7_kernelILj256ELj5EillEEv20rocsparse_direction_T3_S2_21rocsparse_index_base_PKT1_PKT2_PKS2_S2_S3_PS4_PS7_PS2_,@function
_ZN9rocsparseL32bsr2csr_block_per_row_2_7_kernelILj256ELj5EillEEv20rocsparse_direction_T3_S2_21rocsparse_index_base_PKT1_PKT2_PKS2_S2_S3_PS4_PS7_PS2_: ; @_ZN9rocsparseL32bsr2csr_block_per_row_2_7_kernelILj256ELj5EillEEv20rocsparse_direction_T3_S2_21rocsparse_index_base_PKT1_PKT2_PKS2_S2_S3_PS4_PS7_PS2_
; %bb.0:
	s_clause 0x1
	s_load_b32 s2, s[0:1], 0x40
	s_load_b64 s[10:11], s[0:1], 0x50
	s_bfe_u32 s3, ttmp6, 0x4000c
	s_and_b32 s4, ttmp6, 15
	s_add_co_i32 s3, s3, 1
	s_getreg_b32 s5, hwreg(HW_REG_IB_STS2, 6, 4)
	s_mul_i32 s3, ttmp9, s3
	s_mov_b32 s13, 0
	s_add_co_i32 s4, s4, s3
	s_cmp_eq_u32 s5, 0
	s_mov_b32 s3, exec_lo
	s_cselect_b32 s12, ttmp9, s4
	s_delay_alu instid0(SALU_CYCLE_1) | instskip(NEXT) | instid1(VALU_DEP_1)
	v_or_b32_e32 v1, s12, v0
	v_cmpx_eq_u32_e32 0, v1
	s_cbranch_execz .LBB43_2
; %bb.1:
	s_wait_kmcnt 0x0
	v_dual_mov_b32 v2, s2 :: v_dual_mov_b32 v3, 0
	global_store_b64 v3, v[2:3], s[10:11]
.LBB43_2:
	s_wait_xcnt 0x0
	s_or_b32 exec_lo, exec_lo, s3
	v_and_b32_e32 v12, 7, v0
	s_mov_b32 s3, exec_lo
	s_delay_alu instid0(VALU_DEP_1)
	v_cmpx_gt_u32_e32 5, v12
	s_cbranch_execz .LBB43_6
; %bb.3:
	s_clause 0x1
	s_load_b64 s[4:5], s[0:1], 0x28
	s_load_b32 s8, s[0:1], 0x18
	s_lshl_b64 s[6:7], s[12:13], 3
	s_mov_b32 s9, 0
	v_dual_mov_b32 v13, 0 :: v_dual_lshrrev_b32 v2, 3, v0
	s_mov_b32 s3, s9
	s_mul_u64 s[12:13], s[12:13], 40
	s_delay_alu instid0(VALU_DEP_1)
	v_mov_b32_e32 v3, v13
	s_wait_kmcnt 0x0
	s_add_nc_u64 s[10:11], s[10:11], s[12:13]
	s_add_nc_u64 s[14:15], s[4:5], s[6:7]
	s_load_b128 s[4:7], s[14:15], 0x0
	s_wait_kmcnt 0x0
	s_sub_nc_u64 s[14:15], s[4:5], s[8:9]
	s_sub_nc_u64 s[6:7], s[6:7], s[8:9]
	v_add_nc_u64_e32 v[0:1], s[14:15], v[2:3]
	s_sub_nc_u64 s[16:17], s[6:7], s[14:15]
	s_mul_u64 s[14:15], s[14:15], 25
	s_mul_u64 s[16:17], s[16:17], 5
	s_delay_alu instid0(SALU_CYCLE_1) | instskip(SKIP_1) | instid1(VALU_DEP_2)
	v_mul_u64_e32 v[4:5], s[16:17], v[12:13]
	s_add_nc_u64 s[16:17], s[16:17], s[2:3]
	v_cmp_gt_i64_e32 vcc_lo, s[6:7], v[0:1]
	s_add_nc_u64 s[14:15], s[16:17], s[14:15]
	s_delay_alu instid0(VALU_DEP_2) | instid1(SALU_CYCLE_1)
	v_add_nc_u64_e32 v[6:7], s[14:15], v[4:5]
	global_store_b64 v12, v[6:7], s[10:11] offset:8 scale_offset
	s_wait_xcnt 0x0
	s_and_b32 exec_lo, exec_lo, vcc_lo
	s_cbranch_execz .LBB43_6
; %bb.4:
	v_mad_nc_u64_u32 v[4:5], s4, 25, v[4:5]
	s_delay_alu instid0(VALU_DEP_1)
	v_mad_u32 v5, s5, 25, v5
	s_clause 0x4
	s_load_b64 s[4:5], s[0:1], 0x20
	s_load_b64 s[10:11], s[0:1], 0x48
	;; [unrolled: 1-line block ×4, first 2 shown]
	s_load_b32 s16, s[0:1], 0x0
	s_wait_xcnt 0x0
	s_mul_u64 s[0:1], s[8:9], 25
	s_delay_alu instid0(VALU_DEP_1) | instskip(SKIP_3) | instid1(VALU_DEP_2)
	v_mad_nc_u64_u32 v[4:5], v2, 5, v[4:5]
	s_wait_kmcnt 0x0
	v_mad_nc_u64_u32 v[2:3], 0x64, v0, s[4:5]
	s_cmp_eq_u32 s16, 0
	v_sub_nc_u64_e64 v[6:7], v[4:5], s[0:1]
	v_dual_mov_b32 v5, v13 :: v_dual_lshlrev_b32 v4, 2, v12
	v_mul_hi_u32_u24_e32 v13, 20, v12
	v_mul_u32_u24_e32 v12, 20, v12
	s_cselect_b32 vcc_lo, -1, 0
	s_mov_b32 s1, s9
	s_delay_alu instid0(VALU_DEP_4) | instskip(SKIP_3) | instid1(VALU_DEP_4)
	v_lshl_add_u64 v[8:9], v[6:7], 2, s[10:11]
	v_lshl_add_u64 v[10:11], v[6:7], 3, s[12:13]
	v_mad_u32 v3, 0x64, v1, v3
	v_lshl_add_u64 v[6:7], v[0:1], 3, s[14:15]
	v_add_nc_u64_e32 v[8:9], 12, v[8:9]
	s_delay_alu instid0(VALU_DEP_4)
	v_add_nc_u64_e32 v[10:11], 16, v[10:11]
.LBB43_5:                               ; =>This Inner Loop Header: Depth=1
	global_load_b64 v[14:15], v[6:7], off
	v_add_nc_u64_e32 v[16:17], v[2:3], v[4:5]
	v_add_nc_u64_e32 v[18:19], v[2:3], v[12:13]
	;; [unrolled: 1-line block ×3, first 2 shown]
	s_wait_xcnt 0x0
	v_add_nc_u64_e32 v[6:7], 0x100, v[6:7]
	v_add_nc_u64_e32 v[2:3], 0xc80, v[2:3]
	;; [unrolled: 1-line block ×6, first 2 shown]
	v_dual_cndmask_b32 v21, v17, v19 :: v_dual_cndmask_b32 v20, v16, v18
	v_add_nc_u64_e32 v[32:33], 12, v[18:19]
	v_add_nc_u64_e32 v[34:35], 60, v[16:17]
	;; [unrolled: 1-line block ×4, first 2 shown]
	global_load_b32 v22, v[20:21], off
	s_wait_xcnt 0x0
	v_dual_cndmask_b32 v21, v27, v25 :: v_dual_cndmask_b32 v20, v26, v24
	v_dual_cndmask_b32 v27, v31, v29 :: v_dual_cndmask_b32 v26, v30, v28
	;; [unrolled: 1-line block ×4, first 2 shown]
	global_load_b32 v23, v[20:21], off
	global_load_b32 v24, v[26:27], off
	;; [unrolled: 1-line block ×4, first 2 shown]
	v_cmp_le_i64_e64 s0, s[6:7], v[0:1]
	s_wait_loadcnt 0x2
	global_store_b96 v[8:9], v[22:24], off offset:-12
	s_wait_loadcnt 0x0
	global_store_b64 v[8:9], v[30:31], off
	s_wait_xcnt 0x2
	v_sub_nc_u64_e64 v[16:17], v[14:15], s[8:9]
	s_wait_xcnt 0x0
	v_add_nc_u64_e32 v[8:9], 0x280, v[8:9]
	s_or_b32 s1, s0, s1
	s_delay_alu instid0(VALU_DEP_2) | instskip(NEXT) | instid1(VALU_DEP_1)
	v_mad_nc_u64_u32 v[14:15], v16, 5, s[2:3]
	v_mad_u32 v15, v17, 5, v15
	s_delay_alu instid0(VALU_DEP_1)
	v_add_nc_u64_e32 v[16:17], 1, v[14:15]
	v_add_nc_u64_e32 v[18:19], 2, v[14:15]
	;; [unrolled: 1-line block ×4, first 2 shown]
	s_clause 0x2
	global_store_b128 v[10:11], v[14:17], off offset:-16
	global_store_b128 v[10:11], v[18:21], off
	global_store_b64 v[10:11], v[26:27], off offset:16
	s_wait_xcnt 0x0
	v_add_nc_u64_e32 v[10:11], 0x500, v[10:11]
	s_and_not1_b32 exec_lo, exec_lo, s1
	s_cbranch_execnz .LBB43_5
.LBB43_6:
	s_endpgm
	.section	.rodata,"a",@progbits
	.p2align	6, 0x0
	.amdhsa_kernel _ZN9rocsparseL32bsr2csr_block_per_row_2_7_kernelILj256ELj5EillEEv20rocsparse_direction_T3_S2_21rocsparse_index_base_PKT1_PKT2_PKS2_S2_S3_PS4_PS7_PS2_
		.amdhsa_group_segment_fixed_size 0
		.amdhsa_private_segment_fixed_size 0
		.amdhsa_kernarg_size 96
		.amdhsa_user_sgpr_count 2
		.amdhsa_user_sgpr_dispatch_ptr 0
		.amdhsa_user_sgpr_queue_ptr 0
		.amdhsa_user_sgpr_kernarg_segment_ptr 1
		.amdhsa_user_sgpr_dispatch_id 0
		.amdhsa_user_sgpr_kernarg_preload_length 0
		.amdhsa_user_sgpr_kernarg_preload_offset 0
		.amdhsa_user_sgpr_private_segment_size 0
		.amdhsa_wavefront_size32 1
		.amdhsa_uses_dynamic_stack 0
		.amdhsa_enable_private_segment 0
		.amdhsa_system_sgpr_workgroup_id_x 1
		.amdhsa_system_sgpr_workgroup_id_y 0
		.amdhsa_system_sgpr_workgroup_id_z 0
		.amdhsa_system_sgpr_workgroup_info 0
		.amdhsa_system_vgpr_workitem_id 0
		.amdhsa_next_free_vgpr 36
		.amdhsa_next_free_sgpr 18
		.amdhsa_named_barrier_count 0
		.amdhsa_reserve_vcc 1
		.amdhsa_float_round_mode_32 0
		.amdhsa_float_round_mode_16_64 0
		.amdhsa_float_denorm_mode_32 3
		.amdhsa_float_denorm_mode_16_64 3
		.amdhsa_fp16_overflow 0
		.amdhsa_memory_ordered 1
		.amdhsa_forward_progress 1
		.amdhsa_inst_pref_size 7
		.amdhsa_round_robin_scheduling 0
		.amdhsa_exception_fp_ieee_invalid_op 0
		.amdhsa_exception_fp_denorm_src 0
		.amdhsa_exception_fp_ieee_div_zero 0
		.amdhsa_exception_fp_ieee_overflow 0
		.amdhsa_exception_fp_ieee_underflow 0
		.amdhsa_exception_fp_ieee_inexact 0
		.amdhsa_exception_int_div_zero 0
	.end_amdhsa_kernel
	.section	.text._ZN9rocsparseL32bsr2csr_block_per_row_2_7_kernelILj256ELj5EillEEv20rocsparse_direction_T3_S2_21rocsparse_index_base_PKT1_PKT2_PKS2_S2_S3_PS4_PS7_PS2_,"axG",@progbits,_ZN9rocsparseL32bsr2csr_block_per_row_2_7_kernelILj256ELj5EillEEv20rocsparse_direction_T3_S2_21rocsparse_index_base_PKT1_PKT2_PKS2_S2_S3_PS4_PS7_PS2_,comdat
.Lfunc_end43:
	.size	_ZN9rocsparseL32bsr2csr_block_per_row_2_7_kernelILj256ELj5EillEEv20rocsparse_direction_T3_S2_21rocsparse_index_base_PKT1_PKT2_PKS2_S2_S3_PS4_PS7_PS2_, .Lfunc_end43-_ZN9rocsparseL32bsr2csr_block_per_row_2_7_kernelILj256ELj5EillEEv20rocsparse_direction_T3_S2_21rocsparse_index_base_PKT1_PKT2_PKS2_S2_S3_PS4_PS7_PS2_
                                        ; -- End function
	.set _ZN9rocsparseL32bsr2csr_block_per_row_2_7_kernelILj256ELj5EillEEv20rocsparse_direction_T3_S2_21rocsparse_index_base_PKT1_PKT2_PKS2_S2_S3_PS4_PS7_PS2_.num_vgpr, 36
	.set _ZN9rocsparseL32bsr2csr_block_per_row_2_7_kernelILj256ELj5EillEEv20rocsparse_direction_T3_S2_21rocsparse_index_base_PKT1_PKT2_PKS2_S2_S3_PS4_PS7_PS2_.num_agpr, 0
	.set _ZN9rocsparseL32bsr2csr_block_per_row_2_7_kernelILj256ELj5EillEEv20rocsparse_direction_T3_S2_21rocsparse_index_base_PKT1_PKT2_PKS2_S2_S3_PS4_PS7_PS2_.numbered_sgpr, 18
	.set _ZN9rocsparseL32bsr2csr_block_per_row_2_7_kernelILj256ELj5EillEEv20rocsparse_direction_T3_S2_21rocsparse_index_base_PKT1_PKT2_PKS2_S2_S3_PS4_PS7_PS2_.num_named_barrier, 0
	.set _ZN9rocsparseL32bsr2csr_block_per_row_2_7_kernelILj256ELj5EillEEv20rocsparse_direction_T3_S2_21rocsparse_index_base_PKT1_PKT2_PKS2_S2_S3_PS4_PS7_PS2_.private_seg_size, 0
	.set _ZN9rocsparseL32bsr2csr_block_per_row_2_7_kernelILj256ELj5EillEEv20rocsparse_direction_T3_S2_21rocsparse_index_base_PKT1_PKT2_PKS2_S2_S3_PS4_PS7_PS2_.uses_vcc, 1
	.set _ZN9rocsparseL32bsr2csr_block_per_row_2_7_kernelILj256ELj5EillEEv20rocsparse_direction_T3_S2_21rocsparse_index_base_PKT1_PKT2_PKS2_S2_S3_PS4_PS7_PS2_.uses_flat_scratch, 0
	.set _ZN9rocsparseL32bsr2csr_block_per_row_2_7_kernelILj256ELj5EillEEv20rocsparse_direction_T3_S2_21rocsparse_index_base_PKT1_PKT2_PKS2_S2_S3_PS4_PS7_PS2_.has_dyn_sized_stack, 0
	.set _ZN9rocsparseL32bsr2csr_block_per_row_2_7_kernelILj256ELj5EillEEv20rocsparse_direction_T3_S2_21rocsparse_index_base_PKT1_PKT2_PKS2_S2_S3_PS4_PS7_PS2_.has_recursion, 0
	.set _ZN9rocsparseL32bsr2csr_block_per_row_2_7_kernelILj256ELj5EillEEv20rocsparse_direction_T3_S2_21rocsparse_index_base_PKT1_PKT2_PKS2_S2_S3_PS4_PS7_PS2_.has_indirect_call, 0
	.section	.AMDGPU.csdata,"",@progbits
; Kernel info:
; codeLenInByte = 828
; TotalNumSgprs: 20
; NumVgprs: 36
; ScratchSize: 0
; MemoryBound: 0
; FloatMode: 240
; IeeeMode: 1
; LDSByteSize: 0 bytes/workgroup (compile time only)
; SGPRBlocks: 0
; VGPRBlocks: 2
; NumSGPRsForWavesPerEU: 20
; NumVGPRsForWavesPerEU: 36
; NamedBarCnt: 0
; Occupancy: 16
; WaveLimiterHint : 0
; COMPUTE_PGM_RSRC2:SCRATCH_EN: 0
; COMPUTE_PGM_RSRC2:USER_SGPR: 2
; COMPUTE_PGM_RSRC2:TRAP_HANDLER: 0
; COMPUTE_PGM_RSRC2:TGID_X_EN: 1
; COMPUTE_PGM_RSRC2:TGID_Y_EN: 0
; COMPUTE_PGM_RSRC2:TGID_Z_EN: 0
; COMPUTE_PGM_RSRC2:TIDIG_COMP_CNT: 0
	.section	.text._ZN9rocsparseL32bsr2csr_block_per_row_2_7_kernelILj256ELj6EillEEv20rocsparse_direction_T3_S2_21rocsparse_index_base_PKT1_PKT2_PKS2_S2_S3_PS4_PS7_PS2_,"axG",@progbits,_ZN9rocsparseL32bsr2csr_block_per_row_2_7_kernelILj256ELj6EillEEv20rocsparse_direction_T3_S2_21rocsparse_index_base_PKT1_PKT2_PKS2_S2_S3_PS4_PS7_PS2_,comdat
	.globl	_ZN9rocsparseL32bsr2csr_block_per_row_2_7_kernelILj256ELj6EillEEv20rocsparse_direction_T3_S2_21rocsparse_index_base_PKT1_PKT2_PKS2_S2_S3_PS4_PS7_PS2_ ; -- Begin function _ZN9rocsparseL32bsr2csr_block_per_row_2_7_kernelILj256ELj6EillEEv20rocsparse_direction_T3_S2_21rocsparse_index_base_PKT1_PKT2_PKS2_S2_S3_PS4_PS7_PS2_
	.p2align	8
	.type	_ZN9rocsparseL32bsr2csr_block_per_row_2_7_kernelILj256ELj6EillEEv20rocsparse_direction_T3_S2_21rocsparse_index_base_PKT1_PKT2_PKS2_S2_S3_PS4_PS7_PS2_,@function
_ZN9rocsparseL32bsr2csr_block_per_row_2_7_kernelILj256ELj6EillEEv20rocsparse_direction_T3_S2_21rocsparse_index_base_PKT1_PKT2_PKS2_S2_S3_PS4_PS7_PS2_: ; @_ZN9rocsparseL32bsr2csr_block_per_row_2_7_kernelILj256ELj6EillEEv20rocsparse_direction_T3_S2_21rocsparse_index_base_PKT1_PKT2_PKS2_S2_S3_PS4_PS7_PS2_
; %bb.0:
	s_clause 0x1
	s_load_b32 s2, s[0:1], 0x40
	s_load_b64 s[10:11], s[0:1], 0x50
	s_bfe_u32 s3, ttmp6, 0x4000c
	s_and_b32 s4, ttmp6, 15
	s_add_co_i32 s3, s3, 1
	s_getreg_b32 s5, hwreg(HW_REG_IB_STS2, 6, 4)
	s_mul_i32 s3, ttmp9, s3
	s_mov_b32 s13, 0
	s_add_co_i32 s4, s4, s3
	s_cmp_eq_u32 s5, 0
	s_mov_b32 s3, exec_lo
	s_cselect_b32 s12, ttmp9, s4
	s_delay_alu instid0(SALU_CYCLE_1) | instskip(NEXT) | instid1(VALU_DEP_1)
	v_or_b32_e32 v1, s12, v0
	v_cmpx_eq_u32_e32 0, v1
	s_cbranch_execz .LBB44_2
; %bb.1:
	s_wait_kmcnt 0x0
	v_dual_mov_b32 v2, s2 :: v_dual_mov_b32 v3, 0
	global_store_b64 v3, v[2:3], s[10:11]
.LBB44_2:
	s_wait_xcnt 0x0
	s_or_b32 exec_lo, exec_lo, s3
	v_and_b32_e32 v4, 7, v0
	s_mov_b32 s3, exec_lo
	s_delay_alu instid0(VALU_DEP_1)
	v_cmpx_gt_u32_e32 6, v4
	s_cbranch_execz .LBB44_6
; %bb.3:
	s_clause 0x1
	s_load_b64 s[4:5], s[0:1], 0x28
	s_load_b32 s8, s[0:1], 0x18
	s_lshl_b64 s[6:7], s[12:13], 3
	s_mov_b32 s9, 0
	v_dual_mov_b32 v5, 0 :: v_dual_lshrrev_b32 v6, 3, v0
	s_mov_b32 s3, s9
	s_mul_u64 s[12:13], s[12:13], 48
	s_delay_alu instid0(VALU_DEP_1)
	v_mov_b32_e32 v7, v5
	s_wait_kmcnt 0x0
	s_add_nc_u64 s[10:11], s[10:11], s[12:13]
	s_add_nc_u64 s[14:15], s[4:5], s[6:7]
	s_load_b128 s[4:7], s[14:15], 0x0
	s_wait_kmcnt 0x0
	s_sub_nc_u64 s[14:15], s[4:5], s[8:9]
	s_sub_nc_u64 s[6:7], s[6:7], s[8:9]
	v_add_nc_u64_e32 v[0:1], s[14:15], v[6:7]
	s_sub_nc_u64 s[16:17], s[6:7], s[14:15]
	s_mul_u64 s[14:15], s[14:15], 36
	s_mul_u64 s[16:17], s[16:17], 6
	s_delay_alu instid0(SALU_CYCLE_1) | instskip(SKIP_1) | instid1(VALU_DEP_2)
	v_mul_u64_e32 v[2:3], s[16:17], v[4:5]
	s_add_nc_u64 s[16:17], s[16:17], s[2:3]
	v_cmp_gt_i64_e32 vcc_lo, s[6:7], v[0:1]
	s_add_nc_u64 s[14:15], s[16:17], s[14:15]
	s_delay_alu instid0(VALU_DEP_2) | instid1(SALU_CYCLE_1)
	v_add_nc_u64_e32 v[8:9], s[14:15], v[2:3]
	global_store_b64 v4, v[8:9], s[10:11] offset:8 scale_offset
	s_wait_xcnt 0x0
	s_and_b32 exec_lo, exec_lo, vcc_lo
	s_cbranch_execz .LBB44_6
; %bb.4:
	v_mad_nc_u64_u32 v[8:9], s4, 36, v[2:3]
	v_mul_hi_u32_u24_e32 v3, 20, v4
	v_mul_u32_u24_e32 v2, 20, v4
	v_lshlrev_b32_e32 v4, 2, v4
	s_delay_alu instid0(VALU_DEP_1)
	v_mad_nc_u64_u32 v[4:5], 0x90, v0, v[4:5]
	v_mad_u32 v9, s5, 36, v9
	s_clause 0x4
	s_load_b64 s[4:5], s[0:1], 0x48
	s_load_b64 s[10:11], s[0:1], 0x58
	;; [unrolled: 1-line block ×4, first 2 shown]
	s_load_b32 s16, s[0:1], 0x0
	s_wait_xcnt 0x0
	s_mul_u64 s[0:1], s[8:9], 36
	s_delay_alu instid0(VALU_DEP_2) | instskip(NEXT) | instid1(VALU_DEP_2)
	v_mad_u32 v5, 0x90, v1, v5
	v_mad_nc_u64_u32 v[6:7], v6, 6, v[8:9]
	s_wait_kmcnt 0x0
	s_delay_alu instid0(VALU_DEP_2) | instskip(SKIP_1) | instid1(VALU_DEP_2)
	v_add_nc_u64_e32 v[4:5], s[12:13], v[4:5]
	s_cmp_eq_u32 s16, 0
	v_sub_nc_u64_e64 v[6:7], v[6:7], s[0:1]
	s_cselect_b32 vcc_lo, -1, 0
	s_mov_b32 s1, s9
	s_delay_alu instid0(VALU_DEP_1) | instskip(SKIP_1) | instid1(VALU_DEP_2)
	v_lshl_add_u64 v[8:9], v[6:7], 2, s[4:5]
	v_lshl_add_u64 v[10:11], v[6:7], 3, s[10:11]
	v_add_nc_u64_e32 v[6:7], 12, v[8:9]
	s_delay_alu instid0(VALU_DEP_2)
	v_add_nc_u64_e32 v[8:9], 24, v[10:11]
	v_lshl_add_u64 v[10:11], v[0:1], 3, s[14:15]
.LBB44_5:                               ; =>This Inner Loop Header: Depth=1
	global_load_b64 v[12:13], v[10:11], off
	v_add_nc_u64_e32 v[14:15], v[4:5], v[2:3]
	v_add_nc_u64_e32 v[16:17], 24, v[4:5]
	;; [unrolled: 1-line block ×11, first 2 shown]
	v_dual_cndmask_b32 v25, v5, v15 :: v_dual_cndmask_b32 v24, v4, v14
	v_add_nc_u64_e32 v[14:15], 20, v[14:15]
	v_dual_cndmask_b32 v17, v17, v29 :: v_dual_cndmask_b32 v16, v16, v28
	v_dual_cndmask_b32 v19, v19, v31 :: v_dual_cndmask_b32 v18, v18, v30
	;; [unrolled: 1-line block ×5, first 2 shown]
	global_load_b32 v24, v[24:25], off
	global_load_b32 v25, v[16:17], off
	;; [unrolled: 1-line block ×6, first 2 shown]
	v_cmp_le_i64_e64 s0, s[6:7], v[0:1]
	v_add_nc_u64_e32 v[10:11], 0x100, v[10:11]
	v_add_nc_u64_e32 v[4:5], 0x1200, v[4:5]
	s_wait_loadcnt 0x3
	global_store_b96 v[6:7], v[24:26], off offset:-12
	s_wait_loadcnt 0x0
	global_store_b96 v[6:7], v[28:30], off
	s_wait_xcnt 0x2
	v_sub_nc_u64_e64 v[14:15], v[12:13], s[8:9]
	s_wait_xcnt 0x0
	v_add_nc_u64_e32 v[6:7], 0x300, v[6:7]
	s_or_b32 s1, s0, s1
	s_delay_alu instid0(VALU_DEP_2) | instskip(NEXT) | instid1(VALU_DEP_1)
	v_mad_nc_u64_u32 v[12:13], v14, 6, s[2:3]
	v_mad_u32 v13, v15, 6, v13
	s_delay_alu instid0(VALU_DEP_1)
	v_add_nc_u64_e32 v[14:15], 1, v[12:13]
	v_add_nc_u64_e32 v[16:17], 2, v[12:13]
	;; [unrolled: 1-line block ×5, first 2 shown]
	s_clause 0x2
	global_store_b128 v[8:9], v[12:15], off offset:-24
	global_store_b128 v[8:9], v[16:19], off offset:-8
	global_store_b128 v[8:9], v[20:23], off offset:8
	s_wait_xcnt 0x0
	v_add_nc_u64_e32 v[8:9], 0x600, v[8:9]
	s_and_not1_b32 exec_lo, exec_lo, s1
	s_cbranch_execnz .LBB44_5
.LBB44_6:
	s_endpgm
	.section	.rodata,"a",@progbits
	.p2align	6, 0x0
	.amdhsa_kernel _ZN9rocsparseL32bsr2csr_block_per_row_2_7_kernelILj256ELj6EillEEv20rocsparse_direction_T3_S2_21rocsparse_index_base_PKT1_PKT2_PKS2_S2_S3_PS4_PS7_PS2_
		.amdhsa_group_segment_fixed_size 0
		.amdhsa_private_segment_fixed_size 0
		.amdhsa_kernarg_size 96
		.amdhsa_user_sgpr_count 2
		.amdhsa_user_sgpr_dispatch_ptr 0
		.amdhsa_user_sgpr_queue_ptr 0
		.amdhsa_user_sgpr_kernarg_segment_ptr 1
		.amdhsa_user_sgpr_dispatch_id 0
		.amdhsa_user_sgpr_kernarg_preload_length 0
		.amdhsa_user_sgpr_kernarg_preload_offset 0
		.amdhsa_user_sgpr_private_segment_size 0
		.amdhsa_wavefront_size32 1
		.amdhsa_uses_dynamic_stack 0
		.amdhsa_enable_private_segment 0
		.amdhsa_system_sgpr_workgroup_id_x 1
		.amdhsa_system_sgpr_workgroup_id_y 0
		.amdhsa_system_sgpr_workgroup_id_z 0
		.amdhsa_system_sgpr_workgroup_info 0
		.amdhsa_system_vgpr_workitem_id 0
		.amdhsa_next_free_vgpr 36
		.amdhsa_next_free_sgpr 18
		.amdhsa_named_barrier_count 0
		.amdhsa_reserve_vcc 1
		.amdhsa_float_round_mode_32 0
		.amdhsa_float_round_mode_16_64 0
		.amdhsa_float_denorm_mode_32 3
		.amdhsa_float_denorm_mode_16_64 3
		.amdhsa_fp16_overflow 0
		.amdhsa_memory_ordered 1
		.amdhsa_forward_progress 1
		.amdhsa_inst_pref_size 7
		.amdhsa_round_robin_scheduling 0
		.amdhsa_exception_fp_ieee_invalid_op 0
		.amdhsa_exception_fp_denorm_src 0
		.amdhsa_exception_fp_ieee_div_zero 0
		.amdhsa_exception_fp_ieee_overflow 0
		.amdhsa_exception_fp_ieee_underflow 0
		.amdhsa_exception_fp_ieee_inexact 0
		.amdhsa_exception_int_div_zero 0
	.end_amdhsa_kernel
	.section	.text._ZN9rocsparseL32bsr2csr_block_per_row_2_7_kernelILj256ELj6EillEEv20rocsparse_direction_T3_S2_21rocsparse_index_base_PKT1_PKT2_PKS2_S2_S3_PS4_PS7_PS2_,"axG",@progbits,_ZN9rocsparseL32bsr2csr_block_per_row_2_7_kernelILj256ELj6EillEEv20rocsparse_direction_T3_S2_21rocsparse_index_base_PKT1_PKT2_PKS2_S2_S3_PS4_PS7_PS2_,comdat
.Lfunc_end44:
	.size	_ZN9rocsparseL32bsr2csr_block_per_row_2_7_kernelILj256ELj6EillEEv20rocsparse_direction_T3_S2_21rocsparse_index_base_PKT1_PKT2_PKS2_S2_S3_PS4_PS7_PS2_, .Lfunc_end44-_ZN9rocsparseL32bsr2csr_block_per_row_2_7_kernelILj256ELj6EillEEv20rocsparse_direction_T3_S2_21rocsparse_index_base_PKT1_PKT2_PKS2_S2_S3_PS4_PS7_PS2_
                                        ; -- End function
	.set _ZN9rocsparseL32bsr2csr_block_per_row_2_7_kernelILj256ELj6EillEEv20rocsparse_direction_T3_S2_21rocsparse_index_base_PKT1_PKT2_PKS2_S2_S3_PS4_PS7_PS2_.num_vgpr, 36
	.set _ZN9rocsparseL32bsr2csr_block_per_row_2_7_kernelILj256ELj6EillEEv20rocsparse_direction_T3_S2_21rocsparse_index_base_PKT1_PKT2_PKS2_S2_S3_PS4_PS7_PS2_.num_agpr, 0
	.set _ZN9rocsparseL32bsr2csr_block_per_row_2_7_kernelILj256ELj6EillEEv20rocsparse_direction_T3_S2_21rocsparse_index_base_PKT1_PKT2_PKS2_S2_S3_PS4_PS7_PS2_.numbered_sgpr, 18
	.set _ZN9rocsparseL32bsr2csr_block_per_row_2_7_kernelILj256ELj6EillEEv20rocsparse_direction_T3_S2_21rocsparse_index_base_PKT1_PKT2_PKS2_S2_S3_PS4_PS7_PS2_.num_named_barrier, 0
	.set _ZN9rocsparseL32bsr2csr_block_per_row_2_7_kernelILj256ELj6EillEEv20rocsparse_direction_T3_S2_21rocsparse_index_base_PKT1_PKT2_PKS2_S2_S3_PS4_PS7_PS2_.private_seg_size, 0
	.set _ZN9rocsparseL32bsr2csr_block_per_row_2_7_kernelILj256ELj6EillEEv20rocsparse_direction_T3_S2_21rocsparse_index_base_PKT1_PKT2_PKS2_S2_S3_PS4_PS7_PS2_.uses_vcc, 1
	.set _ZN9rocsparseL32bsr2csr_block_per_row_2_7_kernelILj256ELj6EillEEv20rocsparse_direction_T3_S2_21rocsparse_index_base_PKT1_PKT2_PKS2_S2_S3_PS4_PS7_PS2_.uses_flat_scratch, 0
	.set _ZN9rocsparseL32bsr2csr_block_per_row_2_7_kernelILj256ELj6EillEEv20rocsparse_direction_T3_S2_21rocsparse_index_base_PKT1_PKT2_PKS2_S2_S3_PS4_PS7_PS2_.has_dyn_sized_stack, 0
	.set _ZN9rocsparseL32bsr2csr_block_per_row_2_7_kernelILj256ELj6EillEEv20rocsparse_direction_T3_S2_21rocsparse_index_base_PKT1_PKT2_PKS2_S2_S3_PS4_PS7_PS2_.has_recursion, 0
	.set _ZN9rocsparseL32bsr2csr_block_per_row_2_7_kernelILj256ELj6EillEEv20rocsparse_direction_T3_S2_21rocsparse_index_base_PKT1_PKT2_PKS2_S2_S3_PS4_PS7_PS2_.has_indirect_call, 0
	.section	.AMDGPU.csdata,"",@progbits
; Kernel info:
; codeLenInByte = 860
; TotalNumSgprs: 20
; NumVgprs: 36
; ScratchSize: 0
; MemoryBound: 0
; FloatMode: 240
; IeeeMode: 1
; LDSByteSize: 0 bytes/workgroup (compile time only)
; SGPRBlocks: 0
; VGPRBlocks: 2
; NumSGPRsForWavesPerEU: 20
; NumVGPRsForWavesPerEU: 36
; NamedBarCnt: 0
; Occupancy: 16
; WaveLimiterHint : 0
; COMPUTE_PGM_RSRC2:SCRATCH_EN: 0
; COMPUTE_PGM_RSRC2:USER_SGPR: 2
; COMPUTE_PGM_RSRC2:TRAP_HANDLER: 0
; COMPUTE_PGM_RSRC2:TGID_X_EN: 1
; COMPUTE_PGM_RSRC2:TGID_Y_EN: 0
; COMPUTE_PGM_RSRC2:TGID_Z_EN: 0
; COMPUTE_PGM_RSRC2:TIDIG_COMP_CNT: 0
	.section	.text._ZN9rocsparseL32bsr2csr_block_per_row_2_7_kernelILj256ELj7EillEEv20rocsparse_direction_T3_S2_21rocsparse_index_base_PKT1_PKT2_PKS2_S2_S3_PS4_PS7_PS2_,"axG",@progbits,_ZN9rocsparseL32bsr2csr_block_per_row_2_7_kernelILj256ELj7EillEEv20rocsparse_direction_T3_S2_21rocsparse_index_base_PKT1_PKT2_PKS2_S2_S3_PS4_PS7_PS2_,comdat
	.globl	_ZN9rocsparseL32bsr2csr_block_per_row_2_7_kernelILj256ELj7EillEEv20rocsparse_direction_T3_S2_21rocsparse_index_base_PKT1_PKT2_PKS2_S2_S3_PS4_PS7_PS2_ ; -- Begin function _ZN9rocsparseL32bsr2csr_block_per_row_2_7_kernelILj256ELj7EillEEv20rocsparse_direction_T3_S2_21rocsparse_index_base_PKT1_PKT2_PKS2_S2_S3_PS4_PS7_PS2_
	.p2align	8
	.type	_ZN9rocsparseL32bsr2csr_block_per_row_2_7_kernelILj256ELj7EillEEv20rocsparse_direction_T3_S2_21rocsparse_index_base_PKT1_PKT2_PKS2_S2_S3_PS4_PS7_PS2_,@function
_ZN9rocsparseL32bsr2csr_block_per_row_2_7_kernelILj256ELj7EillEEv20rocsparse_direction_T3_S2_21rocsparse_index_base_PKT1_PKT2_PKS2_S2_S3_PS4_PS7_PS2_: ; @_ZN9rocsparseL32bsr2csr_block_per_row_2_7_kernelILj256ELj7EillEEv20rocsparse_direction_T3_S2_21rocsparse_index_base_PKT1_PKT2_PKS2_S2_S3_PS4_PS7_PS2_
; %bb.0:
	s_clause 0x1
	s_load_b32 s2, s[0:1], 0x40
	s_load_b64 s[10:11], s[0:1], 0x50
	s_bfe_u32 s3, ttmp6, 0x4000c
	s_and_b32 s4, ttmp6, 15
	s_add_co_i32 s3, s3, 1
	s_getreg_b32 s5, hwreg(HW_REG_IB_STS2, 6, 4)
	s_mul_i32 s3, ttmp9, s3
	s_mov_b32 s13, 0
	s_add_co_i32 s4, s4, s3
	s_cmp_eq_u32 s5, 0
	s_mov_b32 s3, exec_lo
	s_cselect_b32 s12, ttmp9, s4
	s_delay_alu instid0(SALU_CYCLE_1) | instskip(NEXT) | instid1(VALU_DEP_1)
	v_or_b32_e32 v1, s12, v0
	v_cmpx_eq_u32_e32 0, v1
	s_cbranch_execz .LBB45_2
; %bb.1:
	s_wait_kmcnt 0x0
	v_dual_mov_b32 v2, s2 :: v_dual_mov_b32 v3, 0
	global_store_b64 v3, v[2:3], s[10:11]
.LBB45_2:
	s_wait_xcnt 0x0
	s_or_b32 exec_lo, exec_lo, s3
	v_and_b32_e32 v4, 7, v0
	s_mov_b32 s3, exec_lo
	s_delay_alu instid0(VALU_DEP_1)
	v_cmpx_ne_u32_e32 7, v4
	s_cbranch_execz .LBB45_6
; %bb.3:
	s_clause 0x1
	s_load_b64 s[4:5], s[0:1], 0x28
	s_load_b32 s8, s[0:1], 0x18
	s_lshl_b64 s[6:7], s[12:13], 3
	s_mov_b32 s9, 0
	v_dual_mov_b32 v5, 0 :: v_dual_lshrrev_b32 v6, 3, v0
	s_mov_b32 s3, s9
	s_mul_u64 s[12:13], s[12:13], 56
	s_delay_alu instid0(VALU_DEP_1)
	v_mov_b32_e32 v7, v5
	s_wait_kmcnt 0x0
	s_add_nc_u64 s[10:11], s[10:11], s[12:13]
	s_add_nc_u64 s[14:15], s[4:5], s[6:7]
	s_load_b128 s[4:7], s[14:15], 0x0
	s_wait_kmcnt 0x0
	s_sub_nc_u64 s[14:15], s[4:5], s[8:9]
	s_sub_nc_u64 s[6:7], s[6:7], s[8:9]
	v_add_nc_u64_e32 v[0:1], s[14:15], v[6:7]
	s_sub_nc_u64 s[16:17], s[6:7], s[14:15]
	s_mul_u64 s[14:15], s[14:15], 49
	s_mul_u64 s[16:17], s[16:17], 7
	s_delay_alu instid0(SALU_CYCLE_1) | instskip(SKIP_1) | instid1(VALU_DEP_2)
	v_mul_u64_e32 v[2:3], s[16:17], v[4:5]
	s_add_nc_u64 s[16:17], s[16:17], s[2:3]
	v_cmp_gt_i64_e32 vcc_lo, s[6:7], v[0:1]
	s_add_nc_u64 s[14:15], s[16:17], s[14:15]
	s_delay_alu instid0(VALU_DEP_2) | instid1(SALU_CYCLE_1)
	v_add_nc_u64_e32 v[8:9], s[14:15], v[2:3]
	global_store_b64 v4, v[8:9], s[10:11] offset:8 scale_offset
	s_wait_xcnt 0x0
	s_and_b32 exec_lo, exec_lo, vcc_lo
	s_cbranch_execz .LBB45_6
; %bb.4:
	v_mad_nc_u64_u32 v[8:9], s4, 49, v[2:3]
	v_mul_hi_u32_u24_e32 v3, 24, v4
	v_mul_u32_u24_e32 v2, 24, v4
	v_lshlrev_b32_e32 v4, 2, v4
	s_delay_alu instid0(VALU_DEP_1)
	v_mad_nc_u64_u32 v[4:5], 0xc4, v0, v[4:5]
	v_mad_u32 v9, s5, 49, v9
	s_clause 0x4
	s_load_b64 s[4:5], s[0:1], 0x48
	s_load_b64 s[10:11], s[0:1], 0x58
	;; [unrolled: 1-line block ×4, first 2 shown]
	s_load_b32 s16, s[0:1], 0x0
	s_wait_xcnt 0x0
	s_mul_u64 s[0:1], s[8:9], 49
	s_delay_alu instid0(VALU_DEP_2) | instskip(NEXT) | instid1(VALU_DEP_2)
	v_mad_u32 v5, 0xc4, v1, v5
	v_mad_nc_u64_u32 v[6:7], v6, 7, v[8:9]
	s_wait_kmcnt 0x0
	s_delay_alu instid0(VALU_DEP_2) | instskip(SKIP_1) | instid1(VALU_DEP_2)
	v_add_nc_u64_e32 v[4:5], s[12:13], v[4:5]
	s_cmp_eq_u32 s16, 0
	v_sub_nc_u64_e64 v[6:7], v[6:7], s[0:1]
	s_cselect_b32 vcc_lo, -1, 0
	s_mov_b32 s1, s9
	s_delay_alu instid0(VALU_DEP_1) | instskip(SKIP_1) | instid1(VALU_DEP_2)
	v_lshl_add_u64 v[8:9], v[6:7], 2, s[4:5]
	v_lshl_add_u64 v[10:11], v[6:7], 3, s[10:11]
	v_add_nc_u64_e32 v[6:7], 12, v[8:9]
	s_delay_alu instid0(VALU_DEP_2)
	v_add_nc_u64_e32 v[8:9], 24, v[10:11]
	v_lshl_add_u64 v[10:11], v[0:1], 3, s[14:15]
.LBB45_5:                               ; =>This Inner Loop Header: Depth=1
	global_load_b64 v[16:17], v[10:11], off
	v_add_nc_u64_e32 v[12:13], v[4:5], v[2:3]
	v_add_nc_u64_e32 v[14:15], 28, v[4:5]
	;; [unrolled: 1-line block ×10, first 2 shown]
	v_dual_cndmask_b32 v19, v5, v13 :: v_dual_cndmask_b32 v18, v4, v12
	v_add_nc_u64_e32 v[36:37], 16, v[12:13]
	v_add_nc_u64_e32 v[38:39], 20, v[12:13]
	;; [unrolled: 1-line block ×3, first 2 shown]
	v_dual_cndmask_b32 v31, v15, v31 :: v_dual_cndmask_b32 v30, v14, v30
	global_load_b32 v18, v[18:19], off
	v_dual_cndmask_b32 v33, v21, v33 :: v_dual_cndmask_b32 v32, v20, v32
	v_dual_cndmask_b32 v23, v23, v35 :: v_dual_cndmask_b32 v22, v22, v34
	;; [unrolled: 1-line block ×5, first 2 shown]
	global_load_b32 v19, v[30:31], off
	global_load_b32 v20, v[32:33], off
	;; [unrolled: 1-line block ×6, first 2 shown]
	v_add_nc_u64_e32 v[0:1], 32, v[0:1]
	v_add_nc_u64_e32 v[10:11], 0x100, v[10:11]
	;; [unrolled: 1-line block ×3, first 2 shown]
	s_delay_alu instid0(VALU_DEP_3) | instskip(SKIP_4) | instid1(VALU_DEP_1)
	v_cmp_le_i64_e64 s0, s[6:7], v[0:1]
	s_or_b32 s1, s0, s1
	s_wait_loadcnt 0x7
	s_wait_xcnt 0x3
	v_sub_nc_u64_e64 v[22:23], v[16:17], s[8:9]
	v_mad_nc_u64_u32 v[16:17], v22, 7, s[2:3]
	s_delay_alu instid0(VALU_DEP_1)
	v_mad_u32 v17, v23, 7, v17
	s_wait_loadcnt 0x4
	global_store_b96 v[6:7], v[18:20], off offset:-12
	s_wait_loadcnt 0x0
	global_store_b128 v[6:7], v[12:15], off
	s_wait_xcnt 0x1
	v_add_nc_u64_e32 v[18:19], 1, v[16:17]
	v_add_nc_u64_e32 v[20:21], 2, v[16:17]
	;; [unrolled: 1-line block ×6, first 2 shown]
	s_wait_xcnt 0x0
	v_add_nc_u64_e32 v[6:7], 0x380, v[6:7]
	s_clause 0x3
	global_store_b128 v[8:9], v[16:19], off offset:-24
	global_store_b128 v[8:9], v[20:23], off offset:-8
	global_store_b128 v[8:9], v[24:27], off offset:8
	global_store_b64 v[8:9], v[28:29], off offset:24
	s_wait_xcnt 0x0
	v_add_nc_u64_e32 v[8:9], 0x700, v[8:9]
	s_and_not1_b32 exec_lo, exec_lo, s1
	s_cbranch_execnz .LBB45_5
.LBB45_6:
	s_endpgm
	.section	.rodata,"a",@progbits
	.p2align	6, 0x0
	.amdhsa_kernel _ZN9rocsparseL32bsr2csr_block_per_row_2_7_kernelILj256ELj7EillEEv20rocsparse_direction_T3_S2_21rocsparse_index_base_PKT1_PKT2_PKS2_S2_S3_PS4_PS7_PS2_
		.amdhsa_group_segment_fixed_size 0
		.amdhsa_private_segment_fixed_size 0
		.amdhsa_kernarg_size 96
		.amdhsa_user_sgpr_count 2
		.amdhsa_user_sgpr_dispatch_ptr 0
		.amdhsa_user_sgpr_queue_ptr 0
		.amdhsa_user_sgpr_kernarg_segment_ptr 1
		.amdhsa_user_sgpr_dispatch_id 0
		.amdhsa_user_sgpr_kernarg_preload_length 0
		.amdhsa_user_sgpr_kernarg_preload_offset 0
		.amdhsa_user_sgpr_private_segment_size 0
		.amdhsa_wavefront_size32 1
		.amdhsa_uses_dynamic_stack 0
		.amdhsa_enable_private_segment 0
		.amdhsa_system_sgpr_workgroup_id_x 1
		.amdhsa_system_sgpr_workgroup_id_y 0
		.amdhsa_system_sgpr_workgroup_id_z 0
		.amdhsa_system_sgpr_workgroup_info 0
		.amdhsa_system_vgpr_workitem_id 0
		.amdhsa_next_free_vgpr 40
		.amdhsa_next_free_sgpr 18
		.amdhsa_named_barrier_count 0
		.amdhsa_reserve_vcc 1
		.amdhsa_float_round_mode_32 0
		.amdhsa_float_round_mode_16_64 0
		.amdhsa_float_denorm_mode_32 3
		.amdhsa_float_denorm_mode_16_64 3
		.amdhsa_fp16_overflow 0
		.amdhsa_memory_ordered 1
		.amdhsa_forward_progress 1
		.amdhsa_inst_pref_size 8
		.amdhsa_round_robin_scheduling 0
		.amdhsa_exception_fp_ieee_invalid_op 0
		.amdhsa_exception_fp_denorm_src 0
		.amdhsa_exception_fp_ieee_div_zero 0
		.amdhsa_exception_fp_ieee_overflow 0
		.amdhsa_exception_fp_ieee_underflow 0
		.amdhsa_exception_fp_ieee_inexact 0
		.amdhsa_exception_int_div_zero 0
	.end_amdhsa_kernel
	.section	.text._ZN9rocsparseL32bsr2csr_block_per_row_2_7_kernelILj256ELj7EillEEv20rocsparse_direction_T3_S2_21rocsparse_index_base_PKT1_PKT2_PKS2_S2_S3_PS4_PS7_PS2_,"axG",@progbits,_ZN9rocsparseL32bsr2csr_block_per_row_2_7_kernelILj256ELj7EillEEv20rocsparse_direction_T3_S2_21rocsparse_index_base_PKT1_PKT2_PKS2_S2_S3_PS4_PS7_PS2_,comdat
.Lfunc_end45:
	.size	_ZN9rocsparseL32bsr2csr_block_per_row_2_7_kernelILj256ELj7EillEEv20rocsparse_direction_T3_S2_21rocsparse_index_base_PKT1_PKT2_PKS2_S2_S3_PS4_PS7_PS2_, .Lfunc_end45-_ZN9rocsparseL32bsr2csr_block_per_row_2_7_kernelILj256ELj7EillEEv20rocsparse_direction_T3_S2_21rocsparse_index_base_PKT1_PKT2_PKS2_S2_S3_PS4_PS7_PS2_
                                        ; -- End function
	.set _ZN9rocsparseL32bsr2csr_block_per_row_2_7_kernelILj256ELj7EillEEv20rocsparse_direction_T3_S2_21rocsparse_index_base_PKT1_PKT2_PKS2_S2_S3_PS4_PS7_PS2_.num_vgpr, 40
	.set _ZN9rocsparseL32bsr2csr_block_per_row_2_7_kernelILj256ELj7EillEEv20rocsparse_direction_T3_S2_21rocsparse_index_base_PKT1_PKT2_PKS2_S2_S3_PS4_PS7_PS2_.num_agpr, 0
	.set _ZN9rocsparseL32bsr2csr_block_per_row_2_7_kernelILj256ELj7EillEEv20rocsparse_direction_T3_S2_21rocsparse_index_base_PKT1_PKT2_PKS2_S2_S3_PS4_PS7_PS2_.numbered_sgpr, 18
	.set _ZN9rocsparseL32bsr2csr_block_per_row_2_7_kernelILj256ELj7EillEEv20rocsparse_direction_T3_S2_21rocsparse_index_base_PKT1_PKT2_PKS2_S2_S3_PS4_PS7_PS2_.num_named_barrier, 0
	.set _ZN9rocsparseL32bsr2csr_block_per_row_2_7_kernelILj256ELj7EillEEv20rocsparse_direction_T3_S2_21rocsparse_index_base_PKT1_PKT2_PKS2_S2_S3_PS4_PS7_PS2_.private_seg_size, 0
	.set _ZN9rocsparseL32bsr2csr_block_per_row_2_7_kernelILj256ELj7EillEEv20rocsparse_direction_T3_S2_21rocsparse_index_base_PKT1_PKT2_PKS2_S2_S3_PS4_PS7_PS2_.uses_vcc, 1
	.set _ZN9rocsparseL32bsr2csr_block_per_row_2_7_kernelILj256ELj7EillEEv20rocsparse_direction_T3_S2_21rocsparse_index_base_PKT1_PKT2_PKS2_S2_S3_PS4_PS7_PS2_.uses_flat_scratch, 0
	.set _ZN9rocsparseL32bsr2csr_block_per_row_2_7_kernelILj256ELj7EillEEv20rocsparse_direction_T3_S2_21rocsparse_index_base_PKT1_PKT2_PKS2_S2_S3_PS4_PS7_PS2_.has_dyn_sized_stack, 0
	.set _ZN9rocsparseL32bsr2csr_block_per_row_2_7_kernelILj256ELj7EillEEv20rocsparse_direction_T3_S2_21rocsparse_index_base_PKT1_PKT2_PKS2_S2_S3_PS4_PS7_PS2_.has_recursion, 0
	.set _ZN9rocsparseL32bsr2csr_block_per_row_2_7_kernelILj256ELj7EillEEv20rocsparse_direction_T3_S2_21rocsparse_index_base_PKT1_PKT2_PKS2_S2_S3_PS4_PS7_PS2_.has_indirect_call, 0
	.section	.AMDGPU.csdata,"",@progbits
; Kernel info:
; codeLenInByte = 916
; TotalNumSgprs: 20
; NumVgprs: 40
; ScratchSize: 0
; MemoryBound: 0
; FloatMode: 240
; IeeeMode: 1
; LDSByteSize: 0 bytes/workgroup (compile time only)
; SGPRBlocks: 0
; VGPRBlocks: 2
; NumSGPRsForWavesPerEU: 20
; NumVGPRsForWavesPerEU: 40
; NamedBarCnt: 0
; Occupancy: 16
; WaveLimiterHint : 0
; COMPUTE_PGM_RSRC2:SCRATCH_EN: 0
; COMPUTE_PGM_RSRC2:USER_SGPR: 2
; COMPUTE_PGM_RSRC2:TRAP_HANDLER: 0
; COMPUTE_PGM_RSRC2:TGID_X_EN: 1
; COMPUTE_PGM_RSRC2:TGID_Y_EN: 0
; COMPUTE_PGM_RSRC2:TGID_Z_EN: 0
; COMPUTE_PGM_RSRC2:TIDIG_COMP_CNT: 0
	.section	.text._ZN9rocsparseL33bsr2csr_block_per_row_8_32_kernelILj1024ELj8EillEEv20rocsparse_direction_T3_S2_21rocsparse_index_base_PKT1_PKT2_PKS2_S2_S3_PS4_PS7_PS2_,"axG",@progbits,_ZN9rocsparseL33bsr2csr_block_per_row_8_32_kernelILj1024ELj8EillEEv20rocsparse_direction_T3_S2_21rocsparse_index_base_PKT1_PKT2_PKS2_S2_S3_PS4_PS7_PS2_,comdat
	.globl	_ZN9rocsparseL33bsr2csr_block_per_row_8_32_kernelILj1024ELj8EillEEv20rocsparse_direction_T3_S2_21rocsparse_index_base_PKT1_PKT2_PKS2_S2_S3_PS4_PS7_PS2_ ; -- Begin function _ZN9rocsparseL33bsr2csr_block_per_row_8_32_kernelILj1024ELj8EillEEv20rocsparse_direction_T3_S2_21rocsparse_index_base_PKT1_PKT2_PKS2_S2_S3_PS4_PS7_PS2_
	.p2align	8
	.type	_ZN9rocsparseL33bsr2csr_block_per_row_8_32_kernelILj1024ELj8EillEEv20rocsparse_direction_T3_S2_21rocsparse_index_base_PKT1_PKT2_PKS2_S2_S3_PS4_PS7_PS2_,@function
_ZN9rocsparseL33bsr2csr_block_per_row_8_32_kernelILj1024ELj8EillEEv20rocsparse_direction_T3_S2_21rocsparse_index_base_PKT1_PKT2_PKS2_S2_S3_PS4_PS7_PS2_: ; @_ZN9rocsparseL33bsr2csr_block_per_row_8_32_kernelILj1024ELj8EillEEv20rocsparse_direction_T3_S2_21rocsparse_index_base_PKT1_PKT2_PKS2_S2_S3_PS4_PS7_PS2_
; %bb.0:
	s_clause 0x1
	s_load_b32 s6, s[0:1], 0x40
	s_load_b64 s[12:13], s[0:1], 0x50
	s_bfe_u32 s2, ttmp6, 0x4000c
	s_and_b32 s3, ttmp6, 15
	s_add_co_i32 s2, s2, 1
	s_getreg_b32 s4, hwreg(HW_REG_IB_STS2, 6, 4)
	s_mul_i32 s2, ttmp9, s2
	s_mov_b32 s15, 0
	s_add_co_i32 s3, s3, s2
	s_cmp_eq_u32 s4, 0
	s_mov_b32 s2, exec_lo
	s_cselect_b32 s14, ttmp9, s3
	s_delay_alu instid0(SALU_CYCLE_1) | instskip(NEXT) | instid1(VALU_DEP_1)
	v_or_b32_e32 v1, s14, v0
	v_cmpx_eq_u32_e32 0, v1
	s_cbranch_execz .LBB46_2
; %bb.1:
	s_wait_kmcnt 0x0
	v_dual_mov_b32 v2, s6 :: v_dual_mov_b32 v3, 0
	global_store_b64 v3, v[2:3], s[12:13]
.LBB46_2:
	s_wait_xcnt 0x0
	s_or_b32 exec_lo, exec_lo, s2
	v_dual_mov_b32 v3, 0 :: v_dual_bitop2_b32 v2, 7, v0 bitop3:0x40
	v_bfe_u32 v4, v0, 3, 3
	s_load_b64 s[2:3], s[0:1], 0x38
	s_mov_b32 s4, exec_lo
	s_delay_alu instid0(VALU_DEP_2) | instskip(NEXT) | instid1(VALU_DEP_1)
	v_mov_b32_e32 v5, v3
	v_max_i64 v[6:7], v[4:5], v[2:3]
	s_wait_kmcnt 0x0
	s_delay_alu instid0(VALU_DEP_1)
	v_cmpx_gt_i64_e64 s[2:3], v[6:7]
	s_cbranch_execz .LBB46_6
; %bb.3:
	s_clause 0x1
	s_load_b64 s[8:9], s[0:1], 0x28
	s_load_b32 s4, s[0:1], 0x18
	s_lshl_b64 s[10:11], s[14:15], 3
	s_mov_b32 s5, 0
	v_dual_mov_b32 v7, v3 :: v_dual_lshrrev_b32 v6, 6, v0
	s_mov_b32 s7, s5
	s_mul_u64 s[14:15], s[2:3], s[14:15]
	s_delay_alu instid0(SALU_CYCLE_1) | instskip(NEXT) | instid1(SALU_CYCLE_1)
	s_lshl_b64 s[14:15], s[14:15], 3
	s_add_nc_u64 s[12:13], s[12:13], s[14:15]
	s_wait_kmcnt 0x0
	s_add_nc_u64 s[16:17], s[8:9], s[10:11]
	s_load_b128 s[8:11], s[16:17], 0x0
	s_wait_kmcnt 0x0
	s_sub_nc_u64 s[16:17], s[8:9], s[4:5]
	s_sub_nc_u64 s[8:9], s[10:11], s[4:5]
	s_mul_u64 s[10:11], s[2:3], s[2:3]
	s_sub_nc_u64 s[18:19], s[8:9], s[16:17]
	s_mul_u64 s[22:23], s[16:17], s[10:11]
	s_mul_u64 s[20:21], s[18:19], s[2:3]
	v_add_nc_u64_e32 v[0:1], s[16:17], v[6:7]
	s_add_nc_u64 s[24:25], s[20:21], s[6:7]
	s_delay_alu instid0(SALU_CYCLE_1) | instskip(NEXT) | instid1(SALU_CYCLE_1)
	s_add_nc_u64 s[22:23], s[24:25], s[22:23]
	v_mad_nc_u64_u32 v[8:9], s20, v4, s[22:23]
	s_delay_alu instid0(VALU_DEP_2) | instskip(NEXT) | instid1(VALU_DEP_2)
	v_cmp_gt_i64_e32 vcc_lo, s[8:9], v[0:1]
	v_mad_u32 v9, s21, v4, v9
	global_store_b64 v4, v[8:9], s[12:13] offset:8 scale_offset
	s_wait_xcnt 0x0
	s_and_b32 exec_lo, exec_lo, vcc_lo
	s_cbranch_execz .LBB46_6
; %bb.4:
	v_mad_nc_u64_u32 v[6:7], s2, s16, v[6:7]
	s_mul_i32 s12, s3, s16
	s_mul_i32 s13, s2, s17
	v_mul_u64_e32 v[8:9], s[2:3], v[2:3]
	v_mul_u64_e32 v[10:11], s[2:3], v[4:5]
	;; [unrolled: 1-line block ×3, first 2 shown]
	v_mov_b32_e32 v5, 0
	v_add3_u32 v7, s13, s12, v7
	s_load_b64 s[12:13], s[0:1], 0x20
	s_delay_alu instid0(VALU_DEP_1) | instskip(SKIP_4) | instid1(VALU_DEP_1)
	v_mad_nc_u64_u32 v[6:7], s18, v4, v[6:7]
	s_clause 0x2
	s_load_b64 s[14:15], s[0:1], 0x30
	s_load_b64 s[16:17], s[0:1], 0x48
	s_load_b32 s18, s[0:1], 0x0
	v_mad_u32 v7, s19, v4, v7
	v_lshlrev_b32_e32 v4, 2, v4
	s_wait_xcnt 0x0
	s_load_b64 s[0:1], s[0:1], 0x58
	s_wait_kmcnt 0x0
	v_lshl_add_u64 v[8:9], v[8:9], 2, s[12:13]
	v_lshl_add_u64 v[10:11], v[10:11], 2, s[12:13]
	s_cmp_eq_u32 s18, 0
	s_delay_alu instid0(VALU_DEP_4) | instskip(SKIP_4) | instid1(VALU_DEP_1)
	v_mul_u64_e32 v[6:7], s[2:3], v[6:7]
	s_cselect_b32 vcc_lo, -1, 0
	v_add_nc_u64_e32 v[8:9], v[8:9], v[4:5]
	v_lshlrev_b32_e32 v4, 2, v2
	s_mov_b32 s12, s5
	v_add_nc_u64_e32 v[10:11], v[10:11], v[4:5]
	s_delay_alu instid0(VALU_DEP_1) | instskip(SKIP_4) | instid1(VALU_DEP_2)
	v_dual_cndmask_b32 v9, v9, v11 :: v_dual_cndmask_b32 v8, v8, v10
	v_lshl_add_u64 v[14:15], v[6:7], 2, v[4:5]
	v_lshlrev_b32_e32 v4, 3, v2
	v_add_nc_u64_e32 v[2:3], s[6:7], v[2:3]
	s_lshl_b64 s[6:7], s[2:3], 6
	v_lshl_add_u64 v[10:11], v[6:7], 3, v[4:5]
	v_lshl_add_u64 v[4:5], v[12:13], 2, v[8:9]
	v_add_nc_u64_e32 v[6:7], s[16:17], v[14:15]
	s_delay_alu instid0(VALU_DEP_3)
	v_add_nc_u64_e32 v[8:9], s[0:1], v[10:11]
	v_lshl_add_u64 v[10:11], v[0:1], 3, s[14:15]
	s_lshl_b64 s[0:1], s[10:11], 6
	s_lshl_b64 s[10:11], s[2:3], 7
.LBB46_5:                               ; =>This Inner Loop Header: Depth=1
	global_load_b64 v[12:13], v[10:11], off
	global_load_b32 v16, v[4:5], off
	v_add_nc_u64_e32 v[0:1], 16, v[0:1]
	s_wait_xcnt 0x0
	v_add_nc_u64_e32 v[4:5], s[0:1], v[4:5]
	v_add_nc_u64_e32 v[10:11], 0x80, v[10:11]
	s_delay_alu instid0(VALU_DEP_3)
	v_cmp_le_i64_e32 vcc_lo, s[8:9], v[0:1]
	s_or_b32 s12, vcc_lo, s12
	s_wait_loadcnt 0x1
	v_sub_nc_u64_e64 v[12:13], v[12:13], s[4:5]
	s_wait_loadcnt 0x0
	global_store_b32 v[6:7], v16, off
	s_wait_xcnt 0x0
	v_add_nc_u64_e32 v[6:7], s[6:7], v[6:7]
	v_mad_nc_u64_u32 v[14:15], v12, s2, v[2:3]
	s_delay_alu instid0(VALU_DEP_1) | instskip(NEXT) | instid1(VALU_DEP_1)
	v_mad_u32 v13, v13, s2, v15
	v_mad_u32 v15, v12, s3, v13
	global_store_b64 v[8:9], v[14:15], off
	s_wait_xcnt 0x0
	v_add_nc_u64_e32 v[8:9], s[10:11], v[8:9]
	s_and_not1_b32 exec_lo, exec_lo, s12
	s_cbranch_execnz .LBB46_5
.LBB46_6:
	s_endpgm
	.section	.rodata,"a",@progbits
	.p2align	6, 0x0
	.amdhsa_kernel _ZN9rocsparseL33bsr2csr_block_per_row_8_32_kernelILj1024ELj8EillEEv20rocsparse_direction_T3_S2_21rocsparse_index_base_PKT1_PKT2_PKS2_S2_S3_PS4_PS7_PS2_
		.amdhsa_group_segment_fixed_size 0
		.amdhsa_private_segment_fixed_size 0
		.amdhsa_kernarg_size 96
		.amdhsa_user_sgpr_count 2
		.amdhsa_user_sgpr_dispatch_ptr 0
		.amdhsa_user_sgpr_queue_ptr 0
		.amdhsa_user_sgpr_kernarg_segment_ptr 1
		.amdhsa_user_sgpr_dispatch_id 0
		.amdhsa_user_sgpr_kernarg_preload_length 0
		.amdhsa_user_sgpr_kernarg_preload_offset 0
		.amdhsa_user_sgpr_private_segment_size 0
		.amdhsa_wavefront_size32 1
		.amdhsa_uses_dynamic_stack 0
		.amdhsa_enable_private_segment 0
		.amdhsa_system_sgpr_workgroup_id_x 1
		.amdhsa_system_sgpr_workgroup_id_y 0
		.amdhsa_system_sgpr_workgroup_id_z 0
		.amdhsa_system_sgpr_workgroup_info 0
		.amdhsa_system_vgpr_workitem_id 0
		.amdhsa_next_free_vgpr 17
		.amdhsa_next_free_sgpr 26
		.amdhsa_named_barrier_count 0
		.amdhsa_reserve_vcc 1
		.amdhsa_float_round_mode_32 0
		.amdhsa_float_round_mode_16_64 0
		.amdhsa_float_denorm_mode_32 3
		.amdhsa_float_denorm_mode_16_64 3
		.amdhsa_fp16_overflow 0
		.amdhsa_memory_ordered 1
		.amdhsa_forward_progress 1
		.amdhsa_inst_pref_size 6
		.amdhsa_round_robin_scheduling 0
		.amdhsa_exception_fp_ieee_invalid_op 0
		.amdhsa_exception_fp_denorm_src 0
		.amdhsa_exception_fp_ieee_div_zero 0
		.amdhsa_exception_fp_ieee_overflow 0
		.amdhsa_exception_fp_ieee_underflow 0
		.amdhsa_exception_fp_ieee_inexact 0
		.amdhsa_exception_int_div_zero 0
	.end_amdhsa_kernel
	.section	.text._ZN9rocsparseL33bsr2csr_block_per_row_8_32_kernelILj1024ELj8EillEEv20rocsparse_direction_T3_S2_21rocsparse_index_base_PKT1_PKT2_PKS2_S2_S3_PS4_PS7_PS2_,"axG",@progbits,_ZN9rocsparseL33bsr2csr_block_per_row_8_32_kernelILj1024ELj8EillEEv20rocsparse_direction_T3_S2_21rocsparse_index_base_PKT1_PKT2_PKS2_S2_S3_PS4_PS7_PS2_,comdat
.Lfunc_end46:
	.size	_ZN9rocsparseL33bsr2csr_block_per_row_8_32_kernelILj1024ELj8EillEEv20rocsparse_direction_T3_S2_21rocsparse_index_base_PKT1_PKT2_PKS2_S2_S3_PS4_PS7_PS2_, .Lfunc_end46-_ZN9rocsparseL33bsr2csr_block_per_row_8_32_kernelILj1024ELj8EillEEv20rocsparse_direction_T3_S2_21rocsparse_index_base_PKT1_PKT2_PKS2_S2_S3_PS4_PS7_PS2_
                                        ; -- End function
	.set _ZN9rocsparseL33bsr2csr_block_per_row_8_32_kernelILj1024ELj8EillEEv20rocsparse_direction_T3_S2_21rocsparse_index_base_PKT1_PKT2_PKS2_S2_S3_PS4_PS7_PS2_.num_vgpr, 17
	.set _ZN9rocsparseL33bsr2csr_block_per_row_8_32_kernelILj1024ELj8EillEEv20rocsparse_direction_T3_S2_21rocsparse_index_base_PKT1_PKT2_PKS2_S2_S3_PS4_PS7_PS2_.num_agpr, 0
	.set _ZN9rocsparseL33bsr2csr_block_per_row_8_32_kernelILj1024ELj8EillEEv20rocsparse_direction_T3_S2_21rocsparse_index_base_PKT1_PKT2_PKS2_S2_S3_PS4_PS7_PS2_.numbered_sgpr, 26
	.set _ZN9rocsparseL33bsr2csr_block_per_row_8_32_kernelILj1024ELj8EillEEv20rocsparse_direction_T3_S2_21rocsparse_index_base_PKT1_PKT2_PKS2_S2_S3_PS4_PS7_PS2_.num_named_barrier, 0
	.set _ZN9rocsparseL33bsr2csr_block_per_row_8_32_kernelILj1024ELj8EillEEv20rocsparse_direction_T3_S2_21rocsparse_index_base_PKT1_PKT2_PKS2_S2_S3_PS4_PS7_PS2_.private_seg_size, 0
	.set _ZN9rocsparseL33bsr2csr_block_per_row_8_32_kernelILj1024ELj8EillEEv20rocsparse_direction_T3_S2_21rocsparse_index_base_PKT1_PKT2_PKS2_S2_S3_PS4_PS7_PS2_.uses_vcc, 1
	.set _ZN9rocsparseL33bsr2csr_block_per_row_8_32_kernelILj1024ELj8EillEEv20rocsparse_direction_T3_S2_21rocsparse_index_base_PKT1_PKT2_PKS2_S2_S3_PS4_PS7_PS2_.uses_flat_scratch, 0
	.set _ZN9rocsparseL33bsr2csr_block_per_row_8_32_kernelILj1024ELj8EillEEv20rocsparse_direction_T3_S2_21rocsparse_index_base_PKT1_PKT2_PKS2_S2_S3_PS4_PS7_PS2_.has_dyn_sized_stack, 0
	.set _ZN9rocsparseL33bsr2csr_block_per_row_8_32_kernelILj1024ELj8EillEEv20rocsparse_direction_T3_S2_21rocsparse_index_base_PKT1_PKT2_PKS2_S2_S3_PS4_PS7_PS2_.has_recursion, 0
	.set _ZN9rocsparseL33bsr2csr_block_per_row_8_32_kernelILj1024ELj8EillEEv20rocsparse_direction_T3_S2_21rocsparse_index_base_PKT1_PKT2_PKS2_S2_S3_PS4_PS7_PS2_.has_indirect_call, 0
	.section	.AMDGPU.csdata,"",@progbits
; Kernel info:
; codeLenInByte = 736
; TotalNumSgprs: 28
; NumVgprs: 17
; ScratchSize: 0
; MemoryBound: 0
; FloatMode: 240
; IeeeMode: 1
; LDSByteSize: 0 bytes/workgroup (compile time only)
; SGPRBlocks: 0
; VGPRBlocks: 1
; NumSGPRsForWavesPerEU: 28
; NumVGPRsForWavesPerEU: 17
; NamedBarCnt: 0
; Occupancy: 16
; WaveLimiterHint : 0
; COMPUTE_PGM_RSRC2:SCRATCH_EN: 0
; COMPUTE_PGM_RSRC2:USER_SGPR: 2
; COMPUTE_PGM_RSRC2:TRAP_HANDLER: 0
; COMPUTE_PGM_RSRC2:TGID_X_EN: 1
; COMPUTE_PGM_RSRC2:TGID_Y_EN: 0
; COMPUTE_PGM_RSRC2:TGID_Z_EN: 0
; COMPUTE_PGM_RSRC2:TIDIG_COMP_CNT: 0
	.section	.text._ZN9rocsparseL33bsr2csr_block_per_row_8_32_kernelILj1024ELj16EillEEv20rocsparse_direction_T3_S2_21rocsparse_index_base_PKT1_PKT2_PKS2_S2_S3_PS4_PS7_PS2_,"axG",@progbits,_ZN9rocsparseL33bsr2csr_block_per_row_8_32_kernelILj1024ELj16EillEEv20rocsparse_direction_T3_S2_21rocsparse_index_base_PKT1_PKT2_PKS2_S2_S3_PS4_PS7_PS2_,comdat
	.globl	_ZN9rocsparseL33bsr2csr_block_per_row_8_32_kernelILj1024ELj16EillEEv20rocsparse_direction_T3_S2_21rocsparse_index_base_PKT1_PKT2_PKS2_S2_S3_PS4_PS7_PS2_ ; -- Begin function _ZN9rocsparseL33bsr2csr_block_per_row_8_32_kernelILj1024ELj16EillEEv20rocsparse_direction_T3_S2_21rocsparse_index_base_PKT1_PKT2_PKS2_S2_S3_PS4_PS7_PS2_
	.p2align	8
	.type	_ZN9rocsparseL33bsr2csr_block_per_row_8_32_kernelILj1024ELj16EillEEv20rocsparse_direction_T3_S2_21rocsparse_index_base_PKT1_PKT2_PKS2_S2_S3_PS4_PS7_PS2_,@function
_ZN9rocsparseL33bsr2csr_block_per_row_8_32_kernelILj1024ELj16EillEEv20rocsparse_direction_T3_S2_21rocsparse_index_base_PKT1_PKT2_PKS2_S2_S3_PS4_PS7_PS2_: ; @_ZN9rocsparseL33bsr2csr_block_per_row_8_32_kernelILj1024ELj16EillEEv20rocsparse_direction_T3_S2_21rocsparse_index_base_PKT1_PKT2_PKS2_S2_S3_PS4_PS7_PS2_
; %bb.0:
	s_clause 0x1
	s_load_b32 s6, s[0:1], 0x40
	s_load_b64 s[12:13], s[0:1], 0x50
	s_bfe_u32 s2, ttmp6, 0x4000c
	s_and_b32 s3, ttmp6, 15
	s_add_co_i32 s2, s2, 1
	s_getreg_b32 s4, hwreg(HW_REG_IB_STS2, 6, 4)
	s_mul_i32 s2, ttmp9, s2
	s_mov_b32 s15, 0
	s_add_co_i32 s3, s3, s2
	s_cmp_eq_u32 s4, 0
	s_mov_b32 s2, exec_lo
	s_cselect_b32 s14, ttmp9, s3
	s_delay_alu instid0(SALU_CYCLE_1) | instskip(NEXT) | instid1(VALU_DEP_1)
	v_or_b32_e32 v1, s14, v0
	v_cmpx_eq_u32_e32 0, v1
	s_cbranch_execz .LBB47_2
; %bb.1:
	s_wait_kmcnt 0x0
	v_dual_mov_b32 v2, s6 :: v_dual_mov_b32 v3, 0
	global_store_b64 v3, v[2:3], s[12:13]
.LBB47_2:
	s_wait_xcnt 0x0
	s_or_b32 exec_lo, exec_lo, s2
	v_dual_mov_b32 v3, 0 :: v_dual_bitop2_b32 v2, 15, v0 bitop3:0x40
	v_bfe_u32 v4, v0, 4, 4
	s_load_b64 s[2:3], s[0:1], 0x38
	s_mov_b32 s4, exec_lo
	s_delay_alu instid0(VALU_DEP_2) | instskip(NEXT) | instid1(VALU_DEP_1)
	v_mov_b32_e32 v5, v3
	v_max_i64 v[6:7], v[4:5], v[2:3]
	s_wait_kmcnt 0x0
	s_delay_alu instid0(VALU_DEP_1)
	v_cmpx_gt_i64_e64 s[2:3], v[6:7]
	s_cbranch_execz .LBB47_6
; %bb.3:
	s_clause 0x1
	s_load_b64 s[8:9], s[0:1], 0x28
	s_load_b32 s4, s[0:1], 0x18
	s_lshl_b64 s[10:11], s[14:15], 3
	s_mov_b32 s5, 0
	v_dual_mov_b32 v7, v3 :: v_dual_lshrrev_b32 v6, 8, v0
	s_mov_b32 s7, s5
	s_mul_u64 s[14:15], s[2:3], s[14:15]
	s_delay_alu instid0(SALU_CYCLE_1) | instskip(NEXT) | instid1(SALU_CYCLE_1)
	s_lshl_b64 s[14:15], s[14:15], 3
	s_add_nc_u64 s[12:13], s[12:13], s[14:15]
	s_wait_kmcnt 0x0
	s_add_nc_u64 s[16:17], s[8:9], s[10:11]
	s_load_b128 s[8:11], s[16:17], 0x0
	s_wait_kmcnt 0x0
	s_sub_nc_u64 s[16:17], s[8:9], s[4:5]
	s_sub_nc_u64 s[8:9], s[10:11], s[4:5]
	s_mul_u64 s[10:11], s[2:3], s[2:3]
	s_sub_nc_u64 s[18:19], s[8:9], s[16:17]
	s_mul_u64 s[22:23], s[16:17], s[10:11]
	s_mul_u64 s[20:21], s[18:19], s[2:3]
	v_add_nc_u64_e32 v[0:1], s[16:17], v[6:7]
	s_add_nc_u64 s[24:25], s[20:21], s[6:7]
	s_delay_alu instid0(SALU_CYCLE_1) | instskip(NEXT) | instid1(SALU_CYCLE_1)
	s_add_nc_u64 s[22:23], s[24:25], s[22:23]
	v_mad_nc_u64_u32 v[8:9], s20, v4, s[22:23]
	s_delay_alu instid0(VALU_DEP_2) | instskip(NEXT) | instid1(VALU_DEP_2)
	v_cmp_gt_i64_e32 vcc_lo, s[8:9], v[0:1]
	v_mad_u32 v9, s21, v4, v9
	global_store_b64 v4, v[8:9], s[12:13] offset:8 scale_offset
	s_wait_xcnt 0x0
	s_and_b32 exec_lo, exec_lo, vcc_lo
	s_cbranch_execz .LBB47_6
; %bb.4:
	v_mad_nc_u64_u32 v[6:7], s2, s16, v[6:7]
	s_mul_i32 s12, s3, s16
	s_mul_i32 s13, s2, s17
	v_mul_u64_e32 v[8:9], s[2:3], v[2:3]
	v_mul_u64_e32 v[10:11], s[2:3], v[4:5]
	;; [unrolled: 1-line block ×3, first 2 shown]
	v_mov_b32_e32 v5, 0
	v_add3_u32 v7, s13, s12, v7
	s_load_b64 s[12:13], s[0:1], 0x20
	s_delay_alu instid0(VALU_DEP_1) | instskip(SKIP_4) | instid1(VALU_DEP_1)
	v_mad_nc_u64_u32 v[6:7], s18, v4, v[6:7]
	s_clause 0x2
	s_load_b64 s[14:15], s[0:1], 0x30
	s_load_b64 s[16:17], s[0:1], 0x48
	s_load_b32 s18, s[0:1], 0x0
	v_mad_u32 v7, s19, v4, v7
	v_lshlrev_b32_e32 v4, 2, v4
	s_wait_xcnt 0x0
	s_load_b64 s[0:1], s[0:1], 0x58
	s_wait_kmcnt 0x0
	v_lshl_add_u64 v[8:9], v[8:9], 2, s[12:13]
	v_lshl_add_u64 v[10:11], v[10:11], 2, s[12:13]
	s_cmp_eq_u32 s18, 0
	s_delay_alu instid0(VALU_DEP_4) | instskip(SKIP_4) | instid1(VALU_DEP_1)
	v_mul_u64_e32 v[6:7], s[2:3], v[6:7]
	s_cselect_b32 vcc_lo, -1, 0
	v_add_nc_u64_e32 v[8:9], v[8:9], v[4:5]
	v_lshlrev_b32_e32 v4, 2, v2
	s_mov_b32 s12, s5
	v_add_nc_u64_e32 v[10:11], v[10:11], v[4:5]
	s_delay_alu instid0(VALU_DEP_1) | instskip(SKIP_4) | instid1(VALU_DEP_2)
	v_dual_cndmask_b32 v9, v9, v11 :: v_dual_cndmask_b32 v8, v8, v10
	v_lshl_add_u64 v[14:15], v[6:7], 2, v[4:5]
	v_lshlrev_b32_e32 v4, 3, v2
	v_add_nc_u64_e32 v[2:3], s[6:7], v[2:3]
	s_lshl_b64 s[6:7], s[2:3], 4
	v_lshl_add_u64 v[10:11], v[6:7], 3, v[4:5]
	v_lshl_add_u64 v[4:5], v[12:13], 2, v[8:9]
	v_add_nc_u64_e32 v[6:7], s[16:17], v[14:15]
	s_delay_alu instid0(VALU_DEP_3)
	v_add_nc_u64_e32 v[8:9], s[0:1], v[10:11]
	v_lshl_add_u64 v[10:11], v[0:1], 3, s[14:15]
	s_lshl_b64 s[0:1], s[10:11], 4
	s_lshl_b64 s[10:11], s[2:3], 5
.LBB47_5:                               ; =>This Inner Loop Header: Depth=1
	global_load_b64 v[12:13], v[10:11], off
	global_load_b32 v16, v[4:5], off
	v_add_nc_u64_e32 v[0:1], 4, v[0:1]
	s_wait_xcnt 0x0
	v_add_nc_u64_e32 v[4:5], s[0:1], v[4:5]
	v_add_nc_u64_e32 v[10:11], 32, v[10:11]
	s_delay_alu instid0(VALU_DEP_3)
	v_cmp_le_i64_e32 vcc_lo, s[8:9], v[0:1]
	s_or_b32 s12, vcc_lo, s12
	s_wait_loadcnt 0x1
	v_sub_nc_u64_e64 v[12:13], v[12:13], s[4:5]
	s_wait_loadcnt 0x0
	global_store_b32 v[6:7], v16, off
	s_wait_xcnt 0x0
	v_add_nc_u64_e32 v[6:7], s[6:7], v[6:7]
	v_mad_nc_u64_u32 v[14:15], v12, s2, v[2:3]
	s_delay_alu instid0(VALU_DEP_1) | instskip(NEXT) | instid1(VALU_DEP_1)
	v_mad_u32 v13, v13, s2, v15
	v_mad_u32 v15, v12, s3, v13
	global_store_b64 v[8:9], v[14:15], off
	s_wait_xcnt 0x0
	v_add_nc_u64_e32 v[8:9], s[10:11], v[8:9]
	s_and_not1_b32 exec_lo, exec_lo, s12
	s_cbranch_execnz .LBB47_5
.LBB47_6:
	s_endpgm
	.section	.rodata,"a",@progbits
	.p2align	6, 0x0
	.amdhsa_kernel _ZN9rocsparseL33bsr2csr_block_per_row_8_32_kernelILj1024ELj16EillEEv20rocsparse_direction_T3_S2_21rocsparse_index_base_PKT1_PKT2_PKS2_S2_S3_PS4_PS7_PS2_
		.amdhsa_group_segment_fixed_size 0
		.amdhsa_private_segment_fixed_size 0
		.amdhsa_kernarg_size 96
		.amdhsa_user_sgpr_count 2
		.amdhsa_user_sgpr_dispatch_ptr 0
		.amdhsa_user_sgpr_queue_ptr 0
		.amdhsa_user_sgpr_kernarg_segment_ptr 1
		.amdhsa_user_sgpr_dispatch_id 0
		.amdhsa_user_sgpr_kernarg_preload_length 0
		.amdhsa_user_sgpr_kernarg_preload_offset 0
		.amdhsa_user_sgpr_private_segment_size 0
		.amdhsa_wavefront_size32 1
		.amdhsa_uses_dynamic_stack 0
		.amdhsa_enable_private_segment 0
		.amdhsa_system_sgpr_workgroup_id_x 1
		.amdhsa_system_sgpr_workgroup_id_y 0
		.amdhsa_system_sgpr_workgroup_id_z 0
		.amdhsa_system_sgpr_workgroup_info 0
		.amdhsa_system_vgpr_workitem_id 0
		.amdhsa_next_free_vgpr 17
		.amdhsa_next_free_sgpr 26
		.amdhsa_named_barrier_count 0
		.amdhsa_reserve_vcc 1
		.amdhsa_float_round_mode_32 0
		.amdhsa_float_round_mode_16_64 0
		.amdhsa_float_denorm_mode_32 3
		.amdhsa_float_denorm_mode_16_64 3
		.amdhsa_fp16_overflow 0
		.amdhsa_memory_ordered 1
		.amdhsa_forward_progress 1
		.amdhsa_inst_pref_size 6
		.amdhsa_round_robin_scheduling 0
		.amdhsa_exception_fp_ieee_invalid_op 0
		.amdhsa_exception_fp_denorm_src 0
		.amdhsa_exception_fp_ieee_div_zero 0
		.amdhsa_exception_fp_ieee_overflow 0
		.amdhsa_exception_fp_ieee_underflow 0
		.amdhsa_exception_fp_ieee_inexact 0
		.amdhsa_exception_int_div_zero 0
	.end_amdhsa_kernel
	.section	.text._ZN9rocsparseL33bsr2csr_block_per_row_8_32_kernelILj1024ELj16EillEEv20rocsparse_direction_T3_S2_21rocsparse_index_base_PKT1_PKT2_PKS2_S2_S3_PS4_PS7_PS2_,"axG",@progbits,_ZN9rocsparseL33bsr2csr_block_per_row_8_32_kernelILj1024ELj16EillEEv20rocsparse_direction_T3_S2_21rocsparse_index_base_PKT1_PKT2_PKS2_S2_S3_PS4_PS7_PS2_,comdat
.Lfunc_end47:
	.size	_ZN9rocsparseL33bsr2csr_block_per_row_8_32_kernelILj1024ELj16EillEEv20rocsparse_direction_T3_S2_21rocsparse_index_base_PKT1_PKT2_PKS2_S2_S3_PS4_PS7_PS2_, .Lfunc_end47-_ZN9rocsparseL33bsr2csr_block_per_row_8_32_kernelILj1024ELj16EillEEv20rocsparse_direction_T3_S2_21rocsparse_index_base_PKT1_PKT2_PKS2_S2_S3_PS4_PS7_PS2_
                                        ; -- End function
	.set _ZN9rocsparseL33bsr2csr_block_per_row_8_32_kernelILj1024ELj16EillEEv20rocsparse_direction_T3_S2_21rocsparse_index_base_PKT1_PKT2_PKS2_S2_S3_PS4_PS7_PS2_.num_vgpr, 17
	.set _ZN9rocsparseL33bsr2csr_block_per_row_8_32_kernelILj1024ELj16EillEEv20rocsparse_direction_T3_S2_21rocsparse_index_base_PKT1_PKT2_PKS2_S2_S3_PS4_PS7_PS2_.num_agpr, 0
	.set _ZN9rocsparseL33bsr2csr_block_per_row_8_32_kernelILj1024ELj16EillEEv20rocsparse_direction_T3_S2_21rocsparse_index_base_PKT1_PKT2_PKS2_S2_S3_PS4_PS7_PS2_.numbered_sgpr, 26
	.set _ZN9rocsparseL33bsr2csr_block_per_row_8_32_kernelILj1024ELj16EillEEv20rocsparse_direction_T3_S2_21rocsparse_index_base_PKT1_PKT2_PKS2_S2_S3_PS4_PS7_PS2_.num_named_barrier, 0
	.set _ZN9rocsparseL33bsr2csr_block_per_row_8_32_kernelILj1024ELj16EillEEv20rocsparse_direction_T3_S2_21rocsparse_index_base_PKT1_PKT2_PKS2_S2_S3_PS4_PS7_PS2_.private_seg_size, 0
	.set _ZN9rocsparseL33bsr2csr_block_per_row_8_32_kernelILj1024ELj16EillEEv20rocsparse_direction_T3_S2_21rocsparse_index_base_PKT1_PKT2_PKS2_S2_S3_PS4_PS7_PS2_.uses_vcc, 1
	.set _ZN9rocsparseL33bsr2csr_block_per_row_8_32_kernelILj1024ELj16EillEEv20rocsparse_direction_T3_S2_21rocsparse_index_base_PKT1_PKT2_PKS2_S2_S3_PS4_PS7_PS2_.uses_flat_scratch, 0
	.set _ZN9rocsparseL33bsr2csr_block_per_row_8_32_kernelILj1024ELj16EillEEv20rocsparse_direction_T3_S2_21rocsparse_index_base_PKT1_PKT2_PKS2_S2_S3_PS4_PS7_PS2_.has_dyn_sized_stack, 0
	.set _ZN9rocsparseL33bsr2csr_block_per_row_8_32_kernelILj1024ELj16EillEEv20rocsparse_direction_T3_S2_21rocsparse_index_base_PKT1_PKT2_PKS2_S2_S3_PS4_PS7_PS2_.has_recursion, 0
	.set _ZN9rocsparseL33bsr2csr_block_per_row_8_32_kernelILj1024ELj16EillEEv20rocsparse_direction_T3_S2_21rocsparse_index_base_PKT1_PKT2_PKS2_S2_S3_PS4_PS7_PS2_.has_indirect_call, 0
	.section	.AMDGPU.csdata,"",@progbits
; Kernel info:
; codeLenInByte = 732
; TotalNumSgprs: 28
; NumVgprs: 17
; ScratchSize: 0
; MemoryBound: 0
; FloatMode: 240
; IeeeMode: 1
; LDSByteSize: 0 bytes/workgroup (compile time only)
; SGPRBlocks: 0
; VGPRBlocks: 1
; NumSGPRsForWavesPerEU: 28
; NumVGPRsForWavesPerEU: 17
; NamedBarCnt: 0
; Occupancy: 16
; WaveLimiterHint : 0
; COMPUTE_PGM_RSRC2:SCRATCH_EN: 0
; COMPUTE_PGM_RSRC2:USER_SGPR: 2
; COMPUTE_PGM_RSRC2:TRAP_HANDLER: 0
; COMPUTE_PGM_RSRC2:TGID_X_EN: 1
; COMPUTE_PGM_RSRC2:TGID_Y_EN: 0
; COMPUTE_PGM_RSRC2:TGID_Z_EN: 0
; COMPUTE_PGM_RSRC2:TIDIG_COMP_CNT: 0
	.section	.text._ZN9rocsparseL33bsr2csr_block_per_row_8_32_kernelILj1024ELj32EillEEv20rocsparse_direction_T3_S2_21rocsparse_index_base_PKT1_PKT2_PKS2_S2_S3_PS4_PS7_PS2_,"axG",@progbits,_ZN9rocsparseL33bsr2csr_block_per_row_8_32_kernelILj1024ELj32EillEEv20rocsparse_direction_T3_S2_21rocsparse_index_base_PKT1_PKT2_PKS2_S2_S3_PS4_PS7_PS2_,comdat
	.globl	_ZN9rocsparseL33bsr2csr_block_per_row_8_32_kernelILj1024ELj32EillEEv20rocsparse_direction_T3_S2_21rocsparse_index_base_PKT1_PKT2_PKS2_S2_S3_PS4_PS7_PS2_ ; -- Begin function _ZN9rocsparseL33bsr2csr_block_per_row_8_32_kernelILj1024ELj32EillEEv20rocsparse_direction_T3_S2_21rocsparse_index_base_PKT1_PKT2_PKS2_S2_S3_PS4_PS7_PS2_
	.p2align	8
	.type	_ZN9rocsparseL33bsr2csr_block_per_row_8_32_kernelILj1024ELj32EillEEv20rocsparse_direction_T3_S2_21rocsparse_index_base_PKT1_PKT2_PKS2_S2_S3_PS4_PS7_PS2_,@function
_ZN9rocsparseL33bsr2csr_block_per_row_8_32_kernelILj1024ELj32EillEEv20rocsparse_direction_T3_S2_21rocsparse_index_base_PKT1_PKT2_PKS2_S2_S3_PS4_PS7_PS2_: ; @_ZN9rocsparseL33bsr2csr_block_per_row_8_32_kernelILj1024ELj32EillEEv20rocsparse_direction_T3_S2_21rocsparse_index_base_PKT1_PKT2_PKS2_S2_S3_PS4_PS7_PS2_
; %bb.0:
	s_clause 0x1
	s_load_b32 s14, s[0:1], 0x40
	s_load_b64 s[18:19], s[0:1], 0x50
	s_bfe_u32 s2, ttmp6, 0x4000c
	s_and_b32 s3, ttmp6, 15
	s_add_co_i32 s2, s2, 1
	s_getreg_b32 s4, hwreg(HW_REG_IB_STS2, 6, 4)
	s_mul_i32 s2, ttmp9, s2
	s_mov_b32 s23, 0
	s_add_co_i32 s3, s3, s2
	s_cmp_eq_u32 s4, 0
	s_mov_b32 s2, exec_lo
	s_cselect_b32 s22, ttmp9, s3
	s_delay_alu instid0(SALU_CYCLE_1) | instskip(NEXT) | instid1(VALU_DEP_1)
	v_or_b32_e32 v1, s22, v0
	v_cmpx_eq_u32_e32 0, v1
	s_cbranch_execz .LBB48_2
; %bb.1:
	s_wait_kmcnt 0x0
	v_dual_mov_b32 v2, s14 :: v_dual_mov_b32 v3, 0
	global_store_b64 v3, v[2:3], s[18:19]
.LBB48_2:
	s_wait_xcnt 0x0
	s_or_b32 exec_lo, exec_lo, s2
	v_dual_mov_b32 v3, 0 :: v_dual_bitop2_b32 v2, 31, v0 bitop3:0x40
	v_lshrrev_b32_e32 v0, 5, v0
	s_load_b64 s[2:3], s[0:1], 0x38
	s_mov_b32 s4, exec_lo
	s_delay_alu instid0(VALU_DEP_2) | instskip(NEXT) | instid1(VALU_DEP_1)
	v_mov_b32_e32 v1, v3
	v_max_i64 v[4:5], v[0:1], v[2:3]
	s_wait_kmcnt 0x0
	s_delay_alu instid0(VALU_DEP_1)
	v_cmpx_gt_i64_e64 s[2:3], v[4:5]
	s_cbranch_execz .LBB48_6
; %bb.3:
	s_clause 0x1
	s_load_b64 s[4:5], s[0:1], 0x28
	s_load_b32 s8, s[0:1], 0x18
	s_lshl_b64 s[6:7], s[22:23], 3
	s_mov_b32 s9, 0
	s_mul_u64 s[16:17], s[2:3], s[2:3]
	s_mov_b32 s15, s9
	s_wait_kmcnt 0x0
	s_add_nc_u64 s[10:11], s[4:5], s[6:7]
	s_load_b128 s[4:7], s[10:11], 0x0
	s_wait_kmcnt 0x0
	s_sub_nc_u64 s[10:11], s[4:5], s[8:9]
	s_sub_nc_u64 s[12:13], s[6:7], s[8:9]
	s_mul_u64 s[20:21], s[10:11], s[16:17]
	s_sub_nc_u64 s[24:25], s[12:13], s[10:11]
	s_delay_alu instid0(SALU_CYCLE_1) | instskip(NEXT) | instid1(SALU_CYCLE_1)
	s_mul_u64 s[26:27], s[24:25], s[2:3]
	s_add_nc_u64 s[28:29], s[26:27], s[14:15]
	s_delay_alu instid0(SALU_CYCLE_1) | instskip(NEXT) | instid1(SALU_CYCLE_1)
	s_add_nc_u64 s[28:29], s[28:29], s[20:21]
	v_mad_nc_u64_u32 v[4:5], s26, v0, s[28:29]
	v_cmp_ge_i64_e64 s26, s[4:5], s[6:7]
	s_mul_u64 s[6:7], s[2:3], s[22:23]
	s_delay_alu instid0(SALU_CYCLE_1) | instskip(NEXT) | instid1(SALU_CYCLE_1)
	s_lshl_b64 s[6:7], s[6:7], 3
	s_add_nc_u64 s[6:7], s[18:19], s[6:7]
	s_and_b32 vcc_lo, exec_lo, s26
	v_mad_u32 v5, s27, v0, v5
	global_store_b64 v0, v[4:5], s[6:7] offset:8 scale_offset
	s_cbranch_vccnz .LBB48_6
; %bb.4:
	s_wait_xcnt 0x0
	s_mul_u64 s[6:7], s[2:3], s[10:11]
	v_mul_u64_e32 v[6:7], s[2:3], v[2:3]
	v_mad_nc_u64_u32 v[4:5], v0, s24, s[6:7]
	v_mul_u64_e32 v[8:9], s[2:3], v[0:1]
	s_clause 0x3
	s_load_b64 s[6:7], s[0:1], 0x20
	s_load_b64 s[18:19], s[0:1], 0x30
	s_load_b64 s[22:23], s[0:1], 0x48
	s_load_b32 s26, s[0:1], 0x0
	v_mov_b32_e32 v1, 0
	s_delay_alu instid0(VALU_DEP_3) | instskip(SKIP_2) | instid1(VALU_DEP_2)
	v_mad_u32 v5, v0, s25, v5
	v_lshlrev_b32_e32 v0, 2, v0
	s_load_b64 s[24:25], s[0:1], 0x58
	v_mul_u64_e32 v[4:5], s[2:3], v[4:5]
	s_wait_kmcnt 0x0
	s_cmp_eq_u32 s26, 0
	s_cselect_b32 vcc_lo, -1, 0
	s_lshl_b64 s[0:1], s[16:17], 2
	v_lshl_add_u64 v[6:7], v[6:7], 2, s[6:7]
	v_lshl_add_u64 v[8:9], v[8:9], 2, s[6:7]
	s_lshl_b64 s[6:7], s[4:5], 3
	s_lshl_b64 s[4:5], s[2:3], 2
	s_delay_alu instid0(VALU_DEP_2) | instskip(SKIP_1) | instid1(VALU_DEP_1)
	v_add_nc_u64_e32 v[6:7], v[6:7], v[0:1]
	v_lshlrev_b32_e32 v0, 2, v2
	v_add_nc_u64_e32 v[8:9], v[8:9], v[0:1]
	s_delay_alu instid0(VALU_DEP_1) | instskip(SKIP_2) | instid1(VALU_DEP_1)
	v_dual_cndmask_b32 v7, v7, v9 :: v_dual_cndmask_b32 v6, v6, v8
	v_lshl_add_u64 v[10:11], v[4:5], 2, v[0:1]
	v_lshlrev_b32_e32 v0, 3, v2
	v_lshl_add_u64 v[8:9], v[4:5], 3, v[0:1]
	v_add_nc_u64_e32 v[0:1], s[14:15], v[2:3]
	v_lshl_add_u64 v[2:3], s[20:21], 2, v[6:7]
	v_add_nc_u64_e32 v[4:5], s[22:23], v[10:11]
	s_lshl_b64 s[14:15], s[8:9], 3
	v_add_nc_u64_e32 v[6:7], s[24:25], v[8:9]
	s_sub_nc_u64 s[14:15], s[6:7], s[14:15]
	s_lshl_b64 s[6:7], s[2:3], 3
	s_add_nc_u64 s[14:15], s[18:19], s[14:15]
.LBB48_5:                               ; =>This Inner Loop Header: Depth=1
	global_load_b32 v10, v[2:3], off
	s_load_b64 s[16:17], s[14:15], 0x0
	s_add_nc_u64 s[10:11], s[10:11], 1
	v_add_nc_u64_e32 v[2:3], s[0:1], v[2:3]
	v_cmp_lt_i64_e64 s18, s[10:11], s[12:13]
	s_wait_xcnt 0x0
	s_add_nc_u64 s[14:15], s[14:15], 8
	s_and_b32 vcc_lo, exec_lo, s18
	s_wait_kmcnt 0x0
	s_sub_nc_u64 s[16:17], s[16:17], s[8:9]
	s_delay_alu instid0(SALU_CYCLE_1)
	v_mad_nc_u64_u32 v[8:9], s16, s2, v[0:1]
	s_mul_i32 s17, s17, s2
	s_mul_i32 s16, s16, s3
	s_delay_alu instid0(VALU_DEP_1) | instid1(SALU_CYCLE_1)
	v_add3_u32 v9, s16, s17, v9
	global_store_b64 v[6:7], v[8:9], off
	s_wait_xcnt 0x0
	v_add_nc_u64_e32 v[6:7], s[6:7], v[6:7]
	s_wait_loadcnt 0x0
	global_store_b32 v[4:5], v10, off
	s_wait_xcnt 0x0
	v_add_nc_u64_e32 v[4:5], s[4:5], v[4:5]
	s_cbranch_vccnz .LBB48_5
.LBB48_6:
	s_endpgm
	.section	.rodata,"a",@progbits
	.p2align	6, 0x0
	.amdhsa_kernel _ZN9rocsparseL33bsr2csr_block_per_row_8_32_kernelILj1024ELj32EillEEv20rocsparse_direction_T3_S2_21rocsparse_index_base_PKT1_PKT2_PKS2_S2_S3_PS4_PS7_PS2_
		.amdhsa_group_segment_fixed_size 0
		.amdhsa_private_segment_fixed_size 0
		.amdhsa_kernarg_size 96
		.amdhsa_user_sgpr_count 2
		.amdhsa_user_sgpr_dispatch_ptr 0
		.amdhsa_user_sgpr_queue_ptr 0
		.amdhsa_user_sgpr_kernarg_segment_ptr 1
		.amdhsa_user_sgpr_dispatch_id 0
		.amdhsa_user_sgpr_kernarg_preload_length 0
		.amdhsa_user_sgpr_kernarg_preload_offset 0
		.amdhsa_user_sgpr_private_segment_size 0
		.amdhsa_wavefront_size32 1
		.amdhsa_uses_dynamic_stack 0
		.amdhsa_enable_private_segment 0
		.amdhsa_system_sgpr_workgroup_id_x 1
		.amdhsa_system_sgpr_workgroup_id_y 0
		.amdhsa_system_sgpr_workgroup_id_z 0
		.amdhsa_system_sgpr_workgroup_info 0
		.amdhsa_system_vgpr_workitem_id 0
		.amdhsa_next_free_vgpr 12
		.amdhsa_next_free_sgpr 30
		.amdhsa_named_barrier_count 0
		.amdhsa_reserve_vcc 1
		.amdhsa_float_round_mode_32 0
		.amdhsa_float_round_mode_16_64 0
		.amdhsa_float_denorm_mode_32 3
		.amdhsa_float_denorm_mode_16_64 3
		.amdhsa_fp16_overflow 0
		.amdhsa_memory_ordered 1
		.amdhsa_forward_progress 1
		.amdhsa_inst_pref_size 6
		.amdhsa_round_robin_scheduling 0
		.amdhsa_exception_fp_ieee_invalid_op 0
		.amdhsa_exception_fp_denorm_src 0
		.amdhsa_exception_fp_ieee_div_zero 0
		.amdhsa_exception_fp_ieee_overflow 0
		.amdhsa_exception_fp_ieee_underflow 0
		.amdhsa_exception_fp_ieee_inexact 0
		.amdhsa_exception_int_div_zero 0
	.end_amdhsa_kernel
	.section	.text._ZN9rocsparseL33bsr2csr_block_per_row_8_32_kernelILj1024ELj32EillEEv20rocsparse_direction_T3_S2_21rocsparse_index_base_PKT1_PKT2_PKS2_S2_S3_PS4_PS7_PS2_,"axG",@progbits,_ZN9rocsparseL33bsr2csr_block_per_row_8_32_kernelILj1024ELj32EillEEv20rocsparse_direction_T3_S2_21rocsparse_index_base_PKT1_PKT2_PKS2_S2_S3_PS4_PS7_PS2_,comdat
.Lfunc_end48:
	.size	_ZN9rocsparseL33bsr2csr_block_per_row_8_32_kernelILj1024ELj32EillEEv20rocsparse_direction_T3_S2_21rocsparse_index_base_PKT1_PKT2_PKS2_S2_S3_PS4_PS7_PS2_, .Lfunc_end48-_ZN9rocsparseL33bsr2csr_block_per_row_8_32_kernelILj1024ELj32EillEEv20rocsparse_direction_T3_S2_21rocsparse_index_base_PKT1_PKT2_PKS2_S2_S3_PS4_PS7_PS2_
                                        ; -- End function
	.set _ZN9rocsparseL33bsr2csr_block_per_row_8_32_kernelILj1024ELj32EillEEv20rocsparse_direction_T3_S2_21rocsparse_index_base_PKT1_PKT2_PKS2_S2_S3_PS4_PS7_PS2_.num_vgpr, 12
	.set _ZN9rocsparseL33bsr2csr_block_per_row_8_32_kernelILj1024ELj32EillEEv20rocsparse_direction_T3_S2_21rocsparse_index_base_PKT1_PKT2_PKS2_S2_S3_PS4_PS7_PS2_.num_agpr, 0
	.set _ZN9rocsparseL33bsr2csr_block_per_row_8_32_kernelILj1024ELj32EillEEv20rocsparse_direction_T3_S2_21rocsparse_index_base_PKT1_PKT2_PKS2_S2_S3_PS4_PS7_PS2_.numbered_sgpr, 30
	.set _ZN9rocsparseL33bsr2csr_block_per_row_8_32_kernelILj1024ELj32EillEEv20rocsparse_direction_T3_S2_21rocsparse_index_base_PKT1_PKT2_PKS2_S2_S3_PS4_PS7_PS2_.num_named_barrier, 0
	.set _ZN9rocsparseL33bsr2csr_block_per_row_8_32_kernelILj1024ELj32EillEEv20rocsparse_direction_T3_S2_21rocsparse_index_base_PKT1_PKT2_PKS2_S2_S3_PS4_PS7_PS2_.private_seg_size, 0
	.set _ZN9rocsparseL33bsr2csr_block_per_row_8_32_kernelILj1024ELj32EillEEv20rocsparse_direction_T3_S2_21rocsparse_index_base_PKT1_PKT2_PKS2_S2_S3_PS4_PS7_PS2_.uses_vcc, 1
	.set _ZN9rocsparseL33bsr2csr_block_per_row_8_32_kernelILj1024ELj32EillEEv20rocsparse_direction_T3_S2_21rocsparse_index_base_PKT1_PKT2_PKS2_S2_S3_PS4_PS7_PS2_.uses_flat_scratch, 0
	.set _ZN9rocsparseL33bsr2csr_block_per_row_8_32_kernelILj1024ELj32EillEEv20rocsparse_direction_T3_S2_21rocsparse_index_base_PKT1_PKT2_PKS2_S2_S3_PS4_PS7_PS2_.has_dyn_sized_stack, 0
	.set _ZN9rocsparseL33bsr2csr_block_per_row_8_32_kernelILj1024ELj32EillEEv20rocsparse_direction_T3_S2_21rocsparse_index_base_PKT1_PKT2_PKS2_S2_S3_PS4_PS7_PS2_.has_recursion, 0
	.set _ZN9rocsparseL33bsr2csr_block_per_row_8_32_kernelILj1024ELj32EillEEv20rocsparse_direction_T3_S2_21rocsparse_index_base_PKT1_PKT2_PKS2_S2_S3_PS4_PS7_PS2_.has_indirect_call, 0
	.section	.AMDGPU.csdata,"",@progbits
; Kernel info:
; codeLenInByte = 684
; TotalNumSgprs: 32
; NumVgprs: 12
; ScratchSize: 0
; MemoryBound: 0
; FloatMode: 240
; IeeeMode: 1
; LDSByteSize: 0 bytes/workgroup (compile time only)
; SGPRBlocks: 0
; VGPRBlocks: 0
; NumSGPRsForWavesPerEU: 32
; NumVGPRsForWavesPerEU: 12
; NamedBarCnt: 0
; Occupancy: 16
; WaveLimiterHint : 0
; COMPUTE_PGM_RSRC2:SCRATCH_EN: 0
; COMPUTE_PGM_RSRC2:USER_SGPR: 2
; COMPUTE_PGM_RSRC2:TRAP_HANDLER: 0
; COMPUTE_PGM_RSRC2:TGID_X_EN: 1
; COMPUTE_PGM_RSRC2:TGID_Y_EN: 0
; COMPUTE_PGM_RSRC2:TGID_Z_EN: 0
; COMPUTE_PGM_RSRC2:TIDIG_COMP_CNT: 0
	.section	.text._ZN9rocsparseL35bsr2csr_block_per_row_33_256_kernelILj1024ELj64ELj32EillEEv20rocsparse_direction_T4_S2_21rocsparse_index_base_PKT2_PKT3_PKS2_S2_S3_PS4_PS7_PS2_,"axG",@progbits,_ZN9rocsparseL35bsr2csr_block_per_row_33_256_kernelILj1024ELj64ELj32EillEEv20rocsparse_direction_T4_S2_21rocsparse_index_base_PKT2_PKT3_PKS2_S2_S3_PS4_PS7_PS2_,comdat
	.globl	_ZN9rocsparseL35bsr2csr_block_per_row_33_256_kernelILj1024ELj64ELj32EillEEv20rocsparse_direction_T4_S2_21rocsparse_index_base_PKT2_PKT3_PKS2_S2_S3_PS4_PS7_PS2_ ; -- Begin function _ZN9rocsparseL35bsr2csr_block_per_row_33_256_kernelILj1024ELj64ELj32EillEEv20rocsparse_direction_T4_S2_21rocsparse_index_base_PKT2_PKT3_PKS2_S2_S3_PS4_PS7_PS2_
	.p2align	8
	.type	_ZN9rocsparseL35bsr2csr_block_per_row_33_256_kernelILj1024ELj64ELj32EillEEv20rocsparse_direction_T4_S2_21rocsparse_index_base_PKT2_PKT3_PKS2_S2_S3_PS4_PS7_PS2_,@function
_ZN9rocsparseL35bsr2csr_block_per_row_33_256_kernelILj1024ELj64ELj32EillEEv20rocsparse_direction_T4_S2_21rocsparse_index_base_PKT2_PKT3_PKS2_S2_S3_PS4_PS7_PS2_: ; @_ZN9rocsparseL35bsr2csr_block_per_row_33_256_kernelILj1024ELj64ELj32EillEEv20rocsparse_direction_T4_S2_21rocsparse_index_base_PKT2_PKT3_PKS2_S2_S3_PS4_PS7_PS2_
; %bb.0:
	s_load_b64 s[8:9], s[0:1], 0x28
	s_bfe_u32 s2, ttmp6, 0x4000c
	s_and_b32 s3, ttmp6, 15
	s_add_co_i32 s2, s2, 1
	s_getreg_b32 s4, hwreg(HW_REG_IB_STS2, 6, 4)
	s_mul_i32 s2, ttmp9, s2
	s_mov_b32 s7, 0
	s_add_co_i32 s3, s3, s2
	s_cmp_eq_u32 s4, 0
	s_clause 0x1
	s_load_b32 s12, s[0:1], 0x40
	s_load_b64 s[4:5], s[0:1], 0x50
	s_cselect_b32 s2, ttmp9, s3
	s_mov_b32 s3, s7
	v_or_b32_e32 v1, s2, v0
	s_lshl_b64 s[10:11], s[2:3], 3
	s_mov_b32 s13, s7
	s_mov_b32 s6, exec_lo
	s_wait_kmcnt 0x0
	s_add_nc_u64 s[14:15], s[8:9], s[10:11]
	s_load_b128 s[8:11], s[14:15], 0x0
	v_cmpx_eq_u32_e32 0, v1
	s_cbranch_execz .LBB49_2
; %bb.1:
	v_mov_b64_e32 v[2:3], s[12:13]
	v_mov_b32_e32 v1, 0
	global_store_b64 v1, v[2:3], s[4:5]
.LBB49_2:
	s_wait_xcnt 0x0
	s_or_b32 exec_lo, exec_lo, s6
	s_clause 0x1
	s_load_b32 s6, s[0:1], 0x18
	s_load_b64 s[14:15], s[0:1], 0x38
	v_dual_mov_b32 v3, 0 :: v_dual_lshrrev_b32 v2, 5, v0
	s_wait_kmcnt 0x0
	s_sub_nc_u64 s[16:17], s[8:9], s[6:7]
	s_sub_nc_u64 s[18:19], s[10:11], s[6:7]
	s_mul_u64 s[22:23], s[14:15], s[16:17]
	s_mul_u64 s[24:25], s[14:15], s[2:3]
	v_cmp_gt_i64_e64 s3, s[14:15], v[2:3]
	s_sub_nc_u64 s[26:27], s[18:19], s[16:17]
	s_mul_u64 s[28:29], s[22:23], s[14:15]
	s_mul_u64 s[20:21], s[26:27], s[14:15]
	s_add_nc_u64 s[28:29], s[28:29], s[12:13]
	s_lshl_b64 s[24:25], s[24:25], 3
	s_add_nc_u64 s[28:29], s[28:29], s[20:21]
	s_add_nc_u64 s[24:25], s[4:5], s[24:25]
	s_and_saveexec_b32 s2, s3
	s_cbranch_execz .LBB49_4
; %bb.3:
	v_mad_nc_u64_u32 v[4:5], v2, s20, s[28:29]
	s_delay_alu instid0(VALU_DEP_1)
	v_mad_u32 v5, v2, s21, v5
	global_store_b64 v2, v[4:5], s[24:25] offset:8 scale_offset
.LBB49_4:
	s_wait_xcnt 0x0
	s_or_b32 exec_lo, exec_lo, s2
	v_dual_mov_b32 v5, v3 :: v_dual_bitop2_b32 v4, 32, v2 bitop3:0x54
	s_delay_alu instid0(VALU_DEP_1)
	v_cmp_gt_i64_e64 s4, s[14:15], v[4:5]
	s_and_saveexec_b32 s2, s4
	s_cbranch_execz .LBB49_6
; %bb.5:
	v_mad_nc_u64_u32 v[6:7], v4, s20, s[28:29]
	s_delay_alu instid0(VALU_DEP_1)
	v_mad_u32 v7, v4, s21, v7
	global_store_b64 v2, v[6:7], s[24:25] offset:264 scale_offset
.LBB49_6:
	s_wait_xcnt 0x0
	s_or_b32 exec_lo, exec_lo, s2
	v_cmp_lt_i64_e64 s2, s[8:9], s[10:11]
	s_and_b32 vcc_lo, exec_lo, s2
	s_cbranch_vccz .LBB49_17
; %bb.7:
	s_clause 0x2
	s_load_b64 s[20:21], s[0:1], 0x30
	s_load_b64 s[24:25], s[0:1], 0x48
	s_load_b32 s2, s[0:1], 0x0
	v_mad_nc_u64_u32 v[4:5], v2, s26, s[22:23]
	v_dual_mov_b32 v1, 0 :: v_dual_bitop2_b32 v0, 31, v0 bitop3:0x40
	v_lshlrev_b32_e32 v10, 2, v2
	s_mul_u64 s[28:29], s[14:15], s[14:15]
	s_delay_alu instid0(VALU_DEP_2)
	v_dual_mov_b32 v11, v1 :: v_dual_lshlrev_b32 v14, 2, v0
	v_mov_b32_e32 v15, v1
	v_cmp_gt_i64_e32 vcc_lo, s[14:15], v[0:1]
	v_dual_mov_b32 v13, v1 :: v_dual_lshlrev_b32 v12, 3, v0
	v_mad_u32 v5, v2, s27, v5
	s_wait_kmcnt 0x0
	s_cmp_eq_u32 s2, 0
	s_cselect_b32 s2, -1, 0
	s_lshl_b64 s[10:11], s[10:11], 5
	s_delay_alu instid0(VALU_DEP_1)
	v_mul_u64_e32 v[26:27], s[14:15], v[4:5]
	v_add_nc_u64_e32 v[2:3], s[10:11], v[4:5]
	s_lshl_b64 s[10:11], s[22:23], 2
	s_lshl_b64 s[22:23], s[8:9], 5
	v_add_nc_u64_e32 v[16:17], s[10:11], v[10:11]
	v_add_nc_u64_e32 v[18:19], s[10:11], v[14:15]
	s_load_b64 s[10:11], s[0:1], 0x20
	s_delay_alu instid0(VALU_DEP_3) | instskip(SKIP_1) | instid1(VALU_DEP_3)
	v_sub_nc_u64_e64 v[2:3], v[2:3], s[22:23]
	s_load_b64 s[22:23], s[0:1], 0x58
	v_add_nc_u64_e32 v[20:21], 0x80, v[16:17]
	s_delay_alu instid0(VALU_DEP_3)
	v_add_nc_u64_e32 v[22:23], 0x80, v[18:19]
	v_mad_nc_u64_u32 v[4:5], s14, v16, v[14:15]
	v_mad_nc_u64_u32 v[6:7], s14, v18, v[10:11]
	v_mul_u64_e32 v[24:25], s[14:15], v[2:3]
	v_dual_mov_b32 v3, v1 :: v_dual_bitop2_b32 v2, 32, v0 bitop3:0x54
	v_mad_nc_u64_u32 v[8:9], s14, v20, v[14:15]
	v_mad_nc_u64_u32 v[10:11], s14, v22, v[10:11]
	v_add_nc_u64_e32 v[14:15], s[24:25], v[14:15]
	s_and_b32 s25, s4, vcc_lo
	s_wait_xcnt 0x0
	v_cmp_gt_i64_e64 s0, s[14:15], v[2:3]
	s_and_b32 s24, s3, vcc_lo
	v_mad_u32 v5, s15, v16, v5
	v_mad_u32 v7, s15, v18, v7
	s_and_b32 s26, s4, s0
	v_mad_u32 v9, s15, v20, v9
	v_mad_u32 v11, s15, v22, v11
	s_wait_kmcnt 0x0
	v_add_nc_u64_e32 v[12:13], s[22:23], v[12:13]
	s_lshl_b64 s[4:5], s[8:9], 3
	s_lshl_b64 s[8:9], s[6:7], 3
	v_mad_u32 v5, s14, v17, v5
	v_mad_u32 v7, s14, v19, v7
	s_sub_nc_u64 s[4:5], s[4:5], s[8:9]
	s_and_b32 s3, s3, s0
	s_lshl_b64 s[0:1], s[28:29], 2
	s_add_nc_u64 s[4:5], s[20:21], s[4:5]
	v_mad_u32 v9, s14, v21, v9
	v_mad_u32 v11, s14, v23, v11
	v_lshl_add_u64 v[20:21], v[26:27], 3, 0x100
	v_lshl_add_u64 v[22:23], v[26:27], 2, 0x80
	s_lshl_b64 s[8:9], s[14:15], 3
	s_lshl_b64 s[20:21], s[14:15], 2
	v_lshlrev_b64_e32 v[16:17], 2, v[24:25]
	v_lshlrev_b64_e32 v[18:19], 3, v[24:25]
	s_branch .LBB49_9
.LBB49_8:                               ;   in Loop: Header=BB49_9 Depth=1
	s_wait_xcnt 0x0
	s_or_b32 exec_lo, exec_lo, s22
	s_add_nc_u64 s[16:17], s[16:17], 1
	v_add_nc_u64_e32 v[12:13], s[8:9], v[12:13]
	v_cmp_ge_i64_e64 s22, s[16:17], s[18:19]
	v_add_nc_u64_e32 v[14:15], s[20:21], v[14:15]
	s_add_nc_u64 s[10:11], s[10:11], s[0:1]
	s_add_nc_u64 s[4:5], s[4:5], 8
	s_and_b32 vcc_lo, exec_lo, s22
	s_cbranch_vccnz .LBB49_17
.LBB49_9:                               ; =>This Inner Loop Header: Depth=1
	s_load_b64 s[22:23], s[4:5], 0x0
	v_add_nc_u64_e32 v[32:33], v[12:13], v[20:21]
	v_add_nc_u64_e32 v[34:35], v[14:15], v[22:23]
	;; [unrolled: 1-line block ×4, first 2 shown]
	s_wait_kmcnt 0x0
	s_sub_nc_u64 s[22:23], s[22:23], s[6:7]
	s_delay_alu instid0(SALU_CYCLE_1) | instskip(NEXT) | instid1(SALU_CYCLE_1)
	s_mul_u64 s[22:23], s[22:23], s[14:15]
	s_add_nc_u64 s[22:23], s[22:23], s[12:13]
	s_delay_alu instid0(SALU_CYCLE_1)
	v_add_nc_u64_e32 v[24:25], s[22:23], v[0:1]
	s_and_saveexec_b32 s27, s24
	s_cbranch_execz .LBB49_11
; %bb.10:                               ;   in Loop: Header=BB49_9 Depth=1
	v_dual_cndmask_b32 v27, v31, v37, s2 :: v_dual_cndmask_b32 v26, v30, v36, s2
	global_load_b32 v26, v[26:27], off
	global_store_b64 v[32:33], v[24:25], off offset:-256
	s_wait_loadcnt 0x0
	global_store_b32 v[34:35], v26, off offset:-128
.LBB49_11:                              ;   in Loop: Header=BB49_9 Depth=1
	s_wait_xcnt 0x0
	s_or_b32 exec_lo, exec_lo, s27
	v_add_nc_u64_e32 v[26:27], s[22:23], v[2:3]
	v_add_nc_u64_e32 v[28:29], s[10:11], v[10:11]
	s_and_saveexec_b32 s22, s3
	s_cbranch_execz .LBB49_13
; %bb.12:                               ;   in Loop: Header=BB49_9 Depth=1
	v_add_nc_u64_e32 v[36:37], 0x80, v[36:37]
	s_delay_alu instid0(VALU_DEP_1)
	v_dual_cndmask_b32 v37, v29, v37, s2 :: v_dual_cndmask_b32 v36, v28, v36, s2
	global_load_b32 v36, v[36:37], off
	global_store_b64 v[32:33], v[26:27], off
	s_wait_loadcnt 0x0
	global_store_b32 v[34:35], v36, off
.LBB49_13:                              ;   in Loop: Header=BB49_9 Depth=1
	s_wait_xcnt 0x0
	s_or_b32 exec_lo, exec_lo, s22
	v_add_nc_u64_e32 v[32:33], v[12:13], v[18:19]
	v_add_nc_u64_e32 v[34:35], v[14:15], v[16:17]
	;; [unrolled: 1-line block ×3, first 2 shown]
	s_and_saveexec_b32 s22, s25
	s_cbranch_execz .LBB49_15
; %bb.14:                               ;   in Loop: Header=BB49_9 Depth=1
	v_add_nc_u64_e32 v[30:31], 0x80, v[30:31]
	s_delay_alu instid0(VALU_DEP_1)
	v_dual_cndmask_b32 v31, v31, v37, s2 :: v_dual_cndmask_b32 v30, v30, v36, s2
	global_load_b32 v30, v[30:31], off
	global_store_b64 v[32:33], v[24:25], off
	s_wait_loadcnt 0x0
	global_store_b32 v[34:35], v30, off
.LBB49_15:                              ;   in Loop: Header=BB49_9 Depth=1
	s_wait_xcnt 0x0
	s_or_b32 exec_lo, exec_lo, s22
	s_and_saveexec_b32 s22, s26
	s_cbranch_execz .LBB49_8
; %bb.16:                               ;   in Loop: Header=BB49_9 Depth=1
	v_dual_cndmask_b32 v25, v29, v37, s2 :: v_dual_cndmask_b32 v24, v28, v36, s2
	global_load_b32 v24, v[24:25], off offset:128
	global_store_b64 v[32:33], v[26:27], off offset:256
	s_wait_loadcnt 0x0
	global_store_b32 v[34:35], v24, off offset:128
	s_branch .LBB49_8
.LBB49_17:
	s_endpgm
	.section	.rodata,"a",@progbits
	.p2align	6, 0x0
	.amdhsa_kernel _ZN9rocsparseL35bsr2csr_block_per_row_33_256_kernelILj1024ELj64ELj32EillEEv20rocsparse_direction_T4_S2_21rocsparse_index_base_PKT2_PKT3_PKS2_S2_S3_PS4_PS7_PS2_
		.amdhsa_group_segment_fixed_size 0
		.amdhsa_private_segment_fixed_size 0
		.amdhsa_kernarg_size 96
		.amdhsa_user_sgpr_count 2
		.amdhsa_user_sgpr_dispatch_ptr 0
		.amdhsa_user_sgpr_queue_ptr 0
		.amdhsa_user_sgpr_kernarg_segment_ptr 1
		.amdhsa_user_sgpr_dispatch_id 0
		.amdhsa_user_sgpr_kernarg_preload_length 0
		.amdhsa_user_sgpr_kernarg_preload_offset 0
		.amdhsa_user_sgpr_private_segment_size 0
		.amdhsa_wavefront_size32 1
		.amdhsa_uses_dynamic_stack 0
		.amdhsa_enable_private_segment 0
		.amdhsa_system_sgpr_workgroup_id_x 1
		.amdhsa_system_sgpr_workgroup_id_y 0
		.amdhsa_system_sgpr_workgroup_id_z 0
		.amdhsa_system_sgpr_workgroup_info 0
		.amdhsa_system_vgpr_workitem_id 0
		.amdhsa_next_free_vgpr 38
		.amdhsa_next_free_sgpr 30
		.amdhsa_named_barrier_count 0
		.amdhsa_reserve_vcc 1
		.amdhsa_float_round_mode_32 0
		.amdhsa_float_round_mode_16_64 0
		.amdhsa_float_denorm_mode_32 3
		.amdhsa_float_denorm_mode_16_64 3
		.amdhsa_fp16_overflow 0
		.amdhsa_memory_ordered 1
		.amdhsa_forward_progress 1
		.amdhsa_inst_pref_size 10
		.amdhsa_round_robin_scheduling 0
		.amdhsa_exception_fp_ieee_invalid_op 0
		.amdhsa_exception_fp_denorm_src 0
		.amdhsa_exception_fp_ieee_div_zero 0
		.amdhsa_exception_fp_ieee_overflow 0
		.amdhsa_exception_fp_ieee_underflow 0
		.amdhsa_exception_fp_ieee_inexact 0
		.amdhsa_exception_int_div_zero 0
	.end_amdhsa_kernel
	.section	.text._ZN9rocsparseL35bsr2csr_block_per_row_33_256_kernelILj1024ELj64ELj32EillEEv20rocsparse_direction_T4_S2_21rocsparse_index_base_PKT2_PKT3_PKS2_S2_S3_PS4_PS7_PS2_,"axG",@progbits,_ZN9rocsparseL35bsr2csr_block_per_row_33_256_kernelILj1024ELj64ELj32EillEEv20rocsparse_direction_T4_S2_21rocsparse_index_base_PKT2_PKT3_PKS2_S2_S3_PS4_PS7_PS2_,comdat
.Lfunc_end49:
	.size	_ZN9rocsparseL35bsr2csr_block_per_row_33_256_kernelILj1024ELj64ELj32EillEEv20rocsparse_direction_T4_S2_21rocsparse_index_base_PKT2_PKT3_PKS2_S2_S3_PS4_PS7_PS2_, .Lfunc_end49-_ZN9rocsparseL35bsr2csr_block_per_row_33_256_kernelILj1024ELj64ELj32EillEEv20rocsparse_direction_T4_S2_21rocsparse_index_base_PKT2_PKT3_PKS2_S2_S3_PS4_PS7_PS2_
                                        ; -- End function
	.set _ZN9rocsparseL35bsr2csr_block_per_row_33_256_kernelILj1024ELj64ELj32EillEEv20rocsparse_direction_T4_S2_21rocsparse_index_base_PKT2_PKT3_PKS2_S2_S3_PS4_PS7_PS2_.num_vgpr, 38
	.set _ZN9rocsparseL35bsr2csr_block_per_row_33_256_kernelILj1024ELj64ELj32EillEEv20rocsparse_direction_T4_S2_21rocsparse_index_base_PKT2_PKT3_PKS2_S2_S3_PS4_PS7_PS2_.num_agpr, 0
	.set _ZN9rocsparseL35bsr2csr_block_per_row_33_256_kernelILj1024ELj64ELj32EillEEv20rocsparse_direction_T4_S2_21rocsparse_index_base_PKT2_PKT3_PKS2_S2_S3_PS4_PS7_PS2_.numbered_sgpr, 30
	.set _ZN9rocsparseL35bsr2csr_block_per_row_33_256_kernelILj1024ELj64ELj32EillEEv20rocsparse_direction_T4_S2_21rocsparse_index_base_PKT2_PKT3_PKS2_S2_S3_PS4_PS7_PS2_.num_named_barrier, 0
	.set _ZN9rocsparseL35bsr2csr_block_per_row_33_256_kernelILj1024ELj64ELj32EillEEv20rocsparse_direction_T4_S2_21rocsparse_index_base_PKT2_PKT3_PKS2_S2_S3_PS4_PS7_PS2_.private_seg_size, 0
	.set _ZN9rocsparseL35bsr2csr_block_per_row_33_256_kernelILj1024ELj64ELj32EillEEv20rocsparse_direction_T4_S2_21rocsparse_index_base_PKT2_PKT3_PKS2_S2_S3_PS4_PS7_PS2_.uses_vcc, 1
	.set _ZN9rocsparseL35bsr2csr_block_per_row_33_256_kernelILj1024ELj64ELj32EillEEv20rocsparse_direction_T4_S2_21rocsparse_index_base_PKT2_PKT3_PKS2_S2_S3_PS4_PS7_PS2_.uses_flat_scratch, 0
	.set _ZN9rocsparseL35bsr2csr_block_per_row_33_256_kernelILj1024ELj64ELj32EillEEv20rocsparse_direction_T4_S2_21rocsparse_index_base_PKT2_PKT3_PKS2_S2_S3_PS4_PS7_PS2_.has_dyn_sized_stack, 0
	.set _ZN9rocsparseL35bsr2csr_block_per_row_33_256_kernelILj1024ELj64ELj32EillEEv20rocsparse_direction_T4_S2_21rocsparse_index_base_PKT2_PKT3_PKS2_S2_S3_PS4_PS7_PS2_.has_recursion, 0
	.set _ZN9rocsparseL35bsr2csr_block_per_row_33_256_kernelILj1024ELj64ELj32EillEEv20rocsparse_direction_T4_S2_21rocsparse_index_base_PKT2_PKT3_PKS2_S2_S3_PS4_PS7_PS2_.has_indirect_call, 0
	.section	.AMDGPU.csdata,"",@progbits
; Kernel info:
; codeLenInByte = 1172
; TotalNumSgprs: 32
; NumVgprs: 38
; ScratchSize: 0
; MemoryBound: 0
; FloatMode: 240
; IeeeMode: 1
; LDSByteSize: 0 bytes/workgroup (compile time only)
; SGPRBlocks: 0
; VGPRBlocks: 2
; NumSGPRsForWavesPerEU: 32
; NumVGPRsForWavesPerEU: 38
; NamedBarCnt: 0
; Occupancy: 16
; WaveLimiterHint : 1
; COMPUTE_PGM_RSRC2:SCRATCH_EN: 0
; COMPUTE_PGM_RSRC2:USER_SGPR: 2
; COMPUTE_PGM_RSRC2:TRAP_HANDLER: 0
; COMPUTE_PGM_RSRC2:TGID_X_EN: 1
; COMPUTE_PGM_RSRC2:TGID_Y_EN: 0
; COMPUTE_PGM_RSRC2:TGID_Z_EN: 0
; COMPUTE_PGM_RSRC2:TIDIG_COMP_CNT: 0
	.section	.text._ZN9rocsparseL35bsr2csr_block_per_row_33_256_kernelILj1024ELj128ELj32EillEEv20rocsparse_direction_T4_S2_21rocsparse_index_base_PKT2_PKT3_PKS2_S2_S3_PS4_PS7_PS2_,"axG",@progbits,_ZN9rocsparseL35bsr2csr_block_per_row_33_256_kernelILj1024ELj128ELj32EillEEv20rocsparse_direction_T4_S2_21rocsparse_index_base_PKT2_PKT3_PKS2_S2_S3_PS4_PS7_PS2_,comdat
	.globl	_ZN9rocsparseL35bsr2csr_block_per_row_33_256_kernelILj1024ELj128ELj32EillEEv20rocsparse_direction_T4_S2_21rocsparse_index_base_PKT2_PKT3_PKS2_S2_S3_PS4_PS7_PS2_ ; -- Begin function _ZN9rocsparseL35bsr2csr_block_per_row_33_256_kernelILj1024ELj128ELj32EillEEv20rocsparse_direction_T4_S2_21rocsparse_index_base_PKT2_PKT3_PKS2_S2_S3_PS4_PS7_PS2_
	.p2align	8
	.type	_ZN9rocsparseL35bsr2csr_block_per_row_33_256_kernelILj1024ELj128ELj32EillEEv20rocsparse_direction_T4_S2_21rocsparse_index_base_PKT2_PKT3_PKS2_S2_S3_PS4_PS7_PS2_,@function
_ZN9rocsparseL35bsr2csr_block_per_row_33_256_kernelILj1024ELj128ELj32EillEEv20rocsparse_direction_T4_S2_21rocsparse_index_base_PKT2_PKT3_PKS2_S2_S3_PS4_PS7_PS2_: ; @_ZN9rocsparseL35bsr2csr_block_per_row_33_256_kernelILj1024ELj128ELj32EillEEv20rocsparse_direction_T4_S2_21rocsparse_index_base_PKT2_PKT3_PKS2_S2_S3_PS4_PS7_PS2_
; %bb.0:
	s_load_b64 s[6:7], s[0:1], 0x28
	s_bfe_u32 s2, ttmp6, 0x4000c
	s_and_b32 s3, ttmp6, 15
	s_add_co_i32 s2, s2, 1
	s_getreg_b32 s4, hwreg(HW_REG_IB_STS2, 6, 4)
	s_mul_i32 s2, ttmp9, s2
	s_mov_b32 s13, 0
	s_add_co_i32 s3, s3, s2
	s_cmp_eq_u32 s4, 0
	s_clause 0x1
	s_load_b32 s14, s[0:1], 0x40
	s_load_b64 s[4:5], s[0:1], 0x50
	s_cselect_b32 s2, ttmp9, s3
	s_mov_b32 s3, s13
	v_or_b32_e32 v1, s2, v0
	s_lshl_b64 s[8:9], s[2:3], 3
	s_mov_b32 s15, s13
	s_wait_kmcnt 0x0
	s_add_nc_u64 s[6:7], s[6:7], s[8:9]
	s_load_b128 s[8:11], s[6:7], 0x0
	s_wait_xcnt 0x0
	s_mov_b32 s6, exec_lo
	v_cmpx_eq_u32_e32 0, v1
	s_cbranch_execz .LBB50_2
; %bb.1:
	v_mov_b64_e32 v[2:3], s[14:15]
	v_mov_b32_e32 v1, 0
	global_store_b64 v1, v[2:3], s[4:5]
.LBB50_2:
	s_wait_xcnt 0x0
	s_or_b32 exec_lo, exec_lo, s6
	s_clause 0x1
	s_load_b32 s12, s[0:1], 0x18
	s_load_b64 s[16:17], s[0:1], 0x38
	v_dual_mov_b32 v9, 0 :: v_dual_lshrrev_b32 v8, 5, v0
	s_wait_kmcnt 0x0
	s_sub_nc_u64 s[18:19], s[8:9], s[12:13]
	s_sub_nc_u64 s[20:21], s[10:11], s[12:13]
	s_mul_u64 s[30:31], s[16:17], s[18:19]
	s_mul_u64 s[22:23], s[16:17], s[2:3]
	v_cmp_gt_i64_e64 s3, s[16:17], v[8:9]
	s_sub_nc_u64 s[34:35], s[20:21], s[18:19]
	s_mul_u64 s[24:25], s[30:31], s[16:17]
	s_mul_u64 s[6:7], s[34:35], s[16:17]
	s_add_nc_u64 s[24:25], s[24:25], s[14:15]
	s_lshl_b64 s[22:23], s[22:23], 3
	s_add_nc_u64 s[24:25], s[24:25], s[6:7]
	s_add_nc_u64 s[22:23], s[4:5], s[22:23]
	s_and_saveexec_b32 s2, s3
	s_cbranch_execz .LBB50_4
; %bb.3:
	v_mad_nc_u64_u32 v[2:3], v8, s6, s[24:25]
	s_delay_alu instid0(VALU_DEP_1)
	v_mad_u32 v3, v8, s7, v3
	global_store_b64 v8, v[2:3], s[22:23] offset:8 scale_offset
.LBB50_4:
	s_wait_xcnt 0x0
	s_or_b32 exec_lo, exec_lo, s2
	v_dual_mov_b32 v3, v9 :: v_dual_bitop2_b32 v2, 32, v8 bitop3:0x54
	s_delay_alu instid0(VALU_DEP_1)
	v_cmp_gt_i64_e64 s5, s[16:17], v[2:3]
	s_and_saveexec_b32 s2, s5
	s_cbranch_execz .LBB50_6
; %bb.5:
	v_mad_nc_u64_u32 v[4:5], v2, s6, s[24:25]
	s_delay_alu instid0(VALU_DEP_1)
	v_mad_u32 v5, v2, s7, v5
	global_store_b64 v8, v[4:5], s[22:23] offset:264 scale_offset
.LBB50_6:
	s_wait_xcnt 0x0
	s_or_b32 exec_lo, exec_lo, s2
	v_dual_mov_b32 v3, v9 :: v_dual_bitop2_b32 v2, 64, v8 bitop3:0x54
	s_delay_alu instid0(VALU_DEP_1)
	v_cmp_gt_i64_e64 s4, s[16:17], v[2:3]
	s_and_saveexec_b32 s2, s4
	s_cbranch_execz .LBB50_8
; %bb.7:
	v_mad_nc_u64_u32 v[4:5], v2, s6, s[24:25]
	s_delay_alu instid0(VALU_DEP_1)
	v_mad_u32 v5, v2, s7, v5
	global_store_b64 v8, v[4:5], s[22:23] offset:520 scale_offset
.LBB50_8:
	s_wait_xcnt 0x0
	s_or_b32 exec_lo, exec_lo, s2
	v_or_b32_e32 v2, 0x60, v8
	v_mov_b32_e32 v3, v9
	s_delay_alu instid0(VALU_DEP_1)
	v_cmp_gt_i64_e64 s2, s[16:17], v[2:3]
	s_and_saveexec_b32 s26, s2
	s_cbranch_execz .LBB50_10
; %bb.9:
	v_mad_nc_u64_u32 v[4:5], v2, s6, s[24:25]
	s_delay_alu instid0(VALU_DEP_1)
	v_mad_u32 v5, v2, s7, v5
	global_store_b64 v8, v[4:5], s[22:23] offset:776 scale_offset
.LBB50_10:
	s_wait_xcnt 0x0
	s_or_b32 exec_lo, exec_lo, s26
	v_cmp_lt_i64_e64 s6, s[8:9], s[10:11]
	s_and_b32 vcc_lo, exec_lo, s6
	s_cbranch_vccz .LBB50_45
; %bb.11:
	s_clause 0x2
	s_load_b64 s[24:25], s[0:1], 0x30
	s_load_b64 s[26:27], s[0:1], 0x48
	s_load_b32 s7, s[0:1], 0x0
	v_mad_nc_u64_u32 v[20:21], v8, s34, s[30:31]
	v_dual_mov_b32 v1, 0 :: v_dual_bitop2_b32 v0, 31, v0 bitop3:0x40
	s_clause 0x1
	s_load_b64 s[22:23], s[0:1], 0x20
	s_load_b64 s[28:29], s[0:1], 0x58
	v_lshlrev_b32_e32 v24, 2, v8
	v_dual_mov_b32 v3, v1 :: v_dual_bitop2_b32 v2, 32, v0 bitop3:0x54
	v_dual_mov_b32 v7, v1 :: v_dual_mov_b32 v25, v1
	v_dual_mov_b32 v5, v1 :: v_dual_bitop2_b32 v4, 64, v0 bitop3:0x54
	v_mad_u32 v21, v8, s35, v21
	v_or_b32_e32 v6, 0x60, v0
	v_dual_mov_b32 v9, v1 :: v_dual_lshlrev_b32 v8, 2, v0
	v_cmp_gt_i64_e32 vcc_lo, s[16:17], v[0:1]
	s_wait_xcnt 0x0
	v_cmp_gt_i64_e64 s1, s[16:17], v[2:3]
	v_cmp_gt_i64_e64 s6, s[16:17], v[4:5]
	s_wait_kmcnt 0x0
	s_cmp_eq_u32 s7, 0
	v_cmp_gt_i64_e64 s7, s[16:17], v[6:7]
	s_cselect_b32 s0, -1, 0
	s_lshl_b64 s[44:45], s[30:31], 2
	v_mad_nc_u64_u32 v[22:23], 0x60, s10, v[20:21]
	v_add_nc_u64_e32 v[26:27], s[44:45], v[24:25]
	s_and_b32 s38, s5, vcc_lo
	s_and_b32 s30, s5, s1
	s_and_b32 s31, s5, s6
	;; [unrolled: 1-line block ×3, first 2 shown]
	s_and_b32 s39, s4, vcc_lo
	s_and_b32 s40, s4, s1
	v_mad_nc_u64_u32 v[16:17], s16, v26, v[8:9]
	s_and_b32 s41, s4, s6
	s_and_b32 s42, s4, s7
	v_mad_u32 v23, 0x60, s11, v23
	s_lshl_b64 s[4:5], s[10:11], 5
	v_add_nc_u64_e32 v[28:29], 0x180, v[26:27]
	v_add_nc_u64_e32 v[36:37], s[4:5], v[20:21]
	s_lshl_b64 s[4:5], s[10:11], 6
	v_add_nc_u64_e32 v[30:31], 0x100, v[26:27]
	v_add_nc_u64_e32 v[42:43], s[4:5], v[20:21]
	s_lshl_b64 s[4:5], s[8:9], 5
	v_add_nc_u64_e32 v[32:33], 0x80, v[26:27]
	v_mad_u32 v17, s17, v26, v17
	v_lshlrev_b32_e32 v26, 3, v0
	v_add_nc_u64_e32 v[34:35], s[44:45], v[8:9]
	s_mul_u64 s[10:11], s[8:9], 0x60
	v_sub_nc_u64_e64 v[36:37], v[36:37], s[4:5]
	s_lshl_b64 s[4:5], s[8:9], 6
	v_sub_nc_u64_e64 v[44:45], v[22:23], s[10:11]
	v_sub_nc_u64_e64 v[42:43], v[42:43], s[4:5]
	v_mul_u64_e32 v[48:49], s[16:17], v[20:21]
	v_add_nc_u64_e32 v[38:39], 0x80, v[34:35]
	v_add_nc_u64_e32 v[40:41], 0x100, v[34:35]
	;; [unrolled: 1-line block ×3, first 2 shown]
	v_mul_u64_e32 v[36:37], s[16:17], v[36:37]
	v_mul_u64_e32 v[44:45], s[16:17], v[44:45]
	;; [unrolled: 1-line block ×3, first 2 shown]
	v_mad_nc_u64_u32 v[10:11], s16, v28, v[8:9]
	v_mad_nc_u64_u32 v[12:13], s16, v30, v[8:9]
	;; [unrolled: 1-line block ×7, first 2 shown]
	v_mad_u32 v17, s16, v27, v17
	s_and_b32 s36, s3, s6
	s_and_b32 s37, s3, s7
	;; [unrolled: 1-line block ×3, first 2 shown]
	v_mad_u32 v11, s17, v28, v11
	v_mad_u32 v13, s17, v30, v13
	;; [unrolled: 1-line block ×7, first 2 shown]
	s_and_b32 s45, s2, s7
	s_lshl_b64 s[4:5], s[8:9], 3
	s_lshl_b64 s[6:7], s[12:13], 3
	v_mov_b32_e32 v27, v1
	v_mad_u32 v11, s16, v29, v11
	v_mad_u32 v13, s16, v31, v13
	;; [unrolled: 1-line block ×7, first 2 shown]
	v_lshl_add_u64 v[28:29], v[48:49], 3, s[28:29]
	v_lshl_add_u64 v[30:31], v[48:49], 2, s[26:27]
	;; [unrolled: 1-line block ×8, first 2 shown]
	s_and_b32 s33, s3, vcc_lo
	s_and_b32 s34, s3, s1
	s_and_b32 s43, s2, vcc_lo
	s_and_b32 s1, s2, s1
	s_mul_u64 s[2:3], s[16:17], s[16:17]
	s_sub_nc_u64 s[4:5], s[4:5], s[6:7]
	s_lshl_b64 s[2:3], s[2:3], 2
	s_add_nc_u64 s[4:5], s[24:25], s[4:5]
	s_lshl_b64 s[6:7], s[16:17], 3
	s_lshl_b64 s[8:9], s[16:17], 2
	s_branch .LBB50_13
.LBB50_12:                              ;   in Loop: Header=BB50_13 Depth=1
	s_wait_xcnt 0x0
	s_or_b32 exec_lo, exec_lo, s10
	s_add_nc_u64 s[18:19], s[18:19], 1
	v_add_nc_u64_e32 v[28:29], s[6:7], v[28:29]
	v_cmp_ge_i64_e64 s10, s[18:19], s[20:21]
	v_add_nc_u64_e32 v[30:31], s[8:9], v[30:31]
	v_add_nc_u64_e32 v[32:33], s[8:9], v[32:33]
	;; [unrolled: 1-line block ×7, first 2 shown]
	s_add_nc_u64 s[22:23], s[22:23], s[2:3]
	s_and_b32 vcc_lo, exec_lo, s10
	s_add_nc_u64 s[4:5], s[4:5], 8
	s_cbranch_vccnz .LBB50_45
.LBB50_13:                              ; =>This Inner Loop Header: Depth=1
	s_load_b64 s[10:11], s[4:5], 0x0
	v_add_nc_u64_e32 v[60:61], v[28:29], v[26:27]
	v_add_nc_u64_e32 v[62:63], v[30:31], v[8:9]
	;; [unrolled: 1-line block ×4, first 2 shown]
	s_wait_kmcnt 0x0
	s_sub_nc_u64 s[10:11], s[10:11], s[12:13]
	s_delay_alu instid0(SALU_CYCLE_1) | instskip(NEXT) | instid1(SALU_CYCLE_1)
	s_mul_u64 s[10:11], s[10:11], s[16:17]
	s_add_nc_u64 s[10:11], s[10:11], s[14:15]
	s_delay_alu instid0(SALU_CYCLE_1)
	v_add_nc_u64_e32 v[46:47], s[10:11], v[0:1]
	s_and_saveexec_b32 s24, s33
	s_cbranch_execz .LBB50_15
; %bb.14:                               ;   in Loop: Header=BB50_13 Depth=1
	v_dual_cndmask_b32 v45, v55, v65, s0 :: v_dual_cndmask_b32 v44, v54, v64, s0
	global_load_b32 v44, v[44:45], off
	global_store_b64 v[60:61], v[46:47], off
	s_wait_loadcnt 0x0
	global_store_b32 v[62:63], v44, off
.LBB50_15:                              ;   in Loop: Header=BB50_13 Depth=1
	s_wait_xcnt 0x0
	s_or_b32 exec_lo, exec_lo, s24
	v_add_nc_u64_e32 v[44:45], s[10:11], v[2:3]
	v_add_nc_u64_e32 v[52:53], s[22:23], v[20:21]
	s_and_saveexec_b32 s24, s34
	s_cbranch_execz .LBB50_17
; %bb.16:                               ;   in Loop: Header=BB50_13 Depth=1
	v_add_nc_u64_e32 v[48:49], 0x80, v[64:65]
	s_delay_alu instid0(VALU_DEP_1)
	v_dual_cndmask_b32 v49, v53, v49, s0 :: v_dual_cndmask_b32 v48, v52, v48, s0
	global_load_b32 v48, v[48:49], off
	global_store_b64 v[60:61], v[44:45], off offset:256
	s_wait_loadcnt 0x0
	global_store_b32 v[62:63], v48, off offset:128
.LBB50_17:                              ;   in Loop: Header=BB50_13 Depth=1
	s_wait_xcnt 0x0
	s_or_b32 exec_lo, exec_lo, s24
	v_add_nc_u64_e32 v[48:49], s[10:11], v[4:5]
	v_add_nc_u64_e32 v[56:57], s[22:23], v[22:23]
	s_and_saveexec_b32 s24, s36
	s_cbranch_execz .LBB50_19
; %bb.18:                               ;   in Loop: Header=BB50_13 Depth=1
	v_add_nc_u64_e32 v[50:51], 0x100, v[64:65]
	s_delay_alu instid0(VALU_DEP_1)
	v_dual_cndmask_b32 v51, v57, v51, s0 :: v_dual_cndmask_b32 v50, v56, v50, s0
	global_load_b32 v50, v[50:51], off
	global_store_b64 v[60:61], v[48:49], off offset:512
	s_wait_loadcnt 0x0
	global_store_b32 v[62:63], v50, off offset:256
.LBB50_19:                              ;   in Loop: Header=BB50_13 Depth=1
	;; [unrolled: 15-line block ×3, first 2 shown]
	s_wait_xcnt 0x0
	s_or_b32 exec_lo, exec_lo, s10
	v_add_nc_u64_e32 v[60:61], v[34:35], v[26:27]
	v_add_nc_u64_e32 v[62:63], v[32:33], v[8:9]
	;; [unrolled: 1-line block ×3, first 2 shown]
	s_and_saveexec_b32 s10, s38
	s_cbranch_execnz .LBB50_35
; %bb.22:                               ;   in Loop: Header=BB50_13 Depth=1
	s_or_b32 exec_lo, exec_lo, s10
	s_and_saveexec_b32 s10, s30
	s_cbranch_execnz .LBB50_36
.LBB50_23:                              ;   in Loop: Header=BB50_13 Depth=1
	s_or_b32 exec_lo, exec_lo, s10
	s_and_saveexec_b32 s10, s31
	s_cbranch_execnz .LBB50_37
.LBB50_24:                              ;   in Loop: Header=BB50_13 Depth=1
	s_or_b32 exec_lo, exec_lo, s10
	s_and_saveexec_b32 s10, s35
	s_cbranch_execz .LBB50_26
.LBB50_25:                              ;   in Loop: Header=BB50_13 Depth=1
	v_add_nc_u64_e32 v[64:65], 0x180, v[64:65]
	v_add_nc_u64_e32 v[66:67], 0x80, v[58:59]
	s_delay_alu instid0(VALU_DEP_1)
	v_dual_cndmask_b32 v65, v67, v65, s0 :: v_dual_cndmask_b32 v64, v66, v64, s0
	global_load_b32 v64, v[64:65], off
	global_store_b64 v[60:61], v[50:51], off offset:768
	s_wait_loadcnt 0x0
	global_store_b32 v[62:63], v64, off offset:384
.LBB50_26:                              ;   in Loop: Header=BB50_13 Depth=1
	s_wait_xcnt 0x0
	s_or_b32 exec_lo, exec_lo, s10
	v_add_nc_u64_e32 v[60:61], v[42:43], v[26:27]
	v_add_nc_u64_e32 v[62:63], v[40:41], v[8:9]
	;; [unrolled: 1-line block ×3, first 2 shown]
	s_and_saveexec_b32 s10, s39
	s_cbranch_execnz .LBB50_38
; %bb.27:                               ;   in Loop: Header=BB50_13 Depth=1
	s_or_b32 exec_lo, exec_lo, s10
	s_and_saveexec_b32 s10, s40
	s_cbranch_execnz .LBB50_39
.LBB50_28:                              ;   in Loop: Header=BB50_13 Depth=1
	s_or_b32 exec_lo, exec_lo, s10
	s_and_saveexec_b32 s10, s41
	s_cbranch_execnz .LBB50_40
.LBB50_29:                              ;   in Loop: Header=BB50_13 Depth=1
	s_or_b32 exec_lo, exec_lo, s10
	s_and_saveexec_b32 s10, s42
	s_cbranch_execz .LBB50_31
.LBB50_30:                              ;   in Loop: Header=BB50_13 Depth=1
	v_add_nc_u64_e32 v[64:65], 0x180, v[64:65]
	v_add_nc_u64_e32 v[66:67], 0x100, v[58:59]
	s_delay_alu instid0(VALU_DEP_1)
	v_dual_cndmask_b32 v65, v67, v65, s0 :: v_dual_cndmask_b32 v64, v66, v64, s0
	global_load_b32 v64, v[64:65], off
	global_store_b64 v[60:61], v[50:51], off offset:768
	s_wait_loadcnt 0x0
	global_store_b32 v[62:63], v64, off offset:384
.LBB50_31:                              ;   in Loop: Header=BB50_13 Depth=1
	s_wait_xcnt 0x0
	s_or_b32 exec_lo, exec_lo, s10
	v_add_nc_u64_e32 v[60:61], v[36:37], v[26:27]
	v_add_nc_u64_e32 v[62:63], v[38:39], v[8:9]
	v_add_nc_u64_e32 v[64:65], s[22:23], v[10:11]
	s_and_saveexec_b32 s10, s43
	s_cbranch_execnz .LBB50_41
; %bb.32:                               ;   in Loop: Header=BB50_13 Depth=1
	s_or_b32 exec_lo, exec_lo, s10
	s_and_saveexec_b32 s10, s1
	s_cbranch_execnz .LBB50_42
.LBB50_33:                              ;   in Loop: Header=BB50_13 Depth=1
	s_or_b32 exec_lo, exec_lo, s10
	s_and_saveexec_b32 s10, s44
	s_cbranch_execnz .LBB50_43
.LBB50_34:                              ;   in Loop: Header=BB50_13 Depth=1
	s_or_b32 exec_lo, exec_lo, s10
	s_and_saveexec_b32 s10, s45
	s_cbranch_execz .LBB50_12
	s_branch .LBB50_44
.LBB50_35:                              ;   in Loop: Header=BB50_13 Depth=1
	v_add_nc_u64_e32 v[66:67], 0x80, v[54:55]
	s_delay_alu instid0(VALU_DEP_1)
	v_dual_cndmask_b32 v67, v67, v65, s0 :: v_dual_cndmask_b32 v66, v66, v64, s0
	global_load_b32 v66, v[66:67], off
	global_store_b64 v[60:61], v[46:47], off
	s_wait_loadcnt 0x0
	global_store_b32 v[62:63], v66, off
	s_wait_xcnt 0x0
	s_or_b32 exec_lo, exec_lo, s10
	s_and_saveexec_b32 s10, s30
	s_cbranch_execz .LBB50_23
.LBB50_36:                              ;   in Loop: Header=BB50_13 Depth=1
	s_delay_alu instid0(VALU_DEP_1)
	v_dual_cndmask_b32 v67, v53, v65, s0 :: v_dual_cndmask_b32 v66, v52, v64, s0
	global_load_b32 v66, v[66:67], off offset:128
	global_store_b64 v[60:61], v[44:45], off offset:256
	s_wait_loadcnt 0x0
	global_store_b32 v[62:63], v66, off offset:128
	s_wait_xcnt 0x0
	s_or_b32 exec_lo, exec_lo, s10
	s_and_saveexec_b32 s10, s31
	s_cbranch_execz .LBB50_24
.LBB50_37:                              ;   in Loop: Header=BB50_13 Depth=1
	v_add_nc_u64_e32 v[66:67], 0x100, v[64:65]
	v_add_nc_u64_e32 v[68:69], 0x80, v[56:57]
	s_delay_alu instid0(VALU_DEP_1)
	v_dual_cndmask_b32 v67, v69, v67, s0 :: v_dual_cndmask_b32 v66, v68, v66, s0
	global_load_b32 v66, v[66:67], off
	global_store_b64 v[60:61], v[48:49], off offset:512
	s_wait_loadcnt 0x0
	global_store_b32 v[62:63], v66, off offset:256
	s_wait_xcnt 0x0
	s_or_b32 exec_lo, exec_lo, s10
	s_and_saveexec_b32 s10, s35
	s_cbranch_execnz .LBB50_25
	s_branch .LBB50_26
.LBB50_38:                              ;   in Loop: Header=BB50_13 Depth=1
	v_add_nc_u64_e32 v[66:67], 0x100, v[54:55]
	s_delay_alu instid0(VALU_DEP_1)
	v_dual_cndmask_b32 v67, v67, v65, s0 :: v_dual_cndmask_b32 v66, v66, v64, s0
	global_load_b32 v66, v[66:67], off
	global_store_b64 v[60:61], v[46:47], off
	s_wait_loadcnt 0x0
	global_store_b32 v[62:63], v66, off
	s_wait_xcnt 0x0
	s_or_b32 exec_lo, exec_lo, s10
	s_and_saveexec_b32 s10, s40
	s_cbranch_execz .LBB50_28
.LBB50_39:                              ;   in Loop: Header=BB50_13 Depth=1
	s_delay_alu instid0(VALU_DEP_1) | instskip(SKIP_1) | instid1(VALU_DEP_1)
	v_add_nc_u64_e32 v[66:67], 0x80, v[64:65]
	v_add_nc_u64_e32 v[68:69], 0x100, v[52:53]
	v_dual_cndmask_b32 v67, v69, v67, s0 :: v_dual_cndmask_b32 v66, v68, v66, s0
	global_load_b32 v66, v[66:67], off
	global_store_b64 v[60:61], v[44:45], off offset:256
	s_wait_loadcnt 0x0
	global_store_b32 v[62:63], v66, off offset:128
	s_wait_xcnt 0x0
	s_or_b32 exec_lo, exec_lo, s10
	s_and_saveexec_b32 s10, s41
	s_cbranch_execz .LBB50_29
.LBB50_40:                              ;   in Loop: Header=BB50_13 Depth=1
	v_dual_cndmask_b32 v67, v57, v65, s0 :: v_dual_cndmask_b32 v66, v56, v64, s0
	global_load_b32 v66, v[66:67], off offset:256
	global_store_b64 v[60:61], v[48:49], off offset:512
	s_wait_loadcnt 0x0
	global_store_b32 v[62:63], v66, off offset:256
	s_wait_xcnt 0x0
	s_or_b32 exec_lo, exec_lo, s10
	s_and_saveexec_b32 s10, s42
	s_cbranch_execnz .LBB50_30
	s_branch .LBB50_31
.LBB50_41:                              ;   in Loop: Header=BB50_13 Depth=1
	v_add_nc_u64_e32 v[54:55], 0x180, v[54:55]
	s_delay_alu instid0(VALU_DEP_1)
	v_dual_cndmask_b32 v55, v55, v65, s0 :: v_dual_cndmask_b32 v54, v54, v64, s0
	global_load_b32 v54, v[54:55], off
	global_store_b64 v[60:61], v[46:47], off
	s_wait_loadcnt 0x0
	global_store_b32 v[62:63], v54, off
	s_wait_xcnt 0x0
	s_or_b32 exec_lo, exec_lo, s10
	s_and_saveexec_b32 s10, s1
	s_cbranch_execz .LBB50_33
.LBB50_42:                              ;   in Loop: Header=BB50_13 Depth=1
	s_delay_alu instid0(VALU_DEP_1) | instskip(SKIP_1) | instid1(VALU_DEP_1)
	v_add_nc_u64_e32 v[46:47], 0x80, v[64:65]
	v_add_nc_u64_e32 v[52:53], 0x180, v[52:53]
	v_dual_cndmask_b32 v47, v53, v47, s0 :: v_dual_cndmask_b32 v46, v52, v46, s0
	global_load_b32 v46, v[46:47], off
	global_store_b64 v[60:61], v[44:45], off offset:256
	s_wait_loadcnt 0x0
	global_store_b32 v[62:63], v46, off offset:128
	s_wait_xcnt 0x0
	s_or_b32 exec_lo, exec_lo, s10
	s_and_saveexec_b32 s10, s44
	s_cbranch_execz .LBB50_34
.LBB50_43:                              ;   in Loop: Header=BB50_13 Depth=1
	v_add_nc_u64_e32 v[44:45], 0x100, v[64:65]
	v_add_nc_u64_e32 v[46:47], 0x180, v[56:57]
	s_delay_alu instid0(VALU_DEP_1)
	v_dual_cndmask_b32 v45, v47, v45, s0 :: v_dual_cndmask_b32 v44, v46, v44, s0
	global_load_b32 v44, v[44:45], off
	global_store_b64 v[60:61], v[48:49], off offset:512
	s_wait_loadcnt 0x0
	global_store_b32 v[62:63], v44, off offset:256
	s_wait_xcnt 0x0
	s_or_b32 exec_lo, exec_lo, s10
	s_and_saveexec_b32 s10, s45
	s_cbranch_execz .LBB50_12
.LBB50_44:                              ;   in Loop: Header=BB50_13 Depth=1
	v_dual_cndmask_b32 v45, v59, v65, s0 :: v_dual_cndmask_b32 v44, v58, v64, s0
	global_load_b32 v44, v[44:45], off offset:384
	global_store_b64 v[60:61], v[50:51], off offset:768
	s_wait_loadcnt 0x0
	global_store_b32 v[62:63], v44, off offset:384
	s_branch .LBB50_12
.LBB50_45:
	s_sendmsg sendmsg(MSG_DEALLOC_VGPRS)
	s_endpgm
	.section	.rodata,"a",@progbits
	.p2align	6, 0x0
	.amdhsa_kernel _ZN9rocsparseL35bsr2csr_block_per_row_33_256_kernelILj1024ELj128ELj32EillEEv20rocsparse_direction_T4_S2_21rocsparse_index_base_PKT2_PKT3_PKS2_S2_S3_PS4_PS7_PS2_
		.amdhsa_group_segment_fixed_size 0
		.amdhsa_private_segment_fixed_size 0
		.amdhsa_kernarg_size 96
		.amdhsa_user_sgpr_count 2
		.amdhsa_user_sgpr_dispatch_ptr 0
		.amdhsa_user_sgpr_queue_ptr 0
		.amdhsa_user_sgpr_kernarg_segment_ptr 1
		.amdhsa_user_sgpr_dispatch_id 0
		.amdhsa_user_sgpr_kernarg_preload_length 0
		.amdhsa_user_sgpr_kernarg_preload_offset 0
		.amdhsa_user_sgpr_private_segment_size 0
		.amdhsa_wavefront_size32 1
		.amdhsa_uses_dynamic_stack 0
		.amdhsa_enable_private_segment 0
		.amdhsa_system_sgpr_workgroup_id_x 1
		.amdhsa_system_sgpr_workgroup_id_y 0
		.amdhsa_system_sgpr_workgroup_id_z 0
		.amdhsa_system_sgpr_workgroup_info 0
		.amdhsa_system_vgpr_workitem_id 0
		.amdhsa_next_free_vgpr 70
		.amdhsa_next_free_sgpr 46
		.amdhsa_named_barrier_count 0
		.amdhsa_reserve_vcc 1
		.amdhsa_float_round_mode_32 0
		.amdhsa_float_round_mode_16_64 0
		.amdhsa_float_denorm_mode_32 3
		.amdhsa_float_denorm_mode_16_64 3
		.amdhsa_fp16_overflow 0
		.amdhsa_memory_ordered 1
		.amdhsa_forward_progress 1
		.amdhsa_inst_pref_size 22
		.amdhsa_round_robin_scheduling 0
		.amdhsa_exception_fp_ieee_invalid_op 0
		.amdhsa_exception_fp_denorm_src 0
		.amdhsa_exception_fp_ieee_div_zero 0
		.amdhsa_exception_fp_ieee_overflow 0
		.amdhsa_exception_fp_ieee_underflow 0
		.amdhsa_exception_fp_ieee_inexact 0
		.amdhsa_exception_int_div_zero 0
	.end_amdhsa_kernel
	.section	.text._ZN9rocsparseL35bsr2csr_block_per_row_33_256_kernelILj1024ELj128ELj32EillEEv20rocsparse_direction_T4_S2_21rocsparse_index_base_PKT2_PKT3_PKS2_S2_S3_PS4_PS7_PS2_,"axG",@progbits,_ZN9rocsparseL35bsr2csr_block_per_row_33_256_kernelILj1024ELj128ELj32EillEEv20rocsparse_direction_T4_S2_21rocsparse_index_base_PKT2_PKT3_PKS2_S2_S3_PS4_PS7_PS2_,comdat
.Lfunc_end50:
	.size	_ZN9rocsparseL35bsr2csr_block_per_row_33_256_kernelILj1024ELj128ELj32EillEEv20rocsparse_direction_T4_S2_21rocsparse_index_base_PKT2_PKT3_PKS2_S2_S3_PS4_PS7_PS2_, .Lfunc_end50-_ZN9rocsparseL35bsr2csr_block_per_row_33_256_kernelILj1024ELj128ELj32EillEEv20rocsparse_direction_T4_S2_21rocsparse_index_base_PKT2_PKT3_PKS2_S2_S3_PS4_PS7_PS2_
                                        ; -- End function
	.set _ZN9rocsparseL35bsr2csr_block_per_row_33_256_kernelILj1024ELj128ELj32EillEEv20rocsparse_direction_T4_S2_21rocsparse_index_base_PKT2_PKT3_PKS2_S2_S3_PS4_PS7_PS2_.num_vgpr, 70
	.set _ZN9rocsparseL35bsr2csr_block_per_row_33_256_kernelILj1024ELj128ELj32EillEEv20rocsparse_direction_T4_S2_21rocsparse_index_base_PKT2_PKT3_PKS2_S2_S3_PS4_PS7_PS2_.num_agpr, 0
	.set _ZN9rocsparseL35bsr2csr_block_per_row_33_256_kernelILj1024ELj128ELj32EillEEv20rocsparse_direction_T4_S2_21rocsparse_index_base_PKT2_PKT3_PKS2_S2_S3_PS4_PS7_PS2_.numbered_sgpr, 46
	.set _ZN9rocsparseL35bsr2csr_block_per_row_33_256_kernelILj1024ELj128ELj32EillEEv20rocsparse_direction_T4_S2_21rocsparse_index_base_PKT2_PKT3_PKS2_S2_S3_PS4_PS7_PS2_.num_named_barrier, 0
	.set _ZN9rocsparseL35bsr2csr_block_per_row_33_256_kernelILj1024ELj128ELj32EillEEv20rocsparse_direction_T4_S2_21rocsparse_index_base_PKT2_PKT3_PKS2_S2_S3_PS4_PS7_PS2_.private_seg_size, 0
	.set _ZN9rocsparseL35bsr2csr_block_per_row_33_256_kernelILj1024ELj128ELj32EillEEv20rocsparse_direction_T4_S2_21rocsparse_index_base_PKT2_PKT3_PKS2_S2_S3_PS4_PS7_PS2_.uses_vcc, 1
	.set _ZN9rocsparseL35bsr2csr_block_per_row_33_256_kernelILj1024ELj128ELj32EillEEv20rocsparse_direction_T4_S2_21rocsparse_index_base_PKT2_PKT3_PKS2_S2_S3_PS4_PS7_PS2_.uses_flat_scratch, 0
	.set _ZN9rocsparseL35bsr2csr_block_per_row_33_256_kernelILj1024ELj128ELj32EillEEv20rocsparse_direction_T4_S2_21rocsparse_index_base_PKT2_PKT3_PKS2_S2_S3_PS4_PS7_PS2_.has_dyn_sized_stack, 0
	.set _ZN9rocsparseL35bsr2csr_block_per_row_33_256_kernelILj1024ELj128ELj32EillEEv20rocsparse_direction_T4_S2_21rocsparse_index_base_PKT2_PKT3_PKS2_S2_S3_PS4_PS7_PS2_.has_recursion, 0
	.set _ZN9rocsparseL35bsr2csr_block_per_row_33_256_kernelILj1024ELj128ELj32EillEEv20rocsparse_direction_T4_S2_21rocsparse_index_base_PKT2_PKT3_PKS2_S2_S3_PS4_PS7_PS2_.has_indirect_call, 0
	.section	.AMDGPU.csdata,"",@progbits
; Kernel info:
; codeLenInByte = 2792
; TotalNumSgprs: 48
; NumVgprs: 70
; ScratchSize: 0
; MemoryBound: 0
; FloatMode: 240
; IeeeMode: 1
; LDSByteSize: 0 bytes/workgroup (compile time only)
; SGPRBlocks: 0
; VGPRBlocks: 4
; NumSGPRsForWavesPerEU: 48
; NumVGPRsForWavesPerEU: 70
; NamedBarCnt: 0
; Occupancy: 12
; WaveLimiterHint : 1
; COMPUTE_PGM_RSRC2:SCRATCH_EN: 0
; COMPUTE_PGM_RSRC2:USER_SGPR: 2
; COMPUTE_PGM_RSRC2:TRAP_HANDLER: 0
; COMPUTE_PGM_RSRC2:TGID_X_EN: 1
; COMPUTE_PGM_RSRC2:TGID_Y_EN: 0
; COMPUTE_PGM_RSRC2:TGID_Z_EN: 0
; COMPUTE_PGM_RSRC2:TIDIG_COMP_CNT: 0
	.section	.text._ZN9rocsparseL35bsr2csr_block_per_row_33_256_kernelILj1024ELj256ELj32EillEEv20rocsparse_direction_T4_S2_21rocsparse_index_base_PKT2_PKT3_PKS2_S2_S3_PS4_PS7_PS2_,"axG",@progbits,_ZN9rocsparseL35bsr2csr_block_per_row_33_256_kernelILj1024ELj256ELj32EillEEv20rocsparse_direction_T4_S2_21rocsparse_index_base_PKT2_PKT3_PKS2_S2_S3_PS4_PS7_PS2_,comdat
	.globl	_ZN9rocsparseL35bsr2csr_block_per_row_33_256_kernelILj1024ELj256ELj32EillEEv20rocsparse_direction_T4_S2_21rocsparse_index_base_PKT2_PKT3_PKS2_S2_S3_PS4_PS7_PS2_ ; -- Begin function _ZN9rocsparseL35bsr2csr_block_per_row_33_256_kernelILj1024ELj256ELj32EillEEv20rocsparse_direction_T4_S2_21rocsparse_index_base_PKT2_PKT3_PKS2_S2_S3_PS4_PS7_PS2_
	.p2align	8
	.type	_ZN9rocsparseL35bsr2csr_block_per_row_33_256_kernelILj1024ELj256ELj32EillEEv20rocsparse_direction_T4_S2_21rocsparse_index_base_PKT2_PKT3_PKS2_S2_S3_PS4_PS7_PS2_,@function
_ZN9rocsparseL35bsr2csr_block_per_row_33_256_kernelILj1024ELj256ELj32EillEEv20rocsparse_direction_T4_S2_21rocsparse_index_base_PKT2_PKT3_PKS2_S2_S3_PS4_PS7_PS2_: ; @_ZN9rocsparseL35bsr2csr_block_per_row_33_256_kernelILj1024ELj256ELj32EillEEv20rocsparse_direction_T4_S2_21rocsparse_index_base_PKT2_PKT3_PKS2_S2_S3_PS4_PS7_PS2_
; %bb.0:
	s_load_b64 s[6:7], s[0:1], 0x28
	s_bfe_u32 s2, ttmp6, 0x4000c
	s_and_b32 s3, ttmp6, 15
	s_add_co_i32 s2, s2, 1
	s_getreg_b32 s4, hwreg(HW_REG_IB_STS2, 6, 4)
	s_mul_i32 s2, ttmp9, s2
	s_mov_b32 s17, 0
	s_add_co_i32 s3, s3, s2
	s_cmp_eq_u32 s4, 0
	s_clause 0x1
	s_load_b32 s18, s[0:1], 0x40
	s_load_b64 s[4:5], s[0:1], 0x50
	s_cselect_b32 s2, ttmp9, s3
	s_mov_b32 s3, s17
	v_or_b32_e32 v1, s2, v0
	s_lshl_b64 s[8:9], s[2:3], 3
	s_mov_b32 s19, s17
	s_wait_kmcnt 0x0
	s_add_nc_u64 s[6:7], s[6:7], s[8:9]
	s_load_b128 s[12:15], s[6:7], 0x0
	s_wait_xcnt 0x0
	s_mov_b32 s6, exec_lo
	v_cmpx_eq_u32_e32 0, v1
	s_cbranch_execz .LBB51_2
; %bb.1:
	v_mov_b64_e32 v[2:3], s[18:19]
	v_mov_b32_e32 v1, 0
	global_store_b64 v1, v[2:3], s[4:5]
.LBB51_2:
	s_wait_xcnt 0x0
	s_or_b32 exec_lo, exec_lo, s6
	s_clause 0x1
	s_load_b32 s16, s[0:1], 0x18
	s_load_b64 s[20:21], s[0:1], 0x38
	v_dual_mov_b32 v51, 0 :: v_dual_lshrrev_b32 v50, 5, v0
	s_wait_kmcnt 0x0
	s_sub_nc_u64 s[22:23], s[12:13], s[16:17]
	s_sub_nc_u64 s[24:25], s[14:15], s[16:17]
	s_mul_u64 s[8:9], s[20:21], s[22:23]
	s_mul_u64 s[6:7], s[20:21], s[2:3]
	v_cmp_gt_i64_e64 s2, s[20:21], v[50:51]
	s_sub_nc_u64 s[42:43], s[24:25], s[22:23]
	s_mul_u64 s[8:9], s[8:9], s[20:21]
	s_mul_u64 s[10:11], s[42:43], s[20:21]
	s_add_nc_u64 s[8:9], s[8:9], s[18:19]
	s_lshl_b64 s[6:7], s[6:7], 3
	s_add_nc_u64 s[28:29], s[8:9], s[10:11]
	s_add_nc_u64 s[26:27], s[4:5], s[6:7]
	s_and_saveexec_b32 s3, s2
	s_cbranch_execz .LBB51_4
; %bb.3:
	v_mad_nc_u64_u32 v[2:3], v50, s10, s[28:29]
	s_delay_alu instid0(VALU_DEP_1)
	v_mad_u32 v3, v50, s11, v3
	global_store_b64 v50, v[2:3], s[26:27] offset:8 scale_offset
.LBB51_4:
	s_wait_xcnt 0x0
	s_or_b32 exec_lo, exec_lo, s3
	v_dual_mov_b32 v3, v51 :: v_dual_bitop2_b32 v2, 32, v50 bitop3:0x54
	s_delay_alu instid0(VALU_DEP_1)
	v_cmp_gt_i64_e64 s3, s[20:21], v[2:3]
	s_and_saveexec_b32 s4, s3
	s_cbranch_execz .LBB51_6
; %bb.5:
	v_mad_nc_u64_u32 v[4:5], v2, s10, s[28:29]
	s_delay_alu instid0(VALU_DEP_1)
	v_mad_u32 v5, v2, s11, v5
	global_store_b64 v50, v[4:5], s[26:27] offset:264 scale_offset
.LBB51_6:
	s_wait_xcnt 0x0
	s_or_b32 exec_lo, exec_lo, s4
	v_dual_mov_b32 v3, v51 :: v_dual_bitop2_b32 v2, 64, v50 bitop3:0x54
	s_delay_alu instid0(VALU_DEP_1)
	v_cmp_gt_i64_e64 s4, s[20:21], v[2:3]
	s_and_saveexec_b32 s5, s4
	s_cbranch_execz .LBB51_8
; %bb.7:
	v_mad_nc_u64_u32 v[4:5], v2, s10, s[28:29]
	s_delay_alu instid0(VALU_DEP_1)
	v_mad_u32 v5, v2, s11, v5
	global_store_b64 v50, v[4:5], s[26:27] offset:520 scale_offset
.LBB51_8:
	s_wait_xcnt 0x0
	s_or_b32 exec_lo, exec_lo, s5
	v_or_b32_e32 v2, 0x60, v50
	v_mov_b32_e32 v3, v51
	s_delay_alu instid0(VALU_DEP_1)
	v_cmp_gt_i64_e64 s5, s[20:21], v[2:3]
	s_and_saveexec_b32 s6, s5
	s_cbranch_execz .LBB51_10
; %bb.9:
	v_mad_nc_u64_u32 v[4:5], v2, s10, s[28:29]
	s_delay_alu instid0(VALU_DEP_1)
	v_mad_u32 v5, v2, s11, v5
	global_store_b64 v50, v[4:5], s[26:27] offset:776 scale_offset
.LBB51_10:
	s_wait_xcnt 0x0
	s_or_b32 exec_lo, exec_lo, s6
	v_or_b32_e32 v2, 0x80, v50
	v_mov_b32_e32 v3, v51
	;; [unrolled: 14-line block ×5, first 2 shown]
	s_delay_alu instid0(VALU_DEP_1)
	v_cmp_gt_i64_e64 s9, s[20:21], v[2:3]
	s_and_saveexec_b32 s30, s9
	s_cbranch_execz .LBB51_18
; %bb.17:
	v_mad_nc_u64_u32 v[4:5], v2, s10, s[28:29]
	s_delay_alu instid0(VALU_DEP_1)
	v_mad_u32 v5, v2, s11, v5
	global_store_b64 v50, v[4:5], s[26:27] offset:1800 scale_offset
.LBB51_18:
	s_wait_xcnt 0x0
	s_or_b32 exec_lo, exec_lo, s30
	v_cmp_lt_i64_e64 s10, s[12:13], s[14:15]
	s_and_b32 vcc_lo, exec_lo, s10
	s_cbranch_vccz .LBB51_149
; %bb.19:
	v_dual_mov_b32 v1, 0 :: v_dual_bitop2_b32 v2, 31, v0 bitop3:0x40
	v_mul_u64_e32 v[4:5], s[42:43], v[50:51]
	s_clause 0x4
	s_load_b64 s[28:29], s[0:1], 0x20
	s_load_b64 s[30:31], s[0:1], 0x30
	;; [unrolled: 1-line block ×3, first 2 shown]
	s_load_b32 s15, s[0:1], 0x0
	s_load_b64 s[26:27], s[0:1], 0x58
	v_dual_mov_b32 v3, v1 :: v_dual_bitop2_b32 v10, 32, v2 bitop3:0x54
	v_mul_u64_e32 v[8:9], s[20:21], v[50:51]
	v_dual_mov_b32 v11, v1 :: v_dual_bitop2_b32 v12, 64, v2 bitop3:0x54
	s_delay_alu instid0(VALU_DEP_3)
	v_mul_u64_e32 v[6:7], s[20:21], v[2:3]
	v_dual_mov_b32 v13, v1 :: v_dual_mov_b32 v15, v1
	v_or_b32_e32 v14, 0x60, v2
	v_or_b32_e32 v16, 0x80, v2
	v_dual_mov_b32 v17, v1 :: v_dual_mov_b32 v19, v1
	v_or_b32_e32 v18, 0xa0, v2
	v_or_b32_e32 v20, 0xc0, v2
	v_dual_mov_b32 v21, v1 :: v_dual_mov_b32 v23, v1
	v_or_b32_e32 v22, 0xe0, v2
	v_cmp_gt_i64_e32 vcc_lo, s[20:21], v[2:3]
	s_wait_kmcnt 0x0
	s_cmp_eq_u32 s15, 0
	v_cmp_gt_i64_e64 s1, s[20:21], v[10:11]
	s_cselect_b32 s0, -1, 0
	s_lshl_b64 s[96:97], s[42:43], 5
	s_lshl_b64 s[40:41], s[20:21], 5
	v_cmp_gt_i64_e64 s10, s[20:21], v[12:13]
	v_cmp_gt_i64_e64 s11, s[20:21], v[14:15]
	;; [unrolled: 1-line block ×6, first 2 shown]
	v_add_nc_u64_e32 v[30:31], s[96:97], v[4:5]
	v_dual_mov_b32 v51, v1 :: v_dual_lshlrev_b32 v50, 2, v50
	s_mul_u64 s[36:37], s[20:21], s[20:21]
	s_and_b32 s33, s2, vcc_lo
	s_mul_u64 s[38:39], s[22:23], s[36:37]
	s_and_b32 s44, s2, s1
	s_delay_alu instid0(VALU_DEP_2)
	v_add_nc_u64_e32 v[34:35], s[96:97], v[30:31]
	v_add_nc_u64_e32 v[24:25], s[40:41], v[6:7]
	s_and_b32 s45, s2, s10
	s_and_b32 s46, s2, s11
	;; [unrolled: 1-line block ×5, first 2 shown]
	v_add_nc_u64_e32 v[38:39], s[96:97], v[34:35]
	v_add_nc_u64_e32 v[26:27], s[40:41], v[24:25]
	s_and_b32 s50, s2, s15
	s_and_b32 s42, s3, vcc_lo
	s_and_b32 s43, s3, s1
	s_and_b32 s51, s3, s10
	;; [unrolled: 1-line block ×3, first 2 shown]
	v_add_nc_u64_e32 v[42:43], s[96:97], v[38:39]
	v_add_nc_u64_e32 v[28:29], s[40:41], v[26:27]
	s_and_b32 s53, s3, s12
	s_and_b32 s54, s3, s13
	;; [unrolled: 1-line block ×4, first 2 shown]
	s_and_b32 s57, s4, vcc_lo
	v_add_nc_u64_e32 v[44:45], s[96:97], v[42:43]
	v_add_nc_u64_e32 v[32:33], s[40:41], v[28:29]
	s_and_b32 s58, s4, s1
	s_and_b32 s59, s4, s10
	;; [unrolled: 1-line block ×5, first 2 shown]
	v_add_nc_u64_e32 v[46:47], s[96:97], v[44:45]
	v_add_nc_u64_e32 v[36:37], s[40:41], v[32:33]
	s_and_b32 s63, s4, s14
	s_and_b32 s64, s4, s15
	s_and_b32 s65, s5, vcc_lo
	s_and_b32 s66, s5, s1
	s_and_b32 s67, s5, s10
	v_add_nc_u64_e32 v[48:49], s[96:97], v[46:47]
	v_add_nc_u64_e32 v[40:41], s[40:41], v[36:37]
	s_and_b32 s68, s5, s11
	s_and_b32 s69, s5, s12
	s_and_b32 s70, s5, s13
	s_and_b32 s71, s5, s14
	s_and_b32 s72, s5, s15
	s_and_b32 s73, s6, vcc_lo
	s_and_b32 s74, s6, s1
	s_and_b32 s75, s6, s10
	s_and_b32 s76, s6, s11
	s_and_b32 s77, s6, s12
	s_and_b32 s78, s6, s13
	s_and_b32 s79, s6, s14
	s_and_b32 s80, s6, s15
	s_and_b32 s81, s7, vcc_lo
	s_and_b32 s82, s7, s1
	s_and_b32 s83, s7, s10
	;; [unrolled: 8-line block ×4, first 2 shown]
	s_and_b32 s11, s9, s11
	s_and_b32 s12, s9, s12
	s_and_b32 s13, s9, s13
	s_and_b32 s14, s9, s14
	s_and_b32 s9, s9, s15
	s_mov_b64 s[2:3], s[22:23]
	s_branch .LBB51_21
.LBB51_20:                              ;   in Loop: Header=BB51_21 Depth=1
	s_wait_xcnt 0x0
	s_or_b32 exec_lo, exec_lo, s4
	s_add_nc_u64 s[2:3], s[2:3], 1
	s_delay_alu instid0(SALU_CYCLE_1)
	v_cmp_ge_i64_e64 s4, s[2:3], s[24:25]
	s_and_b32 vcc_lo, exec_lo, s4
	s_cbranch_vccnz .LBB51_149
.LBB51_21:                              ; =>This Inner Loop Header: Depth=1
	s_sub_nc_u64 s[4:5], s[2:3], s[22:23]
	s_lshl_b64 s[6:7], s[2:3], 3
	v_add_nc_u64_e32 v[52:53], s[4:5], v[4:5]
	s_add_nc_u64 s[6:7], s[30:31], s[6:7]
	s_mul_u64 s[98:99], s[2:3], s[36:37]
	s_load_b64 s[6:7], s[6:7], 0x0
	s_lshl_b64 s[98:99], s[98:99], 2
	s_delay_alu instid0(SALU_CYCLE_1) | instskip(NEXT) | instid1(VALU_DEP_1)
	s_add_nc_u64 s[98:99], s[28:29], s[98:99]
	v_mad_nc_u64_u32 v[54:55], v52, s20, s[38:39]
	v_add_nc_u64_e32 v[82:83], s[98:99], v[50:51]
	v_lshl_add_u64 v[84:85], v[8:9], 2, s[98:99]
	s_delay_alu instid0(VALU_DEP_2) | instskip(NEXT) | instid1(VALU_DEP_4)
	v_lshl_add_u64 v[66:67], v[6:7], 2, v[82:83]
	v_mad_u32 v0, v53, s20, v55
	s_wait_kmcnt 0x0
	s_sub_nc_u64 s[6:7], s[6:7], s[16:17]
	s_delay_alu instid0(SALU_CYCLE_1) | instskip(NEXT) | instid1(SALU_CYCLE_1)
	s_mul_u64 s[6:7], s[6:7], s[20:21]
	s_add_nc_u64 s[6:7], s[6:7], s[18:19]
	s_delay_alu instid0(VALU_DEP_1) | instskip(SKIP_2) | instid1(VALU_DEP_3)
	v_mad_u32 v55, v52, s21, v0
	v_add_nc_u64_e32 v[52:53], s[6:7], v[2:3]
	v_lshlrev_b32_e32 v0, 2, v2
	v_add_nc_u64_e32 v[54:55], v[54:55], v[2:3]
	s_delay_alu instid0(VALU_DEP_1)
	v_lshl_add_u64 v[86:87], v[54:55], 3, s[26:27]
	v_lshl_add_u64 v[88:89], v[54:55], 2, s[34:35]
	s_and_saveexec_b32 s15, s33
	s_cbranch_execz .LBB51_23
; %bb.22:                               ;   in Loop: Header=BB51_21 Depth=1
	v_add_nc_u64_e32 v[54:55], v[84:85], v[0:1]
	s_delay_alu instid0(VALU_DEP_1)
	v_dual_cndmask_b32 v55, v67, v55, s0 :: v_dual_cndmask_b32 v54, v66, v54, s0
	global_load_b32 v54, v[54:55], off
	global_store_b64 v[86:87], v[52:53], off
	s_wait_loadcnt 0x0
	global_store_b32 v[88:89], v54, off
.LBB51_23:                              ;   in Loop: Header=BB51_21 Depth=1
	s_wait_xcnt 0x0
	s_or_b32 exec_lo, exec_lo, s15
	v_add_nc_u64_e32 v[54:55], s[6:7], v[10:11]
	v_lshl_add_u64 v[80:81], v[24:25], 2, v[82:83]
	s_and_saveexec_b32 s15, s44
	s_cbranch_execz .LBB51_25
; %bb.24:                               ;   in Loop: Header=BB51_21 Depth=1
	v_add_nc_u64_e32 v[56:57], v[84:85], v[0:1]
	s_delay_alu instid0(VALU_DEP_1) | instskip(NEXT) | instid1(VALU_DEP_1)
	v_add_nc_u64_e32 v[56:57], 0x80, v[56:57]
	v_dual_cndmask_b32 v57, v81, v57, s0 :: v_dual_cndmask_b32 v56, v80, v56, s0
	global_load_b32 v56, v[56:57], off
	global_store_b64 v[86:87], v[54:55], off offset:256
	s_wait_loadcnt 0x0
	global_store_b32 v[88:89], v56, off offset:128
.LBB51_25:                              ;   in Loop: Header=BB51_21 Depth=1
	s_wait_xcnt 0x0
	s_or_b32 exec_lo, exec_lo, s15
	v_add_nc_u64_e32 v[56:57], s[6:7], v[12:13]
	v_lshl_add_u64 v[78:79], v[26:27], 2, v[82:83]
	s_and_saveexec_b32 s15, s45
	s_cbranch_execz .LBB51_27
; %bb.26:                               ;   in Loop: Header=BB51_21 Depth=1
	v_add_nc_u64_e32 v[58:59], v[84:85], v[0:1]
	s_delay_alu instid0(VALU_DEP_1) | instskip(NEXT) | instid1(VALU_DEP_1)
	v_add_nc_u64_e32 v[58:59], 0x100, v[58:59]
	v_dual_cndmask_b32 v59, v79, v59, s0 :: v_dual_cndmask_b32 v58, v78, v58, s0
	global_load_b32 v58, v[58:59], off
	global_store_b64 v[86:87], v[56:57], off offset:512
	s_wait_loadcnt 0x0
	global_store_b32 v[88:89], v58, off offset:256
.LBB51_27:                              ;   in Loop: Header=BB51_21 Depth=1
	;; [unrolled: 16-line block ×6, first 2 shown]
	s_wait_xcnt 0x0
	s_or_b32 exec_lo, exec_lo, s15
	v_add_nc_u64_e32 v[90:91], s[40:41], v[40:41]
	v_add_nc_u64_e32 v[68:69], s[6:7], v[22:23]
	s_delay_alu instid0(VALU_DEP_2)
	v_lshl_add_u64 v[82:83], v[90:91], 2, v[82:83]
	s_and_saveexec_b32 s6, s50
	s_cbranch_execz .LBB51_37
; %bb.36:                               ;   in Loop: Header=BB51_21 Depth=1
	v_add_nc_u64_e32 v[90:91], v[84:85], v[0:1]
	s_delay_alu instid0(VALU_DEP_1) | instskip(NEXT) | instid1(VALU_DEP_1)
	v_add_nc_u64_e32 v[90:91], 0x380, v[90:91]
	v_dual_cndmask_b32 v91, v83, v91, s0 :: v_dual_cndmask_b32 v90, v82, v90, s0
	global_load_b32 v90, v[90:91], off
	global_store_b64 v[86:87], v[68:69], off offset:1792
	s_wait_loadcnt 0x0
	global_store_b32 v[88:89], v90, off offset:896
.LBB51_37:                              ;   in Loop: Header=BB51_21 Depth=1
	s_wait_xcnt 0x0
	s_or_b32 exec_lo, exec_lo, s6
	v_add_nc_u64_e32 v[86:87], s[4:5], v[30:31]
	v_lshl_add_u64 v[84:85], s[40:41], 2, v[84:85]
	s_delay_alu instid0(VALU_DEP_2) | instskip(NEXT) | instid1(VALU_DEP_1)
	v_mad_nc_u64_u32 v[88:89], v86, s20, s[38:39]
	v_mad_u32 v87, v87, s20, v89
	s_delay_alu instid0(VALU_DEP_1) | instskip(NEXT) | instid1(VALU_DEP_1)
	v_mad_u32 v89, v86, s21, v87
	v_add_nc_u64_e32 v[88:89], v[88:89], v[2:3]
	s_delay_alu instid0(VALU_DEP_1)
	v_lshl_add_u64 v[86:87], v[88:89], 3, s[26:27]
	v_lshl_add_u64 v[88:89], v[88:89], 2, s[34:35]
	s_and_saveexec_b32 s6, s42
	s_cbranch_execnz .LBB51_99
; %bb.38:                               ;   in Loop: Header=BB51_21 Depth=1
	s_or_b32 exec_lo, exec_lo, s6
	s_and_saveexec_b32 s6, s43
	s_cbranch_execnz .LBB51_100
.LBB51_39:                              ;   in Loop: Header=BB51_21 Depth=1
	s_or_b32 exec_lo, exec_lo, s6
	s_and_saveexec_b32 s6, s51
	s_cbranch_execnz .LBB51_101
.LBB51_40:                              ;   in Loop: Header=BB51_21 Depth=1
	s_or_b32 exec_lo, exec_lo, s6
	s_and_saveexec_b32 s6, s52
	s_cbranch_execnz .LBB51_102
.LBB51_41:                              ;   in Loop: Header=BB51_21 Depth=1
	s_or_b32 exec_lo, exec_lo, s6
	s_and_saveexec_b32 s6, s53
	s_cbranch_execnz .LBB51_103
.LBB51_42:                              ;   in Loop: Header=BB51_21 Depth=1
	s_or_b32 exec_lo, exec_lo, s6
	s_and_saveexec_b32 s6, s54
	s_cbranch_execnz .LBB51_104
.LBB51_43:                              ;   in Loop: Header=BB51_21 Depth=1
	s_or_b32 exec_lo, exec_lo, s6
	s_and_saveexec_b32 s6, s55
	s_cbranch_execnz .LBB51_105
.LBB51_44:                              ;   in Loop: Header=BB51_21 Depth=1
	s_or_b32 exec_lo, exec_lo, s6
	s_and_saveexec_b32 s6, s56
	s_cbranch_execz .LBB51_46
.LBB51_45:                              ;   in Loop: Header=BB51_21 Depth=1
	v_add_nc_u64_e32 v[90:91], v[84:85], v[0:1]
	v_add_nc_u64_e32 v[92:93], 0x80, v[82:83]
	s_delay_alu instid0(VALU_DEP_2) | instskip(NEXT) | instid1(VALU_DEP_1)
	v_add_nc_u64_e32 v[90:91], 0x380, v[90:91]
	v_dual_cndmask_b32 v91, v93, v91, s0 :: v_dual_cndmask_b32 v90, v92, v90, s0
	global_load_b32 v90, v[90:91], off
	global_store_b64 v[86:87], v[68:69], off offset:1792
	s_wait_loadcnt 0x0
	global_store_b32 v[88:89], v90, off offset:896
.LBB51_46:                              ;   in Loop: Header=BB51_21 Depth=1
	s_wait_xcnt 0x0
	s_or_b32 exec_lo, exec_lo, s6
	v_add_nc_u64_e32 v[86:87], s[4:5], v[34:35]
	v_lshl_add_u64 v[84:85], s[40:41], 2, v[84:85]
	s_delay_alu instid0(VALU_DEP_2) | instskip(NEXT) | instid1(VALU_DEP_1)
	v_mad_nc_u64_u32 v[88:89], v86, s20, s[38:39]
	v_mad_u32 v87, v87, s20, v89
	s_delay_alu instid0(VALU_DEP_1) | instskip(NEXT) | instid1(VALU_DEP_1)
	v_mad_u32 v89, v86, s21, v87
	v_add_nc_u64_e32 v[88:89], v[88:89], v[2:3]
	s_delay_alu instid0(VALU_DEP_1)
	v_lshl_add_u64 v[86:87], v[88:89], 3, s[26:27]
	v_lshl_add_u64 v[88:89], v[88:89], 2, s[34:35]
	s_and_saveexec_b32 s6, s57
	s_cbranch_execnz .LBB51_106
; %bb.47:                               ;   in Loop: Header=BB51_21 Depth=1
	s_or_b32 exec_lo, exec_lo, s6
	s_and_saveexec_b32 s6, s58
	s_cbranch_execnz .LBB51_107
.LBB51_48:                              ;   in Loop: Header=BB51_21 Depth=1
	s_or_b32 exec_lo, exec_lo, s6
	s_and_saveexec_b32 s6, s59
	s_cbranch_execnz .LBB51_108
.LBB51_49:                              ;   in Loop: Header=BB51_21 Depth=1
	s_or_b32 exec_lo, exec_lo, s6
	s_and_saveexec_b32 s6, s60
	s_cbranch_execnz .LBB51_109
.LBB51_50:                              ;   in Loop: Header=BB51_21 Depth=1
	s_or_b32 exec_lo, exec_lo, s6
	s_and_saveexec_b32 s6, s61
	s_cbranch_execnz .LBB51_110
.LBB51_51:                              ;   in Loop: Header=BB51_21 Depth=1
	s_or_b32 exec_lo, exec_lo, s6
	s_and_saveexec_b32 s6, s62
	s_cbranch_execnz .LBB51_111
.LBB51_52:                              ;   in Loop: Header=BB51_21 Depth=1
	s_or_b32 exec_lo, exec_lo, s6
	s_and_saveexec_b32 s6, s63
	s_cbranch_execnz .LBB51_112
.LBB51_53:                              ;   in Loop: Header=BB51_21 Depth=1
	s_or_b32 exec_lo, exec_lo, s6
	s_and_saveexec_b32 s6, s64
	s_cbranch_execz .LBB51_55
.LBB51_54:                              ;   in Loop: Header=BB51_21 Depth=1
	v_add_nc_u64_e32 v[90:91], v[84:85], v[0:1]
	v_add_nc_u64_e32 v[92:93], 0x100, v[82:83]
	s_delay_alu instid0(VALU_DEP_2) | instskip(NEXT) | instid1(VALU_DEP_1)
	v_add_nc_u64_e32 v[90:91], 0x380, v[90:91]
	v_dual_cndmask_b32 v91, v93, v91, s0 :: v_dual_cndmask_b32 v90, v92, v90, s0
	global_load_b32 v90, v[90:91], off
	global_store_b64 v[86:87], v[68:69], off offset:1792
	s_wait_loadcnt 0x0
	global_store_b32 v[88:89], v90, off offset:896
.LBB51_55:                              ;   in Loop: Header=BB51_21 Depth=1
	s_wait_xcnt 0x0
	s_or_b32 exec_lo, exec_lo, s6
	v_add_nc_u64_e32 v[86:87], s[4:5], v[38:39]
	v_lshl_add_u64 v[84:85], s[40:41], 2, v[84:85]
	s_delay_alu instid0(VALU_DEP_2) | instskip(NEXT) | instid1(VALU_DEP_1)
	v_mad_nc_u64_u32 v[88:89], v86, s20, s[38:39]
	v_mad_u32 v87, v87, s20, v89
	s_delay_alu instid0(VALU_DEP_1) | instskip(NEXT) | instid1(VALU_DEP_1)
	v_mad_u32 v89, v86, s21, v87
	v_add_nc_u64_e32 v[88:89], v[88:89], v[2:3]
	s_delay_alu instid0(VALU_DEP_1)
	v_lshl_add_u64 v[86:87], v[88:89], 3, s[26:27]
	v_lshl_add_u64 v[88:89], v[88:89], 2, s[34:35]
	s_and_saveexec_b32 s6, s65
	s_cbranch_execnz .LBB51_113
; %bb.56:                               ;   in Loop: Header=BB51_21 Depth=1
	s_or_b32 exec_lo, exec_lo, s6
	s_and_saveexec_b32 s6, s66
	s_cbranch_execnz .LBB51_114
.LBB51_57:                              ;   in Loop: Header=BB51_21 Depth=1
	s_or_b32 exec_lo, exec_lo, s6
	s_and_saveexec_b32 s6, s67
	s_cbranch_execnz .LBB51_115
.LBB51_58:                              ;   in Loop: Header=BB51_21 Depth=1
	s_or_b32 exec_lo, exec_lo, s6
	s_and_saveexec_b32 s6, s68
	s_cbranch_execnz .LBB51_116
.LBB51_59:                              ;   in Loop: Header=BB51_21 Depth=1
	s_or_b32 exec_lo, exec_lo, s6
	s_and_saveexec_b32 s6, s69
	s_cbranch_execnz .LBB51_117
.LBB51_60:                              ;   in Loop: Header=BB51_21 Depth=1
	s_or_b32 exec_lo, exec_lo, s6
	s_and_saveexec_b32 s6, s70
	s_cbranch_execnz .LBB51_118
.LBB51_61:                              ;   in Loop: Header=BB51_21 Depth=1
	s_or_b32 exec_lo, exec_lo, s6
	s_and_saveexec_b32 s6, s71
	s_cbranch_execnz .LBB51_119
.LBB51_62:                              ;   in Loop: Header=BB51_21 Depth=1
	s_or_b32 exec_lo, exec_lo, s6
	s_and_saveexec_b32 s6, s72
	s_cbranch_execz .LBB51_64
.LBB51_63:                              ;   in Loop: Header=BB51_21 Depth=1
	v_add_nc_u64_e32 v[90:91], v[84:85], v[0:1]
	v_add_nc_u64_e32 v[92:93], 0x180, v[82:83]
	s_delay_alu instid0(VALU_DEP_2) | instskip(NEXT) | instid1(VALU_DEP_1)
	v_add_nc_u64_e32 v[90:91], 0x380, v[90:91]
	v_dual_cndmask_b32 v91, v93, v91, s0 :: v_dual_cndmask_b32 v90, v92, v90, s0
	global_load_b32 v90, v[90:91], off
	global_store_b64 v[86:87], v[68:69], off offset:1792
	s_wait_loadcnt 0x0
	global_store_b32 v[88:89], v90, off offset:896
.LBB51_64:                              ;   in Loop: Header=BB51_21 Depth=1
	s_wait_xcnt 0x0
	s_or_b32 exec_lo, exec_lo, s6
	v_add_nc_u64_e32 v[86:87], s[4:5], v[42:43]
	v_lshl_add_u64 v[84:85], s[40:41], 2, v[84:85]
	s_delay_alu instid0(VALU_DEP_2) | instskip(NEXT) | instid1(VALU_DEP_1)
	v_mad_nc_u64_u32 v[88:89], v86, s20, s[38:39]
	v_mad_u32 v87, v87, s20, v89
	s_delay_alu instid0(VALU_DEP_1) | instskip(NEXT) | instid1(VALU_DEP_1)
	v_mad_u32 v89, v86, s21, v87
	v_add_nc_u64_e32 v[88:89], v[88:89], v[2:3]
	s_delay_alu instid0(VALU_DEP_1)
	v_lshl_add_u64 v[86:87], v[88:89], 3, s[26:27]
	v_lshl_add_u64 v[88:89], v[88:89], 2, s[34:35]
	s_and_saveexec_b32 s6, s73
	s_cbranch_execnz .LBB51_120
; %bb.65:                               ;   in Loop: Header=BB51_21 Depth=1
	s_or_b32 exec_lo, exec_lo, s6
	s_and_saveexec_b32 s6, s74
	s_cbranch_execnz .LBB51_121
.LBB51_66:                              ;   in Loop: Header=BB51_21 Depth=1
	s_or_b32 exec_lo, exec_lo, s6
	s_and_saveexec_b32 s6, s75
	s_cbranch_execnz .LBB51_122
.LBB51_67:                              ;   in Loop: Header=BB51_21 Depth=1
	s_or_b32 exec_lo, exec_lo, s6
	s_and_saveexec_b32 s6, s76
	s_cbranch_execnz .LBB51_123
.LBB51_68:                              ;   in Loop: Header=BB51_21 Depth=1
	s_or_b32 exec_lo, exec_lo, s6
	s_and_saveexec_b32 s6, s77
	s_cbranch_execnz .LBB51_124
.LBB51_69:                              ;   in Loop: Header=BB51_21 Depth=1
	s_or_b32 exec_lo, exec_lo, s6
	s_and_saveexec_b32 s6, s78
	s_cbranch_execnz .LBB51_125
.LBB51_70:                              ;   in Loop: Header=BB51_21 Depth=1
	s_or_b32 exec_lo, exec_lo, s6
	s_and_saveexec_b32 s6, s79
	s_cbranch_execnz .LBB51_126
.LBB51_71:                              ;   in Loop: Header=BB51_21 Depth=1
	s_or_b32 exec_lo, exec_lo, s6
	s_and_saveexec_b32 s6, s80
	s_cbranch_execz .LBB51_73
.LBB51_72:                              ;   in Loop: Header=BB51_21 Depth=1
	v_add_nc_u64_e32 v[90:91], v[84:85], v[0:1]
	v_add_nc_u64_e32 v[92:93], 0x200, v[82:83]
	s_delay_alu instid0(VALU_DEP_2) | instskip(NEXT) | instid1(VALU_DEP_1)
	v_add_nc_u64_e32 v[90:91], 0x380, v[90:91]
	v_dual_cndmask_b32 v91, v93, v91, s0 :: v_dual_cndmask_b32 v90, v92, v90, s0
	global_load_b32 v90, v[90:91], off
	global_store_b64 v[86:87], v[68:69], off offset:1792
	s_wait_loadcnt 0x0
	global_store_b32 v[88:89], v90, off offset:896
.LBB51_73:                              ;   in Loop: Header=BB51_21 Depth=1
	s_wait_xcnt 0x0
	s_or_b32 exec_lo, exec_lo, s6
	v_add_nc_u64_e32 v[86:87], s[4:5], v[44:45]
	v_lshl_add_u64 v[84:85], s[40:41], 2, v[84:85]
	s_delay_alu instid0(VALU_DEP_2) | instskip(NEXT) | instid1(VALU_DEP_1)
	v_mad_nc_u64_u32 v[88:89], v86, s20, s[38:39]
	v_mad_u32 v87, v87, s20, v89
	s_delay_alu instid0(VALU_DEP_1) | instskip(NEXT) | instid1(VALU_DEP_1)
	v_mad_u32 v89, v86, s21, v87
	v_add_nc_u64_e32 v[88:89], v[88:89], v[2:3]
	s_delay_alu instid0(VALU_DEP_1)
	v_lshl_add_u64 v[86:87], v[88:89], 3, s[26:27]
	v_lshl_add_u64 v[88:89], v[88:89], 2, s[34:35]
	s_and_saveexec_b32 s6, s81
	s_cbranch_execnz .LBB51_127
; %bb.74:                               ;   in Loop: Header=BB51_21 Depth=1
	s_or_b32 exec_lo, exec_lo, s6
	s_and_saveexec_b32 s6, s82
	s_cbranch_execnz .LBB51_128
.LBB51_75:                              ;   in Loop: Header=BB51_21 Depth=1
	s_or_b32 exec_lo, exec_lo, s6
	s_and_saveexec_b32 s6, s83
	s_cbranch_execnz .LBB51_129
.LBB51_76:                              ;   in Loop: Header=BB51_21 Depth=1
	s_or_b32 exec_lo, exec_lo, s6
	s_and_saveexec_b32 s6, s84
	s_cbranch_execnz .LBB51_130
.LBB51_77:                              ;   in Loop: Header=BB51_21 Depth=1
	s_or_b32 exec_lo, exec_lo, s6
	s_and_saveexec_b32 s6, s85
	s_cbranch_execnz .LBB51_131
.LBB51_78:                              ;   in Loop: Header=BB51_21 Depth=1
	s_or_b32 exec_lo, exec_lo, s6
	s_and_saveexec_b32 s6, s86
	s_cbranch_execnz .LBB51_132
.LBB51_79:                              ;   in Loop: Header=BB51_21 Depth=1
	s_or_b32 exec_lo, exec_lo, s6
	s_and_saveexec_b32 s6, s87
	s_cbranch_execnz .LBB51_133
.LBB51_80:                              ;   in Loop: Header=BB51_21 Depth=1
	s_or_b32 exec_lo, exec_lo, s6
	s_and_saveexec_b32 s6, s88
	s_cbranch_execz .LBB51_82
.LBB51_81:                              ;   in Loop: Header=BB51_21 Depth=1
	v_add_nc_u64_e32 v[90:91], v[84:85], v[0:1]
	v_add_nc_u64_e32 v[92:93], 0x280, v[82:83]
	s_delay_alu instid0(VALU_DEP_2) | instskip(NEXT) | instid1(VALU_DEP_1)
	v_add_nc_u64_e32 v[90:91], 0x380, v[90:91]
	v_dual_cndmask_b32 v91, v93, v91, s0 :: v_dual_cndmask_b32 v90, v92, v90, s0
	global_load_b32 v90, v[90:91], off
	global_store_b64 v[86:87], v[68:69], off offset:1792
	s_wait_loadcnt 0x0
	global_store_b32 v[88:89], v90, off offset:896
.LBB51_82:                              ;   in Loop: Header=BB51_21 Depth=1
	s_wait_xcnt 0x0
	s_or_b32 exec_lo, exec_lo, s6
	v_add_nc_u64_e32 v[86:87], s[4:5], v[46:47]
	v_lshl_add_u64 v[84:85], s[40:41], 2, v[84:85]
	s_delay_alu instid0(VALU_DEP_2) | instskip(NEXT) | instid1(VALU_DEP_1)
	v_mad_nc_u64_u32 v[88:89], v86, s20, s[38:39]
	v_mad_u32 v87, v87, s20, v89
	s_delay_alu instid0(VALU_DEP_1) | instskip(NEXT) | instid1(VALU_DEP_1)
	v_mad_u32 v89, v86, s21, v87
	v_add_nc_u64_e32 v[88:89], v[88:89], v[2:3]
	s_delay_alu instid0(VALU_DEP_1)
	v_lshl_add_u64 v[86:87], v[88:89], 3, s[26:27]
	v_lshl_add_u64 v[88:89], v[88:89], 2, s[34:35]
	s_and_saveexec_b32 s6, s89
	s_cbranch_execnz .LBB51_134
; %bb.83:                               ;   in Loop: Header=BB51_21 Depth=1
	s_or_b32 exec_lo, exec_lo, s6
	s_and_saveexec_b32 s6, s90
	s_cbranch_execnz .LBB51_135
.LBB51_84:                              ;   in Loop: Header=BB51_21 Depth=1
	s_or_b32 exec_lo, exec_lo, s6
	s_and_saveexec_b32 s6, s91
	s_cbranch_execnz .LBB51_136
.LBB51_85:                              ;   in Loop: Header=BB51_21 Depth=1
	s_or_b32 exec_lo, exec_lo, s6
	s_and_saveexec_b32 s6, s92
	s_cbranch_execnz .LBB51_137
.LBB51_86:                              ;   in Loop: Header=BB51_21 Depth=1
	s_or_b32 exec_lo, exec_lo, s6
	s_and_saveexec_b32 s6, s93
	s_cbranch_execnz .LBB51_138
.LBB51_87:                              ;   in Loop: Header=BB51_21 Depth=1
	s_or_b32 exec_lo, exec_lo, s6
	s_and_saveexec_b32 s6, s94
	s_cbranch_execnz .LBB51_139
.LBB51_88:                              ;   in Loop: Header=BB51_21 Depth=1
	s_or_b32 exec_lo, exec_lo, s6
	s_and_saveexec_b32 s6, s95
	s_cbranch_execnz .LBB51_140
.LBB51_89:                              ;   in Loop: Header=BB51_21 Depth=1
	s_or_b32 exec_lo, exec_lo, s6
	s_and_saveexec_b32 s6, s8
	s_cbranch_execz .LBB51_91
.LBB51_90:                              ;   in Loop: Header=BB51_21 Depth=1
	v_add_nc_u64_e32 v[90:91], v[84:85], v[0:1]
	v_add_nc_u64_e32 v[92:93], 0x300, v[82:83]
	s_delay_alu instid0(VALU_DEP_2) | instskip(NEXT) | instid1(VALU_DEP_1)
	v_add_nc_u64_e32 v[90:91], 0x380, v[90:91]
	v_dual_cndmask_b32 v91, v93, v91, s0 :: v_dual_cndmask_b32 v90, v92, v90, s0
	global_load_b32 v90, v[90:91], off
	global_store_b64 v[86:87], v[68:69], off offset:1792
	s_wait_loadcnt 0x0
	global_store_b32 v[88:89], v90, off offset:896
.LBB51_91:                              ;   in Loop: Header=BB51_21 Depth=1
	s_wait_xcnt 0x0
	s_or_b32 exec_lo, exec_lo, s6
	v_add_nc_u64_e32 v[86:87], s[4:5], v[48:49]
	s_delay_alu instid0(VALU_DEP_1) | instskip(NEXT) | instid1(VALU_DEP_1)
	v_mad_nc_u64_u32 v[88:89], v86, s20, s[38:39]
	v_mad_u32 v87, v87, s20, v89
	s_delay_alu instid0(VALU_DEP_1) | instskip(NEXT) | instid1(VALU_DEP_1)
	v_mad_u32 v89, v86, s21, v87
	v_add_nc_u64_e32 v[86:87], v[88:89], v[2:3]
	v_lshl_add_u64 v[88:89], s[40:41], 2, v[84:85]
	s_delay_alu instid0(VALU_DEP_2)
	v_lshl_add_u64 v[84:85], v[86:87], 3, s[26:27]
	v_lshl_add_u64 v[86:87], v[86:87], 2, s[34:35]
	s_and_saveexec_b32 s4, s96
	s_cbranch_execnz .LBB51_141
; %bb.92:                               ;   in Loop: Header=BB51_21 Depth=1
	s_or_b32 exec_lo, exec_lo, s4
	s_and_saveexec_b32 s4, s1
	s_cbranch_execnz .LBB51_142
.LBB51_93:                              ;   in Loop: Header=BB51_21 Depth=1
	s_or_b32 exec_lo, exec_lo, s4
	s_and_saveexec_b32 s4, s10
	s_cbranch_execnz .LBB51_143
.LBB51_94:                              ;   in Loop: Header=BB51_21 Depth=1
	s_or_b32 exec_lo, exec_lo, s4
	s_and_saveexec_b32 s4, s11
	s_cbranch_execnz .LBB51_144
.LBB51_95:                              ;   in Loop: Header=BB51_21 Depth=1
	s_or_b32 exec_lo, exec_lo, s4
	s_and_saveexec_b32 s4, s12
	s_cbranch_execnz .LBB51_145
.LBB51_96:                              ;   in Loop: Header=BB51_21 Depth=1
	s_or_b32 exec_lo, exec_lo, s4
	s_and_saveexec_b32 s4, s13
	s_cbranch_execnz .LBB51_146
.LBB51_97:                              ;   in Loop: Header=BB51_21 Depth=1
	s_or_b32 exec_lo, exec_lo, s4
	s_and_saveexec_b32 s4, s14
	s_cbranch_execnz .LBB51_147
.LBB51_98:                              ;   in Loop: Header=BB51_21 Depth=1
	s_or_b32 exec_lo, exec_lo, s4
	s_and_saveexec_b32 s4, s9
	s_cbranch_execz .LBB51_20
	s_branch .LBB51_148
.LBB51_99:                              ;   in Loop: Header=BB51_21 Depth=1
	v_add_nc_u64_e32 v[90:91], v[84:85], v[0:1]
	v_add_nc_u64_e32 v[92:93], 0x80, v[66:67]
	s_delay_alu instid0(VALU_DEP_1)
	v_dual_cndmask_b32 v91, v93, v91, s0 :: v_dual_cndmask_b32 v90, v92, v90, s0
	global_load_b32 v90, v[90:91], off
	global_store_b64 v[86:87], v[52:53], off
	s_wait_loadcnt 0x0
	global_store_b32 v[88:89], v90, off
	s_wait_xcnt 0x0
	s_or_b32 exec_lo, exec_lo, s6
	s_and_saveexec_b32 s6, s43
	s_cbranch_execz .LBB51_39
.LBB51_100:                             ;   in Loop: Header=BB51_21 Depth=1
	v_add_nc_u64_e32 v[90:91], v[84:85], v[0:1]
	s_delay_alu instid0(VALU_DEP_1)
	v_dual_cndmask_b32 v91, v81, v91, s0 :: v_dual_cndmask_b32 v90, v80, v90, s0
	global_load_b32 v90, v[90:91], off offset:128
	global_store_b64 v[86:87], v[54:55], off offset:256
	s_wait_loadcnt 0x0
	global_store_b32 v[88:89], v90, off offset:128
	s_wait_xcnt 0x0
	s_or_b32 exec_lo, exec_lo, s6
	s_and_saveexec_b32 s6, s51
	s_cbranch_execz .LBB51_40
.LBB51_101:                             ;   in Loop: Header=BB51_21 Depth=1
	v_add_nc_u64_e32 v[90:91], v[84:85], v[0:1]
	v_add_nc_u64_e32 v[92:93], 0x80, v[78:79]
	s_delay_alu instid0(VALU_DEP_2) | instskip(NEXT) | instid1(VALU_DEP_1)
	v_add_nc_u64_e32 v[90:91], 0x100, v[90:91]
	v_dual_cndmask_b32 v91, v93, v91, s0 :: v_dual_cndmask_b32 v90, v92, v90, s0
	global_load_b32 v90, v[90:91], off
	global_store_b64 v[86:87], v[56:57], off offset:512
	s_wait_loadcnt 0x0
	global_store_b32 v[88:89], v90, off offset:256
	s_wait_xcnt 0x0
	s_or_b32 exec_lo, exec_lo, s6
	s_and_saveexec_b32 s6, s52
	s_cbranch_execz .LBB51_41
.LBB51_102:                             ;   in Loop: Header=BB51_21 Depth=1
	v_add_nc_u64_e32 v[90:91], v[84:85], v[0:1]
	v_add_nc_u64_e32 v[92:93], 0x80, v[76:77]
	s_delay_alu instid0(VALU_DEP_2) | instskip(NEXT) | instid1(VALU_DEP_1)
	v_add_nc_u64_e32 v[90:91], 0x180, v[90:91]
	v_dual_cndmask_b32 v91, v93, v91, s0 :: v_dual_cndmask_b32 v90, v92, v90, s0
	global_load_b32 v90, v[90:91], off
	global_store_b64 v[86:87], v[58:59], off offset:768
	s_wait_loadcnt 0x0
	global_store_b32 v[88:89], v90, off offset:384
	s_wait_xcnt 0x0
	s_or_b32 exec_lo, exec_lo, s6
	s_and_saveexec_b32 s6, s53
	s_cbranch_execz .LBB51_42
.LBB51_103:                             ;   in Loop: Header=BB51_21 Depth=1
	v_add_nc_u64_e32 v[90:91], v[84:85], v[0:1]
	v_add_nc_u64_e32 v[92:93], 0x80, v[74:75]
	s_delay_alu instid0(VALU_DEP_2) | instskip(NEXT) | instid1(VALU_DEP_1)
	v_add_nc_u64_e32 v[90:91], 0x200, v[90:91]
	v_dual_cndmask_b32 v91, v93, v91, s0 :: v_dual_cndmask_b32 v90, v92, v90, s0
	global_load_b32 v90, v[90:91], off
	global_store_b64 v[86:87], v[60:61], off offset:1024
	s_wait_loadcnt 0x0
	global_store_b32 v[88:89], v90, off offset:512
	s_wait_xcnt 0x0
	s_or_b32 exec_lo, exec_lo, s6
	s_and_saveexec_b32 s6, s54
	s_cbranch_execz .LBB51_43
.LBB51_104:                             ;   in Loop: Header=BB51_21 Depth=1
	v_add_nc_u64_e32 v[90:91], v[84:85], v[0:1]
	v_add_nc_u64_e32 v[92:93], 0x80, v[72:73]
	s_delay_alu instid0(VALU_DEP_2) | instskip(NEXT) | instid1(VALU_DEP_1)
	v_add_nc_u64_e32 v[90:91], 0x280, v[90:91]
	v_dual_cndmask_b32 v91, v93, v91, s0 :: v_dual_cndmask_b32 v90, v92, v90, s0
	global_load_b32 v90, v[90:91], off
	global_store_b64 v[86:87], v[62:63], off offset:1280
	s_wait_loadcnt 0x0
	global_store_b32 v[88:89], v90, off offset:640
	s_wait_xcnt 0x0
	s_or_b32 exec_lo, exec_lo, s6
	s_and_saveexec_b32 s6, s55
	s_cbranch_execz .LBB51_44
.LBB51_105:                             ;   in Loop: Header=BB51_21 Depth=1
	v_add_nc_u64_e32 v[90:91], v[84:85], v[0:1]
	v_add_nc_u64_e32 v[92:93], 0x80, v[70:71]
	s_delay_alu instid0(VALU_DEP_2) | instskip(NEXT) | instid1(VALU_DEP_1)
	v_add_nc_u64_e32 v[90:91], 0x300, v[90:91]
	v_dual_cndmask_b32 v91, v93, v91, s0 :: v_dual_cndmask_b32 v90, v92, v90, s0
	global_load_b32 v90, v[90:91], off
	global_store_b64 v[86:87], v[64:65], off offset:1536
	s_wait_loadcnt 0x0
	global_store_b32 v[88:89], v90, off offset:768
	s_wait_xcnt 0x0
	s_or_b32 exec_lo, exec_lo, s6
	s_and_saveexec_b32 s6, s56
	s_cbranch_execnz .LBB51_45
	s_branch .LBB51_46
.LBB51_106:                             ;   in Loop: Header=BB51_21 Depth=1
	v_add_nc_u64_e32 v[90:91], v[84:85], v[0:1]
	v_add_nc_u64_e32 v[92:93], 0x100, v[66:67]
	s_delay_alu instid0(VALU_DEP_1)
	v_dual_cndmask_b32 v91, v93, v91, s0 :: v_dual_cndmask_b32 v90, v92, v90, s0
	global_load_b32 v90, v[90:91], off
	global_store_b64 v[86:87], v[52:53], off
	s_wait_loadcnt 0x0
	global_store_b32 v[88:89], v90, off
	s_wait_xcnt 0x0
	s_or_b32 exec_lo, exec_lo, s6
	s_and_saveexec_b32 s6, s58
	s_cbranch_execz .LBB51_48
.LBB51_107:                             ;   in Loop: Header=BB51_21 Depth=1
	v_add_nc_u64_e32 v[90:91], v[84:85], v[0:1]
	v_add_nc_u64_e32 v[92:93], 0x100, v[80:81]
	s_delay_alu instid0(VALU_DEP_2) | instskip(NEXT) | instid1(VALU_DEP_1)
	v_add_nc_u64_e32 v[90:91], 0x80, v[90:91]
	v_dual_cndmask_b32 v91, v93, v91, s0 :: v_dual_cndmask_b32 v90, v92, v90, s0
	global_load_b32 v90, v[90:91], off
	global_store_b64 v[86:87], v[54:55], off offset:256
	s_wait_loadcnt 0x0
	global_store_b32 v[88:89], v90, off offset:128
	s_wait_xcnt 0x0
	s_or_b32 exec_lo, exec_lo, s6
	s_and_saveexec_b32 s6, s59
	s_cbranch_execz .LBB51_49
.LBB51_108:                             ;   in Loop: Header=BB51_21 Depth=1
	v_add_nc_u64_e32 v[90:91], v[84:85], v[0:1]
	s_delay_alu instid0(VALU_DEP_1)
	v_dual_cndmask_b32 v91, v79, v91, s0 :: v_dual_cndmask_b32 v90, v78, v90, s0
	global_load_b32 v90, v[90:91], off offset:256
	global_store_b64 v[86:87], v[56:57], off offset:512
	s_wait_loadcnt 0x0
	global_store_b32 v[88:89], v90, off offset:256
	s_wait_xcnt 0x0
	s_or_b32 exec_lo, exec_lo, s6
	s_and_saveexec_b32 s6, s60
	s_cbranch_execz .LBB51_50
.LBB51_109:                             ;   in Loop: Header=BB51_21 Depth=1
	v_add_nc_u64_e32 v[90:91], v[84:85], v[0:1]
	v_add_nc_u64_e32 v[92:93], 0x100, v[76:77]
	s_delay_alu instid0(VALU_DEP_2) | instskip(NEXT) | instid1(VALU_DEP_1)
	v_add_nc_u64_e32 v[90:91], 0x180, v[90:91]
	v_dual_cndmask_b32 v91, v93, v91, s0 :: v_dual_cndmask_b32 v90, v92, v90, s0
	global_load_b32 v90, v[90:91], off
	global_store_b64 v[86:87], v[58:59], off offset:768
	s_wait_loadcnt 0x0
	global_store_b32 v[88:89], v90, off offset:384
	s_wait_xcnt 0x0
	s_or_b32 exec_lo, exec_lo, s6
	s_and_saveexec_b32 s6, s61
	s_cbranch_execz .LBB51_51
.LBB51_110:                             ;   in Loop: Header=BB51_21 Depth=1
	v_add_nc_u64_e32 v[90:91], v[84:85], v[0:1]
	v_add_nc_u64_e32 v[92:93], 0x100, v[74:75]
	s_delay_alu instid0(VALU_DEP_2) | instskip(NEXT) | instid1(VALU_DEP_1)
	v_add_nc_u64_e32 v[90:91], 0x200, v[90:91]
	v_dual_cndmask_b32 v91, v93, v91, s0 :: v_dual_cndmask_b32 v90, v92, v90, s0
	global_load_b32 v90, v[90:91], off
	global_store_b64 v[86:87], v[60:61], off offset:1024
	s_wait_loadcnt 0x0
	global_store_b32 v[88:89], v90, off offset:512
	s_wait_xcnt 0x0
	s_or_b32 exec_lo, exec_lo, s6
	s_and_saveexec_b32 s6, s62
	s_cbranch_execz .LBB51_52
.LBB51_111:                             ;   in Loop: Header=BB51_21 Depth=1
	v_add_nc_u64_e32 v[90:91], v[84:85], v[0:1]
	v_add_nc_u64_e32 v[92:93], 0x100, v[72:73]
	s_delay_alu instid0(VALU_DEP_2) | instskip(NEXT) | instid1(VALU_DEP_1)
	v_add_nc_u64_e32 v[90:91], 0x280, v[90:91]
	v_dual_cndmask_b32 v91, v93, v91, s0 :: v_dual_cndmask_b32 v90, v92, v90, s0
	global_load_b32 v90, v[90:91], off
	global_store_b64 v[86:87], v[62:63], off offset:1280
	s_wait_loadcnt 0x0
	global_store_b32 v[88:89], v90, off offset:640
	s_wait_xcnt 0x0
	s_or_b32 exec_lo, exec_lo, s6
	s_and_saveexec_b32 s6, s63
	s_cbranch_execz .LBB51_53
.LBB51_112:                             ;   in Loop: Header=BB51_21 Depth=1
	v_add_nc_u64_e32 v[90:91], v[84:85], v[0:1]
	v_add_nc_u64_e32 v[92:93], 0x100, v[70:71]
	s_delay_alu instid0(VALU_DEP_2) | instskip(NEXT) | instid1(VALU_DEP_1)
	v_add_nc_u64_e32 v[90:91], 0x300, v[90:91]
	v_dual_cndmask_b32 v91, v93, v91, s0 :: v_dual_cndmask_b32 v90, v92, v90, s0
	global_load_b32 v90, v[90:91], off
	global_store_b64 v[86:87], v[64:65], off offset:1536
	s_wait_loadcnt 0x0
	global_store_b32 v[88:89], v90, off offset:768
	s_wait_xcnt 0x0
	s_or_b32 exec_lo, exec_lo, s6
	s_and_saveexec_b32 s6, s64
	s_cbranch_execnz .LBB51_54
	s_branch .LBB51_55
.LBB51_113:                             ;   in Loop: Header=BB51_21 Depth=1
	v_add_nc_u64_e32 v[90:91], v[84:85], v[0:1]
	v_add_nc_u64_e32 v[92:93], 0x180, v[66:67]
	s_delay_alu instid0(VALU_DEP_1)
	v_dual_cndmask_b32 v91, v93, v91, s0 :: v_dual_cndmask_b32 v90, v92, v90, s0
	global_load_b32 v90, v[90:91], off
	global_store_b64 v[86:87], v[52:53], off
	s_wait_loadcnt 0x0
	global_store_b32 v[88:89], v90, off
	s_wait_xcnt 0x0
	s_or_b32 exec_lo, exec_lo, s6
	s_and_saveexec_b32 s6, s66
	s_cbranch_execz .LBB51_57
.LBB51_114:                             ;   in Loop: Header=BB51_21 Depth=1
	v_add_nc_u64_e32 v[90:91], v[84:85], v[0:1]
	v_add_nc_u64_e32 v[92:93], 0x180, v[80:81]
	s_delay_alu instid0(VALU_DEP_2) | instskip(NEXT) | instid1(VALU_DEP_1)
	v_add_nc_u64_e32 v[90:91], 0x80, v[90:91]
	v_dual_cndmask_b32 v91, v93, v91, s0 :: v_dual_cndmask_b32 v90, v92, v90, s0
	global_load_b32 v90, v[90:91], off
	global_store_b64 v[86:87], v[54:55], off offset:256
	s_wait_loadcnt 0x0
	global_store_b32 v[88:89], v90, off offset:128
	s_wait_xcnt 0x0
	s_or_b32 exec_lo, exec_lo, s6
	s_and_saveexec_b32 s6, s67
	s_cbranch_execz .LBB51_58
.LBB51_115:                             ;   in Loop: Header=BB51_21 Depth=1
	v_add_nc_u64_e32 v[90:91], v[84:85], v[0:1]
	v_add_nc_u64_e32 v[92:93], 0x180, v[78:79]
	s_delay_alu instid0(VALU_DEP_2) | instskip(NEXT) | instid1(VALU_DEP_1)
	v_add_nc_u64_e32 v[90:91], 0x100, v[90:91]
	v_dual_cndmask_b32 v91, v93, v91, s0 :: v_dual_cndmask_b32 v90, v92, v90, s0
	global_load_b32 v90, v[90:91], off
	global_store_b64 v[86:87], v[56:57], off offset:512
	s_wait_loadcnt 0x0
	global_store_b32 v[88:89], v90, off offset:256
	s_wait_xcnt 0x0
	s_or_b32 exec_lo, exec_lo, s6
	s_and_saveexec_b32 s6, s68
	s_cbranch_execz .LBB51_59
.LBB51_116:                             ;   in Loop: Header=BB51_21 Depth=1
	v_add_nc_u64_e32 v[90:91], v[84:85], v[0:1]
	s_delay_alu instid0(VALU_DEP_1)
	v_dual_cndmask_b32 v91, v77, v91, s0 :: v_dual_cndmask_b32 v90, v76, v90, s0
	global_load_b32 v90, v[90:91], off offset:384
	global_store_b64 v[86:87], v[58:59], off offset:768
	s_wait_loadcnt 0x0
	global_store_b32 v[88:89], v90, off offset:384
	s_wait_xcnt 0x0
	s_or_b32 exec_lo, exec_lo, s6
	s_and_saveexec_b32 s6, s69
	s_cbranch_execz .LBB51_60
.LBB51_117:                             ;   in Loop: Header=BB51_21 Depth=1
	v_add_nc_u64_e32 v[90:91], v[84:85], v[0:1]
	v_add_nc_u64_e32 v[92:93], 0x180, v[74:75]
	s_delay_alu instid0(VALU_DEP_2) | instskip(NEXT) | instid1(VALU_DEP_1)
	v_add_nc_u64_e32 v[90:91], 0x200, v[90:91]
	v_dual_cndmask_b32 v91, v93, v91, s0 :: v_dual_cndmask_b32 v90, v92, v90, s0
	global_load_b32 v90, v[90:91], off
	global_store_b64 v[86:87], v[60:61], off offset:1024
	s_wait_loadcnt 0x0
	global_store_b32 v[88:89], v90, off offset:512
	s_wait_xcnt 0x0
	s_or_b32 exec_lo, exec_lo, s6
	s_and_saveexec_b32 s6, s70
	s_cbranch_execz .LBB51_61
.LBB51_118:                             ;   in Loop: Header=BB51_21 Depth=1
	v_add_nc_u64_e32 v[90:91], v[84:85], v[0:1]
	v_add_nc_u64_e32 v[92:93], 0x180, v[72:73]
	s_delay_alu instid0(VALU_DEP_2) | instskip(NEXT) | instid1(VALU_DEP_1)
	v_add_nc_u64_e32 v[90:91], 0x280, v[90:91]
	v_dual_cndmask_b32 v91, v93, v91, s0 :: v_dual_cndmask_b32 v90, v92, v90, s0
	global_load_b32 v90, v[90:91], off
	global_store_b64 v[86:87], v[62:63], off offset:1280
	s_wait_loadcnt 0x0
	global_store_b32 v[88:89], v90, off offset:640
	s_wait_xcnt 0x0
	s_or_b32 exec_lo, exec_lo, s6
	s_and_saveexec_b32 s6, s71
	s_cbranch_execz .LBB51_62
.LBB51_119:                             ;   in Loop: Header=BB51_21 Depth=1
	v_add_nc_u64_e32 v[90:91], v[84:85], v[0:1]
	v_add_nc_u64_e32 v[92:93], 0x180, v[70:71]
	s_delay_alu instid0(VALU_DEP_2) | instskip(NEXT) | instid1(VALU_DEP_1)
	v_add_nc_u64_e32 v[90:91], 0x300, v[90:91]
	v_dual_cndmask_b32 v91, v93, v91, s0 :: v_dual_cndmask_b32 v90, v92, v90, s0
	global_load_b32 v90, v[90:91], off
	global_store_b64 v[86:87], v[64:65], off offset:1536
	s_wait_loadcnt 0x0
	global_store_b32 v[88:89], v90, off offset:768
	s_wait_xcnt 0x0
	s_or_b32 exec_lo, exec_lo, s6
	s_and_saveexec_b32 s6, s72
	s_cbranch_execnz .LBB51_63
	s_branch .LBB51_64
.LBB51_120:                             ;   in Loop: Header=BB51_21 Depth=1
	v_add_nc_u64_e32 v[90:91], v[84:85], v[0:1]
	v_add_nc_u64_e32 v[92:93], 0x200, v[66:67]
	s_delay_alu instid0(VALU_DEP_1)
	v_dual_cndmask_b32 v91, v93, v91, s0 :: v_dual_cndmask_b32 v90, v92, v90, s0
	global_load_b32 v90, v[90:91], off
	global_store_b64 v[86:87], v[52:53], off
	s_wait_loadcnt 0x0
	global_store_b32 v[88:89], v90, off
	s_wait_xcnt 0x0
	s_or_b32 exec_lo, exec_lo, s6
	s_and_saveexec_b32 s6, s74
	s_cbranch_execz .LBB51_66
.LBB51_121:                             ;   in Loop: Header=BB51_21 Depth=1
	v_add_nc_u64_e32 v[90:91], v[84:85], v[0:1]
	v_add_nc_u64_e32 v[92:93], 0x200, v[80:81]
	s_delay_alu instid0(VALU_DEP_2) | instskip(NEXT) | instid1(VALU_DEP_1)
	v_add_nc_u64_e32 v[90:91], 0x80, v[90:91]
	v_dual_cndmask_b32 v91, v93, v91, s0 :: v_dual_cndmask_b32 v90, v92, v90, s0
	global_load_b32 v90, v[90:91], off
	global_store_b64 v[86:87], v[54:55], off offset:256
	s_wait_loadcnt 0x0
	global_store_b32 v[88:89], v90, off offset:128
	s_wait_xcnt 0x0
	s_or_b32 exec_lo, exec_lo, s6
	s_and_saveexec_b32 s6, s75
	s_cbranch_execz .LBB51_67
.LBB51_122:                             ;   in Loop: Header=BB51_21 Depth=1
	v_add_nc_u64_e32 v[90:91], v[84:85], v[0:1]
	v_add_nc_u64_e32 v[92:93], 0x200, v[78:79]
	s_delay_alu instid0(VALU_DEP_2) | instskip(NEXT) | instid1(VALU_DEP_1)
	v_add_nc_u64_e32 v[90:91], 0x100, v[90:91]
	v_dual_cndmask_b32 v91, v93, v91, s0 :: v_dual_cndmask_b32 v90, v92, v90, s0
	global_load_b32 v90, v[90:91], off
	global_store_b64 v[86:87], v[56:57], off offset:512
	s_wait_loadcnt 0x0
	global_store_b32 v[88:89], v90, off offset:256
	s_wait_xcnt 0x0
	s_or_b32 exec_lo, exec_lo, s6
	s_and_saveexec_b32 s6, s76
	s_cbranch_execz .LBB51_68
.LBB51_123:                             ;   in Loop: Header=BB51_21 Depth=1
	v_add_nc_u64_e32 v[90:91], v[84:85], v[0:1]
	v_add_nc_u64_e32 v[92:93], 0x200, v[76:77]
	s_delay_alu instid0(VALU_DEP_2) | instskip(NEXT) | instid1(VALU_DEP_1)
	v_add_nc_u64_e32 v[90:91], 0x180, v[90:91]
	v_dual_cndmask_b32 v91, v93, v91, s0 :: v_dual_cndmask_b32 v90, v92, v90, s0
	global_load_b32 v90, v[90:91], off
	global_store_b64 v[86:87], v[58:59], off offset:768
	s_wait_loadcnt 0x0
	global_store_b32 v[88:89], v90, off offset:384
	s_wait_xcnt 0x0
	s_or_b32 exec_lo, exec_lo, s6
	s_and_saveexec_b32 s6, s77
	s_cbranch_execz .LBB51_69
.LBB51_124:                             ;   in Loop: Header=BB51_21 Depth=1
	v_add_nc_u64_e32 v[90:91], v[84:85], v[0:1]
	s_delay_alu instid0(VALU_DEP_1)
	v_dual_cndmask_b32 v91, v75, v91, s0 :: v_dual_cndmask_b32 v90, v74, v90, s0
	global_load_b32 v90, v[90:91], off offset:512
	global_store_b64 v[86:87], v[60:61], off offset:1024
	s_wait_loadcnt 0x0
	global_store_b32 v[88:89], v90, off offset:512
	s_wait_xcnt 0x0
	s_or_b32 exec_lo, exec_lo, s6
	s_and_saveexec_b32 s6, s78
	s_cbranch_execz .LBB51_70
.LBB51_125:                             ;   in Loop: Header=BB51_21 Depth=1
	v_add_nc_u64_e32 v[90:91], v[84:85], v[0:1]
	v_add_nc_u64_e32 v[92:93], 0x200, v[72:73]
	s_delay_alu instid0(VALU_DEP_2) | instskip(NEXT) | instid1(VALU_DEP_1)
	v_add_nc_u64_e32 v[90:91], 0x280, v[90:91]
	v_dual_cndmask_b32 v91, v93, v91, s0 :: v_dual_cndmask_b32 v90, v92, v90, s0
	global_load_b32 v90, v[90:91], off
	global_store_b64 v[86:87], v[62:63], off offset:1280
	s_wait_loadcnt 0x0
	global_store_b32 v[88:89], v90, off offset:640
	s_wait_xcnt 0x0
	s_or_b32 exec_lo, exec_lo, s6
	s_and_saveexec_b32 s6, s79
	s_cbranch_execz .LBB51_71
.LBB51_126:                             ;   in Loop: Header=BB51_21 Depth=1
	v_add_nc_u64_e32 v[90:91], v[84:85], v[0:1]
	v_add_nc_u64_e32 v[92:93], 0x200, v[70:71]
	s_delay_alu instid0(VALU_DEP_2) | instskip(NEXT) | instid1(VALU_DEP_1)
	v_add_nc_u64_e32 v[90:91], 0x300, v[90:91]
	v_dual_cndmask_b32 v91, v93, v91, s0 :: v_dual_cndmask_b32 v90, v92, v90, s0
	global_load_b32 v90, v[90:91], off
	global_store_b64 v[86:87], v[64:65], off offset:1536
	s_wait_loadcnt 0x0
	global_store_b32 v[88:89], v90, off offset:768
	s_wait_xcnt 0x0
	s_or_b32 exec_lo, exec_lo, s6
	s_and_saveexec_b32 s6, s80
	s_cbranch_execnz .LBB51_72
	s_branch .LBB51_73
.LBB51_127:                             ;   in Loop: Header=BB51_21 Depth=1
	v_add_nc_u64_e32 v[90:91], v[84:85], v[0:1]
	v_add_nc_u64_e32 v[92:93], 0x280, v[66:67]
	s_delay_alu instid0(VALU_DEP_1)
	v_dual_cndmask_b32 v91, v93, v91, s0 :: v_dual_cndmask_b32 v90, v92, v90, s0
	global_load_b32 v90, v[90:91], off
	global_store_b64 v[86:87], v[52:53], off
	s_wait_loadcnt 0x0
	global_store_b32 v[88:89], v90, off
	s_wait_xcnt 0x0
	s_or_b32 exec_lo, exec_lo, s6
	s_and_saveexec_b32 s6, s82
	s_cbranch_execz .LBB51_75
.LBB51_128:                             ;   in Loop: Header=BB51_21 Depth=1
	v_add_nc_u64_e32 v[90:91], v[84:85], v[0:1]
	v_add_nc_u64_e32 v[92:93], 0x280, v[80:81]
	s_delay_alu instid0(VALU_DEP_2) | instskip(NEXT) | instid1(VALU_DEP_1)
	v_add_nc_u64_e32 v[90:91], 0x80, v[90:91]
	v_dual_cndmask_b32 v91, v93, v91, s0 :: v_dual_cndmask_b32 v90, v92, v90, s0
	global_load_b32 v90, v[90:91], off
	global_store_b64 v[86:87], v[54:55], off offset:256
	s_wait_loadcnt 0x0
	global_store_b32 v[88:89], v90, off offset:128
	s_wait_xcnt 0x0
	s_or_b32 exec_lo, exec_lo, s6
	s_and_saveexec_b32 s6, s83
	s_cbranch_execz .LBB51_76
.LBB51_129:                             ;   in Loop: Header=BB51_21 Depth=1
	v_add_nc_u64_e32 v[90:91], v[84:85], v[0:1]
	v_add_nc_u64_e32 v[92:93], 0x280, v[78:79]
	s_delay_alu instid0(VALU_DEP_2) | instskip(NEXT) | instid1(VALU_DEP_1)
	v_add_nc_u64_e32 v[90:91], 0x100, v[90:91]
	v_dual_cndmask_b32 v91, v93, v91, s0 :: v_dual_cndmask_b32 v90, v92, v90, s0
	global_load_b32 v90, v[90:91], off
	global_store_b64 v[86:87], v[56:57], off offset:512
	s_wait_loadcnt 0x0
	global_store_b32 v[88:89], v90, off offset:256
	s_wait_xcnt 0x0
	s_or_b32 exec_lo, exec_lo, s6
	s_and_saveexec_b32 s6, s84
	s_cbranch_execz .LBB51_77
.LBB51_130:                             ;   in Loop: Header=BB51_21 Depth=1
	v_add_nc_u64_e32 v[90:91], v[84:85], v[0:1]
	v_add_nc_u64_e32 v[92:93], 0x280, v[76:77]
	s_delay_alu instid0(VALU_DEP_2) | instskip(NEXT) | instid1(VALU_DEP_1)
	v_add_nc_u64_e32 v[90:91], 0x180, v[90:91]
	v_dual_cndmask_b32 v91, v93, v91, s0 :: v_dual_cndmask_b32 v90, v92, v90, s0
	global_load_b32 v90, v[90:91], off
	global_store_b64 v[86:87], v[58:59], off offset:768
	s_wait_loadcnt 0x0
	global_store_b32 v[88:89], v90, off offset:384
	s_wait_xcnt 0x0
	s_or_b32 exec_lo, exec_lo, s6
	s_and_saveexec_b32 s6, s85
	s_cbranch_execz .LBB51_78
.LBB51_131:                             ;   in Loop: Header=BB51_21 Depth=1
	v_add_nc_u64_e32 v[90:91], v[84:85], v[0:1]
	v_add_nc_u64_e32 v[92:93], 0x280, v[74:75]
	s_delay_alu instid0(VALU_DEP_2) | instskip(NEXT) | instid1(VALU_DEP_1)
	v_add_nc_u64_e32 v[90:91], 0x200, v[90:91]
	v_dual_cndmask_b32 v91, v93, v91, s0 :: v_dual_cndmask_b32 v90, v92, v90, s0
	global_load_b32 v90, v[90:91], off
	global_store_b64 v[86:87], v[60:61], off offset:1024
	s_wait_loadcnt 0x0
	global_store_b32 v[88:89], v90, off offset:512
	s_wait_xcnt 0x0
	s_or_b32 exec_lo, exec_lo, s6
	s_and_saveexec_b32 s6, s86
	s_cbranch_execz .LBB51_79
.LBB51_132:                             ;   in Loop: Header=BB51_21 Depth=1
	v_add_nc_u64_e32 v[90:91], v[84:85], v[0:1]
	s_delay_alu instid0(VALU_DEP_1)
	v_dual_cndmask_b32 v91, v73, v91, s0 :: v_dual_cndmask_b32 v90, v72, v90, s0
	global_load_b32 v90, v[90:91], off offset:640
	global_store_b64 v[86:87], v[62:63], off offset:1280
	s_wait_loadcnt 0x0
	global_store_b32 v[88:89], v90, off offset:640
	s_wait_xcnt 0x0
	s_or_b32 exec_lo, exec_lo, s6
	s_and_saveexec_b32 s6, s87
	s_cbranch_execz .LBB51_80
.LBB51_133:                             ;   in Loop: Header=BB51_21 Depth=1
	v_add_nc_u64_e32 v[90:91], v[84:85], v[0:1]
	v_add_nc_u64_e32 v[92:93], 0x280, v[70:71]
	s_delay_alu instid0(VALU_DEP_2) | instskip(NEXT) | instid1(VALU_DEP_1)
	v_add_nc_u64_e32 v[90:91], 0x300, v[90:91]
	v_dual_cndmask_b32 v91, v93, v91, s0 :: v_dual_cndmask_b32 v90, v92, v90, s0
	global_load_b32 v90, v[90:91], off
	global_store_b64 v[86:87], v[64:65], off offset:1536
	s_wait_loadcnt 0x0
	global_store_b32 v[88:89], v90, off offset:768
	s_wait_xcnt 0x0
	s_or_b32 exec_lo, exec_lo, s6
	s_and_saveexec_b32 s6, s88
	s_cbranch_execnz .LBB51_81
	s_branch .LBB51_82
.LBB51_134:                             ;   in Loop: Header=BB51_21 Depth=1
	v_add_nc_u64_e32 v[90:91], v[84:85], v[0:1]
	v_add_nc_u64_e32 v[92:93], 0x300, v[66:67]
	s_delay_alu instid0(VALU_DEP_1)
	v_dual_cndmask_b32 v91, v93, v91, s0 :: v_dual_cndmask_b32 v90, v92, v90, s0
	global_load_b32 v90, v[90:91], off
	global_store_b64 v[86:87], v[52:53], off
	s_wait_loadcnt 0x0
	global_store_b32 v[88:89], v90, off
	s_wait_xcnt 0x0
	s_or_b32 exec_lo, exec_lo, s6
	s_and_saveexec_b32 s6, s90
	s_cbranch_execz .LBB51_84
.LBB51_135:                             ;   in Loop: Header=BB51_21 Depth=1
	v_add_nc_u64_e32 v[90:91], v[84:85], v[0:1]
	v_add_nc_u64_e32 v[92:93], 0x300, v[80:81]
	s_delay_alu instid0(VALU_DEP_2) | instskip(NEXT) | instid1(VALU_DEP_1)
	v_add_nc_u64_e32 v[90:91], 0x80, v[90:91]
	v_dual_cndmask_b32 v91, v93, v91, s0 :: v_dual_cndmask_b32 v90, v92, v90, s0
	global_load_b32 v90, v[90:91], off
	global_store_b64 v[86:87], v[54:55], off offset:256
	s_wait_loadcnt 0x0
	global_store_b32 v[88:89], v90, off offset:128
	s_wait_xcnt 0x0
	s_or_b32 exec_lo, exec_lo, s6
	s_and_saveexec_b32 s6, s91
	s_cbranch_execz .LBB51_85
.LBB51_136:                             ;   in Loop: Header=BB51_21 Depth=1
	v_add_nc_u64_e32 v[90:91], v[84:85], v[0:1]
	v_add_nc_u64_e32 v[92:93], 0x300, v[78:79]
	s_delay_alu instid0(VALU_DEP_2) | instskip(NEXT) | instid1(VALU_DEP_1)
	v_add_nc_u64_e32 v[90:91], 0x100, v[90:91]
	v_dual_cndmask_b32 v91, v93, v91, s0 :: v_dual_cndmask_b32 v90, v92, v90, s0
	global_load_b32 v90, v[90:91], off
	global_store_b64 v[86:87], v[56:57], off offset:512
	s_wait_loadcnt 0x0
	global_store_b32 v[88:89], v90, off offset:256
	s_wait_xcnt 0x0
	s_or_b32 exec_lo, exec_lo, s6
	s_and_saveexec_b32 s6, s92
	s_cbranch_execz .LBB51_86
.LBB51_137:                             ;   in Loop: Header=BB51_21 Depth=1
	v_add_nc_u64_e32 v[90:91], v[84:85], v[0:1]
	v_add_nc_u64_e32 v[92:93], 0x300, v[76:77]
	s_delay_alu instid0(VALU_DEP_2) | instskip(NEXT) | instid1(VALU_DEP_1)
	v_add_nc_u64_e32 v[90:91], 0x180, v[90:91]
	v_dual_cndmask_b32 v91, v93, v91, s0 :: v_dual_cndmask_b32 v90, v92, v90, s0
	global_load_b32 v90, v[90:91], off
	global_store_b64 v[86:87], v[58:59], off offset:768
	s_wait_loadcnt 0x0
	global_store_b32 v[88:89], v90, off offset:384
	s_wait_xcnt 0x0
	s_or_b32 exec_lo, exec_lo, s6
	s_and_saveexec_b32 s6, s93
	s_cbranch_execz .LBB51_87
.LBB51_138:                             ;   in Loop: Header=BB51_21 Depth=1
	v_add_nc_u64_e32 v[90:91], v[84:85], v[0:1]
	v_add_nc_u64_e32 v[92:93], 0x300, v[74:75]
	s_delay_alu instid0(VALU_DEP_2) | instskip(NEXT) | instid1(VALU_DEP_1)
	v_add_nc_u64_e32 v[90:91], 0x200, v[90:91]
	v_dual_cndmask_b32 v91, v93, v91, s0 :: v_dual_cndmask_b32 v90, v92, v90, s0
	global_load_b32 v90, v[90:91], off
	global_store_b64 v[86:87], v[60:61], off offset:1024
	s_wait_loadcnt 0x0
	global_store_b32 v[88:89], v90, off offset:512
	s_wait_xcnt 0x0
	s_or_b32 exec_lo, exec_lo, s6
	s_and_saveexec_b32 s6, s94
	s_cbranch_execz .LBB51_88
.LBB51_139:                             ;   in Loop: Header=BB51_21 Depth=1
	v_add_nc_u64_e32 v[90:91], v[84:85], v[0:1]
	v_add_nc_u64_e32 v[92:93], 0x300, v[72:73]
	s_delay_alu instid0(VALU_DEP_2) | instskip(NEXT) | instid1(VALU_DEP_1)
	v_add_nc_u64_e32 v[90:91], 0x280, v[90:91]
	v_dual_cndmask_b32 v91, v93, v91, s0 :: v_dual_cndmask_b32 v90, v92, v90, s0
	global_load_b32 v90, v[90:91], off
	global_store_b64 v[86:87], v[62:63], off offset:1280
	s_wait_loadcnt 0x0
	global_store_b32 v[88:89], v90, off offset:640
	s_wait_xcnt 0x0
	s_or_b32 exec_lo, exec_lo, s6
	s_and_saveexec_b32 s6, s95
	s_cbranch_execz .LBB51_89
.LBB51_140:                             ;   in Loop: Header=BB51_21 Depth=1
	v_add_nc_u64_e32 v[90:91], v[84:85], v[0:1]
	s_delay_alu instid0(VALU_DEP_1)
	v_dual_cndmask_b32 v91, v71, v91, s0 :: v_dual_cndmask_b32 v90, v70, v90, s0
	global_load_b32 v90, v[90:91], off offset:768
	global_store_b64 v[86:87], v[64:65], off offset:1536
	s_wait_loadcnt 0x0
	global_store_b32 v[88:89], v90, off offset:768
	s_wait_xcnt 0x0
	s_or_b32 exec_lo, exec_lo, s6
	s_and_saveexec_b32 s6, s8
	s_cbranch_execnz .LBB51_90
	s_branch .LBB51_91
.LBB51_141:                             ;   in Loop: Header=BB51_21 Depth=1
	v_add_nc_u64_e32 v[90:91], v[88:89], v[0:1]
	v_add_nc_u64_e32 v[66:67], 0x380, v[66:67]
	s_delay_alu instid0(VALU_DEP_1)
	v_dual_cndmask_b32 v67, v67, v91, s0 :: v_dual_cndmask_b32 v66, v66, v90, s0
	global_load_b32 v66, v[66:67], off
	global_store_b64 v[84:85], v[52:53], off
	s_wait_loadcnt 0x0
	global_store_b32 v[86:87], v66, off
	s_wait_xcnt 0x0
	s_or_b32 exec_lo, exec_lo, s4
	s_and_saveexec_b32 s4, s1
	s_cbranch_execz .LBB51_93
.LBB51_142:                             ;   in Loop: Header=BB51_21 Depth=1
	v_add_nc_u64_e32 v[52:53], v[88:89], v[0:1]
	v_add_nc_u64_e32 v[66:67], 0x380, v[80:81]
	s_delay_alu instid0(VALU_DEP_2) | instskip(NEXT) | instid1(VALU_DEP_1)
	v_add_nc_u64_e32 v[52:53], 0x80, v[52:53]
	v_dual_cndmask_b32 v53, v67, v53, s0 :: v_dual_cndmask_b32 v52, v66, v52, s0
	global_load_b32 v52, v[52:53], off
	global_store_b64 v[84:85], v[54:55], off offset:256
	s_wait_loadcnt 0x0
	global_store_b32 v[86:87], v52, off offset:128
	s_wait_xcnt 0x0
	s_or_b32 exec_lo, exec_lo, s4
	s_and_saveexec_b32 s4, s10
	s_cbranch_execz .LBB51_94
.LBB51_143:                             ;   in Loop: Header=BB51_21 Depth=1
	v_add_nc_u64_e32 v[52:53], v[88:89], v[0:1]
	v_add_nc_u64_e32 v[54:55], 0x380, v[78:79]
	s_delay_alu instid0(VALU_DEP_2) | instskip(NEXT) | instid1(VALU_DEP_1)
	v_add_nc_u64_e32 v[52:53], 0x100, v[52:53]
	v_dual_cndmask_b32 v53, v55, v53, s0 :: v_dual_cndmask_b32 v52, v54, v52, s0
	global_load_b32 v52, v[52:53], off
	global_store_b64 v[84:85], v[56:57], off offset:512
	s_wait_loadcnt 0x0
	global_store_b32 v[86:87], v52, off offset:256
	s_wait_xcnt 0x0
	s_or_b32 exec_lo, exec_lo, s4
	s_and_saveexec_b32 s4, s11
	s_cbranch_execz .LBB51_95
.LBB51_144:                             ;   in Loop: Header=BB51_21 Depth=1
	v_add_nc_u64_e32 v[52:53], v[88:89], v[0:1]
	v_add_nc_u64_e32 v[54:55], 0x380, v[76:77]
	s_delay_alu instid0(VALU_DEP_2) | instskip(NEXT) | instid1(VALU_DEP_1)
	v_add_nc_u64_e32 v[52:53], 0x180, v[52:53]
	v_dual_cndmask_b32 v53, v55, v53, s0 :: v_dual_cndmask_b32 v52, v54, v52, s0
	global_load_b32 v52, v[52:53], off
	global_store_b64 v[84:85], v[58:59], off offset:768
	s_wait_loadcnt 0x0
	global_store_b32 v[86:87], v52, off offset:384
	s_wait_xcnt 0x0
	s_or_b32 exec_lo, exec_lo, s4
	s_and_saveexec_b32 s4, s12
	s_cbranch_execz .LBB51_96
.LBB51_145:                             ;   in Loop: Header=BB51_21 Depth=1
	v_add_nc_u64_e32 v[52:53], v[88:89], v[0:1]
	v_add_nc_u64_e32 v[54:55], 0x380, v[74:75]
	s_delay_alu instid0(VALU_DEP_2) | instskip(NEXT) | instid1(VALU_DEP_1)
	v_add_nc_u64_e32 v[52:53], 0x200, v[52:53]
	v_dual_cndmask_b32 v53, v55, v53, s0 :: v_dual_cndmask_b32 v52, v54, v52, s0
	global_load_b32 v52, v[52:53], off
	global_store_b64 v[84:85], v[60:61], off offset:1024
	s_wait_loadcnt 0x0
	global_store_b32 v[86:87], v52, off offset:512
	s_wait_xcnt 0x0
	s_or_b32 exec_lo, exec_lo, s4
	s_and_saveexec_b32 s4, s13
	s_cbranch_execz .LBB51_97
.LBB51_146:                             ;   in Loop: Header=BB51_21 Depth=1
	v_add_nc_u64_e32 v[52:53], v[88:89], v[0:1]
	v_add_nc_u64_e32 v[54:55], 0x380, v[72:73]
	s_delay_alu instid0(VALU_DEP_2) | instskip(NEXT) | instid1(VALU_DEP_1)
	v_add_nc_u64_e32 v[52:53], 0x280, v[52:53]
	v_dual_cndmask_b32 v53, v55, v53, s0 :: v_dual_cndmask_b32 v52, v54, v52, s0
	global_load_b32 v52, v[52:53], off
	global_store_b64 v[84:85], v[62:63], off offset:1280
	s_wait_loadcnt 0x0
	global_store_b32 v[86:87], v52, off offset:640
	s_wait_xcnt 0x0
	s_or_b32 exec_lo, exec_lo, s4
	s_and_saveexec_b32 s4, s14
	s_cbranch_execz .LBB51_98
.LBB51_147:                             ;   in Loop: Header=BB51_21 Depth=1
	v_add_nc_u64_e32 v[52:53], v[88:89], v[0:1]
	v_add_nc_u64_e32 v[54:55], 0x380, v[70:71]
	s_delay_alu instid0(VALU_DEP_2) | instskip(NEXT) | instid1(VALU_DEP_1)
	v_add_nc_u64_e32 v[52:53], 0x300, v[52:53]
	v_dual_cndmask_b32 v53, v55, v53, s0 :: v_dual_cndmask_b32 v52, v54, v52, s0
	global_load_b32 v52, v[52:53], off
	global_store_b64 v[84:85], v[64:65], off offset:1536
	s_wait_loadcnt 0x0
	global_store_b32 v[86:87], v52, off offset:768
	s_wait_xcnt 0x0
	s_or_b32 exec_lo, exec_lo, s4
	s_and_saveexec_b32 s4, s9
	s_cbranch_execz .LBB51_20
.LBB51_148:                             ;   in Loop: Header=BB51_21 Depth=1
	v_add_nc_u64_e32 v[52:53], v[88:89], v[0:1]
	s_delay_alu instid0(VALU_DEP_1)
	v_dual_cndmask_b32 v53, v83, v53, s0 :: v_dual_cndmask_b32 v52, v82, v52, s0
	global_load_b32 v0, v[52:53], off offset:896
	global_store_b64 v[84:85], v[68:69], off offset:1792
	s_wait_loadcnt 0x0
	global_store_b32 v[86:87], v0, off offset:896
	s_branch .LBB51_20
.LBB51_149:
	s_sendmsg sendmsg(MSG_DEALLOC_VGPRS)
	s_endpgm
	.section	.rodata,"a",@progbits
	.p2align	6, 0x0
	.amdhsa_kernel _ZN9rocsparseL35bsr2csr_block_per_row_33_256_kernelILj1024ELj256ELj32EillEEv20rocsparse_direction_T4_S2_21rocsparse_index_base_PKT2_PKT3_PKS2_S2_S3_PS4_PS7_PS2_
		.amdhsa_group_segment_fixed_size 0
		.amdhsa_private_segment_fixed_size 0
		.amdhsa_kernarg_size 96
		.amdhsa_user_sgpr_count 2
		.amdhsa_user_sgpr_dispatch_ptr 0
		.amdhsa_user_sgpr_queue_ptr 0
		.amdhsa_user_sgpr_kernarg_segment_ptr 1
		.amdhsa_user_sgpr_dispatch_id 0
		.amdhsa_user_sgpr_kernarg_preload_length 0
		.amdhsa_user_sgpr_kernarg_preload_offset 0
		.amdhsa_user_sgpr_private_segment_size 0
		.amdhsa_wavefront_size32 1
		.amdhsa_uses_dynamic_stack 0
		.amdhsa_enable_private_segment 0
		.amdhsa_system_sgpr_workgroup_id_x 1
		.amdhsa_system_sgpr_workgroup_id_y 0
		.amdhsa_system_sgpr_workgroup_id_z 0
		.amdhsa_system_sgpr_workgroup_info 0
		.amdhsa_system_vgpr_workitem_id 0
		.amdhsa_next_free_vgpr 94
		.amdhsa_next_free_sgpr 100
		.amdhsa_named_barrier_count 0
		.amdhsa_reserve_vcc 1
		.amdhsa_float_round_mode_32 0
		.amdhsa_float_round_mode_16_64 0
		.amdhsa_float_denorm_mode_32 3
		.amdhsa_float_denorm_mode_16_64 3
		.amdhsa_fp16_overflow 0
		.amdhsa_memory_ordered 1
		.amdhsa_forward_progress 1
		.amdhsa_inst_pref_size 66
		.amdhsa_round_robin_scheduling 0
		.amdhsa_exception_fp_ieee_invalid_op 0
		.amdhsa_exception_fp_denorm_src 0
		.amdhsa_exception_fp_ieee_div_zero 0
		.amdhsa_exception_fp_ieee_overflow 0
		.amdhsa_exception_fp_ieee_underflow 0
		.amdhsa_exception_fp_ieee_inexact 0
		.amdhsa_exception_int_div_zero 0
	.end_amdhsa_kernel
	.section	.text._ZN9rocsparseL35bsr2csr_block_per_row_33_256_kernelILj1024ELj256ELj32EillEEv20rocsparse_direction_T4_S2_21rocsparse_index_base_PKT2_PKT3_PKS2_S2_S3_PS4_PS7_PS2_,"axG",@progbits,_ZN9rocsparseL35bsr2csr_block_per_row_33_256_kernelILj1024ELj256ELj32EillEEv20rocsparse_direction_T4_S2_21rocsparse_index_base_PKT2_PKT3_PKS2_S2_S3_PS4_PS7_PS2_,comdat
.Lfunc_end51:
	.size	_ZN9rocsparseL35bsr2csr_block_per_row_33_256_kernelILj1024ELj256ELj32EillEEv20rocsparse_direction_T4_S2_21rocsparse_index_base_PKT2_PKT3_PKS2_S2_S3_PS4_PS7_PS2_, .Lfunc_end51-_ZN9rocsparseL35bsr2csr_block_per_row_33_256_kernelILj1024ELj256ELj32EillEEv20rocsparse_direction_T4_S2_21rocsparse_index_base_PKT2_PKT3_PKS2_S2_S3_PS4_PS7_PS2_
                                        ; -- End function
	.set _ZN9rocsparseL35bsr2csr_block_per_row_33_256_kernelILj1024ELj256ELj32EillEEv20rocsparse_direction_T4_S2_21rocsparse_index_base_PKT2_PKT3_PKS2_S2_S3_PS4_PS7_PS2_.num_vgpr, 94
	.set _ZN9rocsparseL35bsr2csr_block_per_row_33_256_kernelILj1024ELj256ELj32EillEEv20rocsparse_direction_T4_S2_21rocsparse_index_base_PKT2_PKT3_PKS2_S2_S3_PS4_PS7_PS2_.num_agpr, 0
	.set _ZN9rocsparseL35bsr2csr_block_per_row_33_256_kernelILj1024ELj256ELj32EillEEv20rocsparse_direction_T4_S2_21rocsparse_index_base_PKT2_PKT3_PKS2_S2_S3_PS4_PS7_PS2_.numbered_sgpr, 100
	.set _ZN9rocsparseL35bsr2csr_block_per_row_33_256_kernelILj1024ELj256ELj32EillEEv20rocsparse_direction_T4_S2_21rocsparse_index_base_PKT2_PKT3_PKS2_S2_S3_PS4_PS7_PS2_.num_named_barrier, 0
	.set _ZN9rocsparseL35bsr2csr_block_per_row_33_256_kernelILj1024ELj256ELj32EillEEv20rocsparse_direction_T4_S2_21rocsparse_index_base_PKT2_PKT3_PKS2_S2_S3_PS4_PS7_PS2_.private_seg_size, 0
	.set _ZN9rocsparseL35bsr2csr_block_per_row_33_256_kernelILj1024ELj256ELj32EillEEv20rocsparse_direction_T4_S2_21rocsparse_index_base_PKT2_PKT3_PKS2_S2_S3_PS4_PS7_PS2_.uses_vcc, 1
	.set _ZN9rocsparseL35bsr2csr_block_per_row_33_256_kernelILj1024ELj256ELj32EillEEv20rocsparse_direction_T4_S2_21rocsparse_index_base_PKT2_PKT3_PKS2_S2_S3_PS4_PS7_PS2_.uses_flat_scratch, 0
	.set _ZN9rocsparseL35bsr2csr_block_per_row_33_256_kernelILj1024ELj256ELj32EillEEv20rocsparse_direction_T4_S2_21rocsparse_index_base_PKT2_PKT3_PKS2_S2_S3_PS4_PS7_PS2_.has_dyn_sized_stack, 0
	.set _ZN9rocsparseL35bsr2csr_block_per_row_33_256_kernelILj1024ELj256ELj32EillEEv20rocsparse_direction_T4_S2_21rocsparse_index_base_PKT2_PKT3_PKS2_S2_S3_PS4_PS7_PS2_.has_recursion, 0
	.set _ZN9rocsparseL35bsr2csr_block_per_row_33_256_kernelILj1024ELj256ELj32EillEEv20rocsparse_direction_T4_S2_21rocsparse_index_base_PKT2_PKT3_PKS2_S2_S3_PS4_PS7_PS2_.has_indirect_call, 0
	.section	.AMDGPU.csdata,"",@progbits
; Kernel info:
; codeLenInByte = 8396
; TotalNumSgprs: 102
; NumVgprs: 94
; ScratchSize: 0
; MemoryBound: 0
; FloatMode: 240
; IeeeMode: 1
; LDSByteSize: 0 bytes/workgroup (compile time only)
; SGPRBlocks: 0
; VGPRBlocks: 5
; NumSGPRsForWavesPerEU: 102
; NumVGPRsForWavesPerEU: 94
; NamedBarCnt: 0
; Occupancy: 10
; WaveLimiterHint : 1
; COMPUTE_PGM_RSRC2:SCRATCH_EN: 0
; COMPUTE_PGM_RSRC2:USER_SGPR: 2
; COMPUTE_PGM_RSRC2:TRAP_HANDLER: 0
; COMPUTE_PGM_RSRC2:TGID_X_EN: 1
; COMPUTE_PGM_RSRC2:TGID_Y_EN: 0
; COMPUTE_PGM_RSRC2:TGID_Z_EN: 0
; COMPUTE_PGM_RSRC2:TIDIG_COMP_CNT: 0
	.section	.text._ZN9rocsparseL35bsr2csr_block_dim_equals_one_kernelILj1024EliiEEvT2_S1_21rocsparse_index_base_PKT0_PKT1_PKS1_S2_PS3_PS6_PS1_,"axG",@progbits,_ZN9rocsparseL35bsr2csr_block_dim_equals_one_kernelILj1024EliiEEvT2_S1_21rocsparse_index_base_PKT0_PKT1_PKS1_S2_PS3_PS6_PS1_,comdat
	.globl	_ZN9rocsparseL35bsr2csr_block_dim_equals_one_kernelILj1024EliiEEvT2_S1_21rocsparse_index_base_PKT0_PKT1_PKS1_S2_PS3_PS6_PS1_ ; -- Begin function _ZN9rocsparseL35bsr2csr_block_dim_equals_one_kernelILj1024EliiEEvT2_S1_21rocsparse_index_base_PKT0_PKT1_PKS1_S2_PS3_PS6_PS1_
	.p2align	8
	.type	_ZN9rocsparseL35bsr2csr_block_dim_equals_one_kernelILj1024EliiEEvT2_S1_21rocsparse_index_base_PKT0_PKT1_PKS1_S2_PS3_PS6_PS1_,@function
_ZN9rocsparseL35bsr2csr_block_dim_equals_one_kernelILj1024EliiEEvT2_S1_21rocsparse_index_base_PKT0_PKT1_PKS1_S2_PS3_PS6_PS1_: ; @_ZN9rocsparseL35bsr2csr_block_dim_equals_one_kernelILj1024EliiEEvT2_S1_21rocsparse_index_base_PKT0_PKT1_PKS1_S2_PS3_PS6_PS1_
; %bb.0:
	s_clause 0x5
	s_load_b64 s[2:3], s[0:1], 0x40
	s_load_b32 s14, s[0:1], 0x0
	s_load_b32 s11, s[0:1], 0x8
	s_load_b128 s[4:7], s[0:1], 0x10
	s_load_b96 s[8:10], s[0:1], 0x20
	s_load_b64 s[12:13], s[0:1], 0x30
	s_bfe_u32 s15, ttmp6, 0x4000c
	s_and_b32 s16, ttmp6, 15
	s_add_co_i32 s15, s15, 1
	s_getreg_b32 s17, hwreg(HW_REG_IB_STS2, 6, 4)
	s_mul_i32 s15, ttmp9, s15
	s_delay_alu instid0(SALU_CYCLE_1) | instskip(SKIP_2) | instid1(SALU_CYCLE_1)
	s_add_co_i32 s16, s16, s15
	s_cmp_eq_u32 s17, 0
	s_cselect_b32 s15, ttmp9, s16
	v_lshl_or_b32 v0, s15, 10, v0
	s_mov_b32 s15, exec_lo
	s_wait_kmcnt 0x0
	s_delay_alu instid0(VALU_DEP_1)
	v_cmpx_gt_i32_e64 s14, v0
	s_cbranch_execz .LBB52_6
; %bb.1:
	s_load_b64 s[16:17], s[0:1], 0x38
	s_mov_b32 s18, exec_lo
                                        ; implicit-def: $sgpr19
	v_cmpx_ne_u32_e32 0, v0
	s_xor_b32 s18, exec_lo, s18
; %bb.2:
	s_sub_co_i32 s19, s10, s11
; %bb.3:
	s_or_saveexec_b32 s18, s18
	v_mov_b32_e32 v1, s19
	s_xor_b32 exec_lo, exec_lo, s18
	s_cbranch_execz .LBB52_5
; %bb.4:
	s_load_b32 s19, s[6:7], 0x0
	s_sub_co_i32 s20, s10, s11
	s_delay_alu instid0(SALU_CYCLE_1) | instskip(SKIP_2) | instid1(SALU_CYCLE_1)
	v_mov_b32_e32 v1, s20
	s_wait_kmcnt 0x0
	s_add_co_i32 s19, s20, s19
	v_dual_mov_b32 v2, 0 :: v_dual_mov_b32 v3, s19
	global_store_b32 v2, v3, s[16:17]
.LBB52_5:
	s_wait_xcnt 0x0
	s_or_b32 exec_lo, exec_lo, s18
	global_load_b32 v2, v0, s[6:7] offset:4 scale_offset
	s_wait_loadcnt 0x0
	v_add_nc_u32_e32 v1, v1, v2
	s_wait_kmcnt 0x0
	global_store_b32 v0, v1, s[16:17] offset:4 scale_offset
.LBB52_6:
	s_wait_xcnt 0x0
	s_or_b32 exec_lo, exec_lo, s15
	s_ashr_i32 s15, s14, 31
	s_delay_alu instid0(SALU_CYCLE_1) | instskip(NEXT) | instid1(SALU_CYCLE_1)
	s_lshl_b64 s[14:15], s[14:15], 2
	s_add_nc_u64 s[14:15], s[6:7], s[14:15]
	s_clause 0x1
	s_load_b32 s16, s[14:15], 0x0
	s_load_b32 s17, s[6:7], 0x0
	s_wait_xcnt 0x0
	s_mov_b32 s7, exec_lo
	s_wait_kmcnt 0x0
	s_sub_co_i32 s6, s16, s17
	s_delay_alu instid0(SALU_CYCLE_1)
	v_cmpx_gt_i32_e64 s6, v0
	s_cbranch_execz .LBB52_9
; %bb.7:
	s_load_b32 s1, s[0:1], 0x48
	s_wait_xcnt 0x0
	s_sub_co_i32 s0, s10, s11
	s_mov_b32 s7, 0
	s_wait_kmcnt 0x0
	s_lshl_b32 s1, s1, 10
.LBB52_8:                               ; =>This Inner Loop Header: Depth=1
	s_clause 0x1
	global_load_b32 v1, v0, s[8:9] scale_offset
	global_load_b64 v[2:3], v0, s[4:5] scale_offset
	s_wait_loadcnt 0x1
	v_add_nc_u32_e32 v1, s0, v1
	global_store_b32 v0, v1, s[2:3] scale_offset
	s_wait_loadcnt 0x0
	global_store_b64 v0, v[2:3], s[12:13] scale_offset
	s_wait_xcnt 0x0
	v_add_nc_u32_e32 v0, s1, v0
	s_delay_alu instid0(VALU_DEP_1) | instskip(SKIP_1) | instid1(SALU_CYCLE_1)
	v_cmp_le_i32_e32 vcc_lo, s6, v0
	s_or_b32 s7, vcc_lo, s7
	s_and_not1_b32 exec_lo, exec_lo, s7
	s_cbranch_execnz .LBB52_8
.LBB52_9:
	s_endpgm
	.section	.rodata,"a",@progbits
	.p2align	6, 0x0
	.amdhsa_kernel _ZN9rocsparseL35bsr2csr_block_dim_equals_one_kernelILj1024EliiEEvT2_S1_21rocsparse_index_base_PKT0_PKT1_PKS1_S2_PS3_PS6_PS1_
		.amdhsa_group_segment_fixed_size 0
		.amdhsa_private_segment_fixed_size 0
		.amdhsa_kernarg_size 328
		.amdhsa_user_sgpr_count 2
		.amdhsa_user_sgpr_dispatch_ptr 0
		.amdhsa_user_sgpr_queue_ptr 0
		.amdhsa_user_sgpr_kernarg_segment_ptr 1
		.amdhsa_user_sgpr_dispatch_id 0
		.amdhsa_user_sgpr_kernarg_preload_length 0
		.amdhsa_user_sgpr_kernarg_preload_offset 0
		.amdhsa_user_sgpr_private_segment_size 0
		.amdhsa_wavefront_size32 1
		.amdhsa_uses_dynamic_stack 0
		.amdhsa_enable_private_segment 0
		.amdhsa_system_sgpr_workgroup_id_x 1
		.amdhsa_system_sgpr_workgroup_id_y 0
		.amdhsa_system_sgpr_workgroup_id_z 0
		.amdhsa_system_sgpr_workgroup_info 0
		.amdhsa_system_vgpr_workitem_id 0
		.amdhsa_next_free_vgpr 4
		.amdhsa_next_free_sgpr 21
		.amdhsa_named_barrier_count 0
		.amdhsa_reserve_vcc 1
		.amdhsa_float_round_mode_32 0
		.amdhsa_float_round_mode_16_64 0
		.amdhsa_float_denorm_mode_32 3
		.amdhsa_float_denorm_mode_16_64 3
		.amdhsa_fp16_overflow 0
		.amdhsa_memory_ordered 1
		.amdhsa_forward_progress 1
		.amdhsa_inst_pref_size 4
		.amdhsa_round_robin_scheduling 0
		.amdhsa_exception_fp_ieee_invalid_op 0
		.amdhsa_exception_fp_denorm_src 0
		.amdhsa_exception_fp_ieee_div_zero 0
		.amdhsa_exception_fp_ieee_overflow 0
		.amdhsa_exception_fp_ieee_underflow 0
		.amdhsa_exception_fp_ieee_inexact 0
		.amdhsa_exception_int_div_zero 0
	.end_amdhsa_kernel
	.section	.text._ZN9rocsparseL35bsr2csr_block_dim_equals_one_kernelILj1024EliiEEvT2_S1_21rocsparse_index_base_PKT0_PKT1_PKS1_S2_PS3_PS6_PS1_,"axG",@progbits,_ZN9rocsparseL35bsr2csr_block_dim_equals_one_kernelILj1024EliiEEvT2_S1_21rocsparse_index_base_PKT0_PKT1_PKS1_S2_PS3_PS6_PS1_,comdat
.Lfunc_end52:
	.size	_ZN9rocsparseL35bsr2csr_block_dim_equals_one_kernelILj1024EliiEEvT2_S1_21rocsparse_index_base_PKT0_PKT1_PKS1_S2_PS3_PS6_PS1_, .Lfunc_end52-_ZN9rocsparseL35bsr2csr_block_dim_equals_one_kernelILj1024EliiEEvT2_S1_21rocsparse_index_base_PKT0_PKT1_PKS1_S2_PS3_PS6_PS1_
                                        ; -- End function
	.set _ZN9rocsparseL35bsr2csr_block_dim_equals_one_kernelILj1024EliiEEvT2_S1_21rocsparse_index_base_PKT0_PKT1_PKS1_S2_PS3_PS6_PS1_.num_vgpr, 4
	.set _ZN9rocsparseL35bsr2csr_block_dim_equals_one_kernelILj1024EliiEEvT2_S1_21rocsparse_index_base_PKT0_PKT1_PKS1_S2_PS3_PS6_PS1_.num_agpr, 0
	.set _ZN9rocsparseL35bsr2csr_block_dim_equals_one_kernelILj1024EliiEEvT2_S1_21rocsparse_index_base_PKT0_PKT1_PKS1_S2_PS3_PS6_PS1_.numbered_sgpr, 21
	.set _ZN9rocsparseL35bsr2csr_block_dim_equals_one_kernelILj1024EliiEEvT2_S1_21rocsparse_index_base_PKT0_PKT1_PKS1_S2_PS3_PS6_PS1_.num_named_barrier, 0
	.set _ZN9rocsparseL35bsr2csr_block_dim_equals_one_kernelILj1024EliiEEvT2_S1_21rocsparse_index_base_PKT0_PKT1_PKS1_S2_PS3_PS6_PS1_.private_seg_size, 0
	.set _ZN9rocsparseL35bsr2csr_block_dim_equals_one_kernelILj1024EliiEEvT2_S1_21rocsparse_index_base_PKT0_PKT1_PKS1_S2_PS3_PS6_PS1_.uses_vcc, 1
	.set _ZN9rocsparseL35bsr2csr_block_dim_equals_one_kernelILj1024EliiEEvT2_S1_21rocsparse_index_base_PKT0_PKT1_PKS1_S2_PS3_PS6_PS1_.uses_flat_scratch, 0
	.set _ZN9rocsparseL35bsr2csr_block_dim_equals_one_kernelILj1024EliiEEvT2_S1_21rocsparse_index_base_PKT0_PKT1_PKS1_S2_PS3_PS6_PS1_.has_dyn_sized_stack, 0
	.set _ZN9rocsparseL35bsr2csr_block_dim_equals_one_kernelILj1024EliiEEvT2_S1_21rocsparse_index_base_PKT0_PKT1_PKS1_S2_PS3_PS6_PS1_.has_recursion, 0
	.set _ZN9rocsparseL35bsr2csr_block_dim_equals_one_kernelILj1024EliiEEvT2_S1_21rocsparse_index_base_PKT0_PKT1_PKS1_S2_PS3_PS6_PS1_.has_indirect_call, 0
	.section	.AMDGPU.csdata,"",@progbits
; Kernel info:
; codeLenInByte = 456
; TotalNumSgprs: 23
; NumVgprs: 4
; ScratchSize: 0
; MemoryBound: 0
; FloatMode: 240
; IeeeMode: 1
; LDSByteSize: 0 bytes/workgroup (compile time only)
; SGPRBlocks: 0
; VGPRBlocks: 0
; NumSGPRsForWavesPerEU: 23
; NumVGPRsForWavesPerEU: 4
; NamedBarCnt: 0
; Occupancy: 16
; WaveLimiterHint : 0
; COMPUTE_PGM_RSRC2:SCRATCH_EN: 0
; COMPUTE_PGM_RSRC2:USER_SGPR: 2
; COMPUTE_PGM_RSRC2:TRAP_HANDLER: 0
; COMPUTE_PGM_RSRC2:TGID_X_EN: 1
; COMPUTE_PGM_RSRC2:TGID_Y_EN: 0
; COMPUTE_PGM_RSRC2:TGID_Z_EN: 0
; COMPUTE_PGM_RSRC2:TIDIG_COMP_CNT: 0
	.section	.text._ZN9rocsparseL32bsr2csr_block_per_row_2_7_kernelILj256ELj2EliiEEv20rocsparse_direction_T3_S2_21rocsparse_index_base_PKT1_PKT2_PKS2_S2_S3_PS4_PS7_PS2_,"axG",@progbits,_ZN9rocsparseL32bsr2csr_block_per_row_2_7_kernelILj256ELj2EliiEEv20rocsparse_direction_T3_S2_21rocsparse_index_base_PKT1_PKT2_PKS2_S2_S3_PS4_PS7_PS2_,comdat
	.globl	_ZN9rocsparseL32bsr2csr_block_per_row_2_7_kernelILj256ELj2EliiEEv20rocsparse_direction_T3_S2_21rocsparse_index_base_PKT1_PKT2_PKS2_S2_S3_PS4_PS7_PS2_ ; -- Begin function _ZN9rocsparseL32bsr2csr_block_per_row_2_7_kernelILj256ELj2EliiEEv20rocsparse_direction_T3_S2_21rocsparse_index_base_PKT1_PKT2_PKS2_S2_S3_PS4_PS7_PS2_
	.p2align	8
	.type	_ZN9rocsparseL32bsr2csr_block_per_row_2_7_kernelILj256ELj2EliiEEv20rocsparse_direction_T3_S2_21rocsparse_index_base_PKT1_PKT2_PKS2_S2_S3_PS4_PS7_PS2_,@function
_ZN9rocsparseL32bsr2csr_block_per_row_2_7_kernelILj256ELj2EliiEEv20rocsparse_direction_T3_S2_21rocsparse_index_base_PKT1_PKT2_PKS2_S2_S3_PS4_PS7_PS2_: ; @_ZN9rocsparseL32bsr2csr_block_per_row_2_7_kernelILj256ELj2EliiEEv20rocsparse_direction_T3_S2_21rocsparse_index_base_PKT1_PKT2_PKS2_S2_S3_PS4_PS7_PS2_
; %bb.0:
	s_load_b64 s[6:7], s[0:1], 0x18
	s_bfe_u32 s2, ttmp6, 0x4000c
	s_and_b32 s3, ttmp6, 15
	s_add_co_i32 s2, s2, 1
	s_getreg_b32 s4, hwreg(HW_REG_IB_STS2, 6, 4)
	s_mul_i32 s2, ttmp9, s2
	s_delay_alu instid0(SALU_CYCLE_1)
	s_add_co_i32 s3, s3, s2
	s_cmp_eq_u32 s4, 0
	s_cselect_b32 s4, ttmp9, s3
	s_clause 0x1
	s_load_b32 s12, s[0:1], 0x2c
	s_load_b64 s[2:3], s[0:1], 0x38
	s_ashr_i32 s5, s4, 31
	v_or_b32_e32 v1, s4, v0
	s_lshl_b64 s[8:9], s[4:5], 2
	s_mov_b32 s5, exec_lo
	s_wait_kmcnt 0x0
	s_add_nc_u64 s[6:7], s[6:7], s[8:9]
	s_load_b64 s[10:11], s[6:7], 0x0
	v_cmpx_eq_u32_e32 0, v1
	s_cbranch_execz .LBB53_2
; %bb.1:
	v_dual_mov_b32 v1, 0 :: v_dual_mov_b32 v2, s12
	global_store_b32 v1, v2, s[2:3]
.LBB53_2:
	s_wait_xcnt 0x0
	s_or_b32 exec_lo, exec_lo, s5
	s_load_b32 s13, s[0:1], 0xc
	v_dual_lshrrev_b32 v0, 1, v0 :: v_dual_bitop2_b32 v1, 1, v0 bitop3:0x40
	s_delay_alu instid0(VALU_DEP_1) | instskip(NEXT) | instid1(VALU_DEP_1)
	v_lshl_or_b32 v4, s4, 1, v1
	v_add_nc_u32_e32 v4, 1, v4
	s_wait_kmcnt 0x0
	s_sub_co_i32 s5, s10, s13
	s_sub_co_i32 s11, s11, s13
	s_lshl_b32 s4, s5, 2
	s_sub_co_i32 s6, s11, s5
	v_add_nc_u32_e32 v2, s5, v0
	s_lshl_b32 s6, s6, 1
	s_delay_alu instid0(SALU_CYCLE_1)
	v_mul_lo_u32 v3, s6, v1
	s_add_co_i32 s6, s6, s12
	s_delay_alu instid0(VALU_DEP_1) | instid1(SALU_CYCLE_1)
	v_add3_u32 v5, s6, s4, v3
	global_store_b32 v4, v5, s[2:3] scale_offset
	s_wait_xcnt 0x0
	s_mov_b32 s2, exec_lo
	v_cmpx_gt_i32_e64 s11, v2
	s_cbranch_execz .LBB53_5
; %bb.3:
	s_clause 0x4
	s_load_b64 s[2:3], s[0:1], 0x20
	s_load_b64 s[4:5], s[0:1], 0x30
	s_load_b32 s14, s[0:1], 0x0
	s_load_b64 s[6:7], s[0:1], 0x10
	s_load_b64 s[8:9], s[0:1], 0x40
	v_dual_lshlrev_b32 v0, 1, v0 :: v_dual_lshlrev_b32 v4, 2, v2
	s_wait_xcnt 0x0
	s_mov_b32 s1, 0
	s_wait_kmcnt 0x0
	s_cmp_eq_u32 s14, 0
	s_cselect_b32 vcc_lo, -1, 0
	s_lshl_b32 s0, s10, 2
	s_delay_alu instid0(SALU_CYCLE_1) | instskip(SKIP_3) | instid1(VALU_DEP_3)
	v_add3_u32 v0, v3, s0, v0
	s_lshl_b32 s0, s13, 2
	v_lshl_or_b32 v3, v1, 1, v4
	v_or_b32_e32 v4, v4, v1
	v_subrev_nc_u32_e32 v0, s0, v0
.LBB53_4:                               ; =>This Inner Loop Header: Depth=1
	global_load_b32 v1, v2, s[2:3] scale_offset
	v_dual_add_nc_u32 v5, 1, v3 :: v_dual_add_nc_u32 v6, 2, v4
	v_cndmask_b32_e32 v10, v4, v3, vcc_lo
	s_wait_xcnt 0x0
	v_add_nc_u32_e32 v2, 0x80, v2
	v_add_nc_u32_e32 v3, 0x200, v3
	v_dual_cndmask_b32 v5, v6, v5 :: v_dual_add_nc_u32 v4, 0x200, v4
	s_clause 0x1
	global_load_b64 v[6:7], v10, s[6:7] scale_offset
	global_load_b64 v[8:9], v5, s[6:7] scale_offset
	v_cmp_le_i32_e64 s0, s11, v2
	s_or_b32 s1, s0, s1
	s_wait_loadcnt 0x2
	s_wait_xcnt 0x0
	v_subrev_nc_u32_e32 v5, s13, v1
	s_delay_alu instid0(VALU_DEP_1) | instskip(NEXT) | instid1(VALU_DEP_1)
	v_lshl_add_u32 v10, v5, 1, s12
	v_dual_ashrrev_i32 v1, 31, v0 :: v_dual_add_nc_u32 v11, 1, v10
	s_delay_alu instid0(VALU_DEP_1)
	v_lshl_add_u64 v[12:13], v[0:1], 2, s[8:9]
	v_lshl_add_u64 v[14:15], v[0:1], 3, s[4:5]
	v_add_nc_u32_e32 v0, 0x100, v0
	s_wait_loadcnt 0x0
	global_store_b128 v[14:15], v[6:9], off
	global_store_b64 v[12:13], v[10:11], off
	s_wait_xcnt 0x0
	s_and_not1_b32 exec_lo, exec_lo, s1
	s_cbranch_execnz .LBB53_4
.LBB53_5:
	s_endpgm
	.section	.rodata,"a",@progbits
	.p2align	6, 0x0
	.amdhsa_kernel _ZN9rocsparseL32bsr2csr_block_per_row_2_7_kernelILj256ELj2EliiEEv20rocsparse_direction_T3_S2_21rocsparse_index_base_PKT1_PKT2_PKS2_S2_S3_PS4_PS7_PS2_
		.amdhsa_group_segment_fixed_size 0
		.amdhsa_private_segment_fixed_size 0
		.amdhsa_kernarg_size 72
		.amdhsa_user_sgpr_count 2
		.amdhsa_user_sgpr_dispatch_ptr 0
		.amdhsa_user_sgpr_queue_ptr 0
		.amdhsa_user_sgpr_kernarg_segment_ptr 1
		.amdhsa_user_sgpr_dispatch_id 0
		.amdhsa_user_sgpr_kernarg_preload_length 0
		.amdhsa_user_sgpr_kernarg_preload_offset 0
		.amdhsa_user_sgpr_private_segment_size 0
		.amdhsa_wavefront_size32 1
		.amdhsa_uses_dynamic_stack 0
		.amdhsa_enable_private_segment 0
		.amdhsa_system_sgpr_workgroup_id_x 1
		.amdhsa_system_sgpr_workgroup_id_y 0
		.amdhsa_system_sgpr_workgroup_id_z 0
		.amdhsa_system_sgpr_workgroup_info 0
		.amdhsa_system_vgpr_workitem_id 0
		.amdhsa_next_free_vgpr 16
		.amdhsa_next_free_sgpr 15
		.amdhsa_named_barrier_count 0
		.amdhsa_reserve_vcc 1
		.amdhsa_float_round_mode_32 0
		.amdhsa_float_round_mode_16_64 0
		.amdhsa_float_denorm_mode_32 3
		.amdhsa_float_denorm_mode_16_64 3
		.amdhsa_fp16_overflow 0
		.amdhsa_memory_ordered 1
		.amdhsa_forward_progress 1
		.amdhsa_inst_pref_size 5
		.amdhsa_round_robin_scheduling 0
		.amdhsa_exception_fp_ieee_invalid_op 0
		.amdhsa_exception_fp_denorm_src 0
		.amdhsa_exception_fp_ieee_div_zero 0
		.amdhsa_exception_fp_ieee_overflow 0
		.amdhsa_exception_fp_ieee_underflow 0
		.amdhsa_exception_fp_ieee_inexact 0
		.amdhsa_exception_int_div_zero 0
	.end_amdhsa_kernel
	.section	.text._ZN9rocsparseL32bsr2csr_block_per_row_2_7_kernelILj256ELj2EliiEEv20rocsparse_direction_T3_S2_21rocsparse_index_base_PKT1_PKT2_PKS2_S2_S3_PS4_PS7_PS2_,"axG",@progbits,_ZN9rocsparseL32bsr2csr_block_per_row_2_7_kernelILj256ELj2EliiEEv20rocsparse_direction_T3_S2_21rocsparse_index_base_PKT1_PKT2_PKS2_S2_S3_PS4_PS7_PS2_,comdat
.Lfunc_end53:
	.size	_ZN9rocsparseL32bsr2csr_block_per_row_2_7_kernelILj256ELj2EliiEEv20rocsparse_direction_T3_S2_21rocsparse_index_base_PKT1_PKT2_PKS2_S2_S3_PS4_PS7_PS2_, .Lfunc_end53-_ZN9rocsparseL32bsr2csr_block_per_row_2_7_kernelILj256ELj2EliiEEv20rocsparse_direction_T3_S2_21rocsparse_index_base_PKT1_PKT2_PKS2_S2_S3_PS4_PS7_PS2_
                                        ; -- End function
	.set _ZN9rocsparseL32bsr2csr_block_per_row_2_7_kernelILj256ELj2EliiEEv20rocsparse_direction_T3_S2_21rocsparse_index_base_PKT1_PKT2_PKS2_S2_S3_PS4_PS7_PS2_.num_vgpr, 16
	.set _ZN9rocsparseL32bsr2csr_block_per_row_2_7_kernelILj256ELj2EliiEEv20rocsparse_direction_T3_S2_21rocsparse_index_base_PKT1_PKT2_PKS2_S2_S3_PS4_PS7_PS2_.num_agpr, 0
	.set _ZN9rocsparseL32bsr2csr_block_per_row_2_7_kernelILj256ELj2EliiEEv20rocsparse_direction_T3_S2_21rocsparse_index_base_PKT1_PKT2_PKS2_S2_S3_PS4_PS7_PS2_.numbered_sgpr, 15
	.set _ZN9rocsparseL32bsr2csr_block_per_row_2_7_kernelILj256ELj2EliiEEv20rocsparse_direction_T3_S2_21rocsparse_index_base_PKT1_PKT2_PKS2_S2_S3_PS4_PS7_PS2_.num_named_barrier, 0
	.set _ZN9rocsparseL32bsr2csr_block_per_row_2_7_kernelILj256ELj2EliiEEv20rocsparse_direction_T3_S2_21rocsparse_index_base_PKT1_PKT2_PKS2_S2_S3_PS4_PS7_PS2_.private_seg_size, 0
	.set _ZN9rocsparseL32bsr2csr_block_per_row_2_7_kernelILj256ELj2EliiEEv20rocsparse_direction_T3_S2_21rocsparse_index_base_PKT1_PKT2_PKS2_S2_S3_PS4_PS7_PS2_.uses_vcc, 1
	.set _ZN9rocsparseL32bsr2csr_block_per_row_2_7_kernelILj256ELj2EliiEEv20rocsparse_direction_T3_S2_21rocsparse_index_base_PKT1_PKT2_PKS2_S2_S3_PS4_PS7_PS2_.uses_flat_scratch, 0
	.set _ZN9rocsparseL32bsr2csr_block_per_row_2_7_kernelILj256ELj2EliiEEv20rocsparse_direction_T3_S2_21rocsparse_index_base_PKT1_PKT2_PKS2_S2_S3_PS4_PS7_PS2_.has_dyn_sized_stack, 0
	.set _ZN9rocsparseL32bsr2csr_block_per_row_2_7_kernelILj256ELj2EliiEEv20rocsparse_direction_T3_S2_21rocsparse_index_base_PKT1_PKT2_PKS2_S2_S3_PS4_PS7_PS2_.has_recursion, 0
	.set _ZN9rocsparseL32bsr2csr_block_per_row_2_7_kernelILj256ELj2EliiEEv20rocsparse_direction_T3_S2_21rocsparse_index_base_PKT1_PKT2_PKS2_S2_S3_PS4_PS7_PS2_.has_indirect_call, 0
	.section	.AMDGPU.csdata,"",@progbits
; Kernel info:
; codeLenInByte = 580
; TotalNumSgprs: 17
; NumVgprs: 16
; ScratchSize: 0
; MemoryBound: 0
; FloatMode: 240
; IeeeMode: 1
; LDSByteSize: 0 bytes/workgroup (compile time only)
; SGPRBlocks: 0
; VGPRBlocks: 0
; NumSGPRsForWavesPerEU: 17
; NumVGPRsForWavesPerEU: 16
; NamedBarCnt: 0
; Occupancy: 16
; WaveLimiterHint : 0
; COMPUTE_PGM_RSRC2:SCRATCH_EN: 0
; COMPUTE_PGM_RSRC2:USER_SGPR: 2
; COMPUTE_PGM_RSRC2:TRAP_HANDLER: 0
; COMPUTE_PGM_RSRC2:TGID_X_EN: 1
; COMPUTE_PGM_RSRC2:TGID_Y_EN: 0
; COMPUTE_PGM_RSRC2:TGID_Z_EN: 0
; COMPUTE_PGM_RSRC2:TIDIG_COMP_CNT: 0
	.section	.text._ZN9rocsparseL32bsr2csr_block_per_row_2_7_kernelILj256ELj3EliiEEv20rocsparse_direction_T3_S2_21rocsparse_index_base_PKT1_PKT2_PKS2_S2_S3_PS4_PS7_PS2_,"axG",@progbits,_ZN9rocsparseL32bsr2csr_block_per_row_2_7_kernelILj256ELj3EliiEEv20rocsparse_direction_T3_S2_21rocsparse_index_base_PKT1_PKT2_PKS2_S2_S3_PS4_PS7_PS2_,comdat
	.globl	_ZN9rocsparseL32bsr2csr_block_per_row_2_7_kernelILj256ELj3EliiEEv20rocsparse_direction_T3_S2_21rocsparse_index_base_PKT1_PKT2_PKS2_S2_S3_PS4_PS7_PS2_ ; -- Begin function _ZN9rocsparseL32bsr2csr_block_per_row_2_7_kernelILj256ELj3EliiEEv20rocsparse_direction_T3_S2_21rocsparse_index_base_PKT1_PKT2_PKS2_S2_S3_PS4_PS7_PS2_
	.p2align	8
	.type	_ZN9rocsparseL32bsr2csr_block_per_row_2_7_kernelILj256ELj3EliiEEv20rocsparse_direction_T3_S2_21rocsparse_index_base_PKT1_PKT2_PKS2_S2_S3_PS4_PS7_PS2_,@function
_ZN9rocsparseL32bsr2csr_block_per_row_2_7_kernelILj256ELj3EliiEEv20rocsparse_direction_T3_S2_21rocsparse_index_base_PKT1_PKT2_PKS2_S2_S3_PS4_PS7_PS2_: ; @_ZN9rocsparseL32bsr2csr_block_per_row_2_7_kernelILj256ELj3EliiEEv20rocsparse_direction_T3_S2_21rocsparse_index_base_PKT1_PKT2_PKS2_S2_S3_PS4_PS7_PS2_
; %bb.0:
	s_clause 0x1
	s_load_b32 s12, s[0:1], 0x2c
	s_load_b64 s[2:3], s[0:1], 0x38
	s_bfe_u32 s4, ttmp6, 0x4000c
	s_and_b32 s5, ttmp6, 15
	s_add_co_i32 s4, s4, 1
	s_getreg_b32 s6, hwreg(HW_REG_IB_STS2, 6, 4)
	s_mul_i32 s4, ttmp9, s4
	s_delay_alu instid0(SALU_CYCLE_1) | instskip(SKIP_4) | instid1(VALU_DEP_1)
	s_add_co_i32 s5, s5, s4
	s_cmp_eq_u32 s6, 0
	s_cselect_b32 s4, ttmp9, s5
	s_mov_b32 s5, exec_lo
	v_or_b32_e32 v1, s4, v0
	v_cmpx_eq_u32_e32 0, v1
	s_cbranch_execz .LBB54_2
; %bb.1:
	s_wait_kmcnt 0x0
	v_dual_mov_b32 v1, 0 :: v_dual_mov_b32 v2, s12
	global_store_b32 v1, v2, s[2:3]
.LBB54_2:
	s_wait_xcnt 0x0
	s_or_b32 exec_lo, exec_lo, s5
	v_and_b32_e32 v1, 3, v0
	s_mov_b32 s5, exec_lo
	s_delay_alu instid0(VALU_DEP_1)
	v_cmpx_ne_u32_e32 3, v1
	s_cbranch_execz .LBB54_6
; %bb.3:
	s_clause 0x1
	s_load_b64 s[6:7], s[0:1], 0x18
	s_load_b32 s13, s[0:1], 0xc
	s_ashr_i32 s5, s4, 31
	v_lshrrev_b32_e32 v0, 2, v0
	s_lshl_b64 s[8:9], s[4:5], 2
	s_mul_i32 s4, s4, 3
	s_delay_alu instid0(SALU_CYCLE_1)
	v_add3_u32 v5, v1, s4, 1
	s_wait_kmcnt 0x0
	s_add_nc_u64 s[6:7], s[6:7], s[8:9]
	s_load_b64 s[10:11], s[6:7], 0x0
	s_wait_kmcnt 0x0
	s_sub_co_i32 s5, s10, s13
	s_sub_co_i32 s11, s11, s13
	v_add_nc_u32_e32 v2, s5, v0
	s_sub_co_i32 s6, s11, s5
	s_mul_i32 s7, s5, 9
	s_mul_i32 s6, s6, 3
	s_delay_alu instid0(SALU_CYCLE_1) | instskip(SKIP_2) | instid1(VALU_DEP_2)
	v_mul_lo_u32 v3, s6, v1
	s_add_co_i32 s6, s6, s12
	v_cmp_gt_i32_e32 vcc_lo, s11, v2
	v_add3_u32 v4, s6, s7, v3
	global_store_b32 v5, v4, s[2:3] scale_offset
	s_wait_xcnt 0x0
	s_and_b32 exec_lo, exec_lo, vcc_lo
	s_cbranch_execz .LBB54_6
; %bb.4:
	s_clause 0x2
	s_load_b64 s[2:3], s[0:1], 0x20
	s_load_b64 s[4:5], s[0:1], 0x30
	s_load_b32 s14, s[0:1], 0x0
	v_add_nc_u32_e32 v4, s10, v0
	v_mul_u32_u24_e32 v5, 3, v1
	s_clause 0x1
	s_load_b64 s[6:7], s[0:1], 0x10
	s_load_b64 s[8:9], s[0:1], 0x40
	v_mul_u32_u24_e32 v0, 3, v0
	s_wait_xcnt 0x0
	s_mul_i32 s0, s10, 9
	s_mov_b32 s1, 0
	v_mad_u32 v4, v4, 9, v5
	s_mov_b32 s10, 0
	v_add3_u32 v0, v3, s0, v0
	v_mad_u32 v3, v2, 9, v1
	s_mul_i32 s0, s13, 9
	s_delay_alu instid0(VALU_DEP_2) | instid1(SALU_CYCLE_1)
	v_subrev_nc_u32_e32 v0, s0, v0
	s_delay_alu instid0(VALU_DEP_4)
	v_subrev_nc_u32_e32 v4, s0, v4
	s_wait_kmcnt 0x0
	s_cmp_eq_u32 s14, 0
	s_cselect_b32 vcc_lo, -1, 0
.LBB54_5:                               ; =>This Inner Loop Header: Depth=1
	global_load_b32 v1, v2, s[2:3] scale_offset
	v_dual_add_nc_u32 v5, s10, v4 :: v_dual_add_nc_u32 v6, s10, v3
	s_addk_co_i32 s10, 0x240
	s_wait_xcnt 0x0
	s_delay_alu instid0(VALU_DEP_1) | instskip(NEXT) | instid1(VALU_DEP_2)
	v_dual_add_nc_u32 v2, 64, v2 :: v_dual_add_nc_u32 v7, 2, v5
	v_dual_add_nc_u32 v8, 6, v6 :: v_dual_add_nc_u32 v9, 1, v5
	v_dual_cndmask_b32 v5, v6, v5 :: v_dual_add_nc_u32 v10, 3, v6
	s_delay_alu instid0(VALU_DEP_3) | instskip(NEXT) | instid1(VALU_DEP_2)
	v_cmp_le_i32_e64 s0, s11, v2
	v_dual_cndmask_b32 v11, v8, v7 :: v_dual_cndmask_b32 v10, v10, v9
	s_clause 0x2
	global_load_b64 v[6:7], v5, s[6:7] scale_offset
	global_load_b64 v[12:13], v11, s[6:7] scale_offset
	;; [unrolled: 1-line block ×3, first 2 shown]
	s_or_b32 s1, s0, s1
	s_wait_loadcnt 0x3
	v_subrev_nc_u32_e32 v1, s13, v1
	s_wait_xcnt 0x0
	s_delay_alu instid0(VALU_DEP_1) | instskip(NEXT) | instid1(VALU_DEP_1)
	v_mad_u32 v10, v1, 3, s12
	v_dual_ashrrev_i32 v1, 31, v0 :: v_dual_add_nc_u32 v11, 1, v10
	s_delay_alu instid0(VALU_DEP_1)
	v_lshl_add_u64 v[14:15], v[0:1], 2, s[8:9]
	v_lshl_add_u64 v[16:17], v[0:1], 3, s[4:5]
	s_wait_loadcnt 0x1
	global_store_b64 v0, v[12:13], s[4:5] offset:16 scale_offset
	s_wait_xcnt 0x0
	v_add_nc_u32_e32 v0, 0xc0, v0
	v_add_nc_u32_e32 v12, 2, v10
	s_wait_loadcnt 0x0
	global_store_b128 v[16:17], v[6:9], off
	global_store_b96 v[14:15], v[10:12], off
	s_wait_xcnt 0x0
	s_and_not1_b32 exec_lo, exec_lo, s1
	s_cbranch_execnz .LBB54_5
.LBB54_6:
	s_endpgm
	.section	.rodata,"a",@progbits
	.p2align	6, 0x0
	.amdhsa_kernel _ZN9rocsparseL32bsr2csr_block_per_row_2_7_kernelILj256ELj3EliiEEv20rocsparse_direction_T3_S2_21rocsparse_index_base_PKT1_PKT2_PKS2_S2_S3_PS4_PS7_PS2_
		.amdhsa_group_segment_fixed_size 0
		.amdhsa_private_segment_fixed_size 0
		.amdhsa_kernarg_size 72
		.amdhsa_user_sgpr_count 2
		.amdhsa_user_sgpr_dispatch_ptr 0
		.amdhsa_user_sgpr_queue_ptr 0
		.amdhsa_user_sgpr_kernarg_segment_ptr 1
		.amdhsa_user_sgpr_dispatch_id 0
		.amdhsa_user_sgpr_kernarg_preload_length 0
		.amdhsa_user_sgpr_kernarg_preload_offset 0
		.amdhsa_user_sgpr_private_segment_size 0
		.amdhsa_wavefront_size32 1
		.amdhsa_uses_dynamic_stack 0
		.amdhsa_enable_private_segment 0
		.amdhsa_system_sgpr_workgroup_id_x 1
		.amdhsa_system_sgpr_workgroup_id_y 0
		.amdhsa_system_sgpr_workgroup_id_z 0
		.amdhsa_system_sgpr_workgroup_info 0
		.amdhsa_system_vgpr_workitem_id 0
		.amdhsa_next_free_vgpr 18
		.amdhsa_next_free_sgpr 15
		.amdhsa_named_barrier_count 0
		.amdhsa_reserve_vcc 1
		.amdhsa_float_round_mode_32 0
		.amdhsa_float_round_mode_16_64 0
		.amdhsa_float_denorm_mode_32 3
		.amdhsa_float_denorm_mode_16_64 3
		.amdhsa_fp16_overflow 0
		.amdhsa_memory_ordered 1
		.amdhsa_forward_progress 1
		.amdhsa_inst_pref_size 6
		.amdhsa_round_robin_scheduling 0
		.amdhsa_exception_fp_ieee_invalid_op 0
		.amdhsa_exception_fp_denorm_src 0
		.amdhsa_exception_fp_ieee_div_zero 0
		.amdhsa_exception_fp_ieee_overflow 0
		.amdhsa_exception_fp_ieee_underflow 0
		.amdhsa_exception_fp_ieee_inexact 0
		.amdhsa_exception_int_div_zero 0
	.end_amdhsa_kernel
	.section	.text._ZN9rocsparseL32bsr2csr_block_per_row_2_7_kernelILj256ELj3EliiEEv20rocsparse_direction_T3_S2_21rocsparse_index_base_PKT1_PKT2_PKS2_S2_S3_PS4_PS7_PS2_,"axG",@progbits,_ZN9rocsparseL32bsr2csr_block_per_row_2_7_kernelILj256ELj3EliiEEv20rocsparse_direction_T3_S2_21rocsparse_index_base_PKT1_PKT2_PKS2_S2_S3_PS4_PS7_PS2_,comdat
.Lfunc_end54:
	.size	_ZN9rocsparseL32bsr2csr_block_per_row_2_7_kernelILj256ELj3EliiEEv20rocsparse_direction_T3_S2_21rocsparse_index_base_PKT1_PKT2_PKS2_S2_S3_PS4_PS7_PS2_, .Lfunc_end54-_ZN9rocsparseL32bsr2csr_block_per_row_2_7_kernelILj256ELj3EliiEEv20rocsparse_direction_T3_S2_21rocsparse_index_base_PKT1_PKT2_PKS2_S2_S3_PS4_PS7_PS2_
                                        ; -- End function
	.set _ZN9rocsparseL32bsr2csr_block_per_row_2_7_kernelILj256ELj3EliiEEv20rocsparse_direction_T3_S2_21rocsparse_index_base_PKT1_PKT2_PKS2_S2_S3_PS4_PS7_PS2_.num_vgpr, 18
	.set _ZN9rocsparseL32bsr2csr_block_per_row_2_7_kernelILj256ELj3EliiEEv20rocsparse_direction_T3_S2_21rocsparse_index_base_PKT1_PKT2_PKS2_S2_S3_PS4_PS7_PS2_.num_agpr, 0
	.set _ZN9rocsparseL32bsr2csr_block_per_row_2_7_kernelILj256ELj3EliiEEv20rocsparse_direction_T3_S2_21rocsparse_index_base_PKT1_PKT2_PKS2_S2_S3_PS4_PS7_PS2_.numbered_sgpr, 15
	.set _ZN9rocsparseL32bsr2csr_block_per_row_2_7_kernelILj256ELj3EliiEEv20rocsparse_direction_T3_S2_21rocsparse_index_base_PKT1_PKT2_PKS2_S2_S3_PS4_PS7_PS2_.num_named_barrier, 0
	.set _ZN9rocsparseL32bsr2csr_block_per_row_2_7_kernelILj256ELj3EliiEEv20rocsparse_direction_T3_S2_21rocsparse_index_base_PKT1_PKT2_PKS2_S2_S3_PS4_PS7_PS2_.private_seg_size, 0
	.set _ZN9rocsparseL32bsr2csr_block_per_row_2_7_kernelILj256ELj3EliiEEv20rocsparse_direction_T3_S2_21rocsparse_index_base_PKT1_PKT2_PKS2_S2_S3_PS4_PS7_PS2_.uses_vcc, 1
	.set _ZN9rocsparseL32bsr2csr_block_per_row_2_7_kernelILj256ELj3EliiEEv20rocsparse_direction_T3_S2_21rocsparse_index_base_PKT1_PKT2_PKS2_S2_S3_PS4_PS7_PS2_.uses_flat_scratch, 0
	.set _ZN9rocsparseL32bsr2csr_block_per_row_2_7_kernelILj256ELj3EliiEEv20rocsparse_direction_T3_S2_21rocsparse_index_base_PKT1_PKT2_PKS2_S2_S3_PS4_PS7_PS2_.has_dyn_sized_stack, 0
	.set _ZN9rocsparseL32bsr2csr_block_per_row_2_7_kernelILj256ELj3EliiEEv20rocsparse_direction_T3_S2_21rocsparse_index_base_PKT1_PKT2_PKS2_S2_S3_PS4_PS7_PS2_.has_recursion, 0
	.set _ZN9rocsparseL32bsr2csr_block_per_row_2_7_kernelILj256ELj3EliiEEv20rocsparse_direction_T3_S2_21rocsparse_index_base_PKT1_PKT2_PKS2_S2_S3_PS4_PS7_PS2_.has_indirect_call, 0
	.section	.AMDGPU.csdata,"",@progbits
; Kernel info:
; codeLenInByte = 668
; TotalNumSgprs: 17
; NumVgprs: 18
; ScratchSize: 0
; MemoryBound: 0
; FloatMode: 240
; IeeeMode: 1
; LDSByteSize: 0 bytes/workgroup (compile time only)
; SGPRBlocks: 0
; VGPRBlocks: 1
; NumSGPRsForWavesPerEU: 17
; NumVGPRsForWavesPerEU: 18
; NamedBarCnt: 0
; Occupancy: 16
; WaveLimiterHint : 1
; COMPUTE_PGM_RSRC2:SCRATCH_EN: 0
; COMPUTE_PGM_RSRC2:USER_SGPR: 2
; COMPUTE_PGM_RSRC2:TRAP_HANDLER: 0
; COMPUTE_PGM_RSRC2:TGID_X_EN: 1
; COMPUTE_PGM_RSRC2:TGID_Y_EN: 0
; COMPUTE_PGM_RSRC2:TGID_Z_EN: 0
; COMPUTE_PGM_RSRC2:TIDIG_COMP_CNT: 0
	.section	.text._ZN9rocsparseL32bsr2csr_block_per_row_2_7_kernelILj256ELj4EliiEEv20rocsparse_direction_T3_S2_21rocsparse_index_base_PKT1_PKT2_PKS2_S2_S3_PS4_PS7_PS2_,"axG",@progbits,_ZN9rocsparseL32bsr2csr_block_per_row_2_7_kernelILj256ELj4EliiEEv20rocsparse_direction_T3_S2_21rocsparse_index_base_PKT1_PKT2_PKS2_S2_S3_PS4_PS7_PS2_,comdat
	.globl	_ZN9rocsparseL32bsr2csr_block_per_row_2_7_kernelILj256ELj4EliiEEv20rocsparse_direction_T3_S2_21rocsparse_index_base_PKT1_PKT2_PKS2_S2_S3_PS4_PS7_PS2_ ; -- Begin function _ZN9rocsparseL32bsr2csr_block_per_row_2_7_kernelILj256ELj4EliiEEv20rocsparse_direction_T3_S2_21rocsparse_index_base_PKT1_PKT2_PKS2_S2_S3_PS4_PS7_PS2_
	.p2align	8
	.type	_ZN9rocsparseL32bsr2csr_block_per_row_2_7_kernelILj256ELj4EliiEEv20rocsparse_direction_T3_S2_21rocsparse_index_base_PKT1_PKT2_PKS2_S2_S3_PS4_PS7_PS2_,@function
_ZN9rocsparseL32bsr2csr_block_per_row_2_7_kernelILj256ELj4EliiEEv20rocsparse_direction_T3_S2_21rocsparse_index_base_PKT1_PKT2_PKS2_S2_S3_PS4_PS7_PS2_: ; @_ZN9rocsparseL32bsr2csr_block_per_row_2_7_kernelILj256ELj4EliiEEv20rocsparse_direction_T3_S2_21rocsparse_index_base_PKT1_PKT2_PKS2_S2_S3_PS4_PS7_PS2_
; %bb.0:
	s_load_b64 s[6:7], s[0:1], 0x18
	s_bfe_u32 s2, ttmp6, 0x4000c
	s_and_b32 s3, ttmp6, 15
	s_add_co_i32 s2, s2, 1
	s_getreg_b32 s4, hwreg(HW_REG_IB_STS2, 6, 4)
	s_mul_i32 s2, ttmp9, s2
	s_delay_alu instid0(SALU_CYCLE_1)
	s_add_co_i32 s3, s3, s2
	s_cmp_eq_u32 s4, 0
	s_cselect_b32 s4, ttmp9, s3
	s_clause 0x1
	s_load_b32 s12, s[0:1], 0x2c
	s_load_b64 s[2:3], s[0:1], 0x38
	s_ashr_i32 s5, s4, 31
	v_or_b32_e32 v1, s4, v0
	s_lshl_b64 s[8:9], s[4:5], 2
	s_mov_b32 s5, exec_lo
	s_wait_kmcnt 0x0
	s_add_nc_u64 s[6:7], s[6:7], s[8:9]
	s_load_b64 s[10:11], s[6:7], 0x0
	v_cmpx_eq_u32_e32 0, v1
	s_cbranch_execz .LBB55_2
; %bb.1:
	v_dual_mov_b32 v1, 0 :: v_dual_mov_b32 v2, s12
	global_store_b32 v1, v2, s[2:3]
.LBB55_2:
	s_wait_xcnt 0x0
	s_or_b32 exec_lo, exec_lo, s5
	s_load_b32 s13, s[0:1], 0xc
	v_dual_lshrrev_b32 v0, 2, v0 :: v_dual_bitop2_b32 v2, 3, v0 bitop3:0x40
	s_delay_alu instid0(VALU_DEP_1) | instskip(NEXT) | instid1(VALU_DEP_1)
	v_lshl_or_b32 v4, s4, 2, v2
	v_add_nc_u32_e32 v4, 1, v4
	s_wait_kmcnt 0x0
	s_sub_co_i32 s5, s10, s13
	s_sub_co_i32 s11, s11, s13
	s_lshl_b32 s4, s5, 4
	s_sub_co_i32 s6, s11, s5
	v_add_nc_u32_e32 v3, s5, v0
	s_lshl_b32 s6, s6, 2
	s_delay_alu instid0(SALU_CYCLE_1)
	v_mul_lo_u32 v1, s6, v2
	s_add_co_i32 s6, s6, s12
	s_delay_alu instid0(VALU_DEP_1) | instid1(SALU_CYCLE_1)
	v_add3_u32 v5, s6, s4, v1
	global_store_b32 v4, v5, s[2:3] scale_offset
	s_wait_xcnt 0x0
	s_mov_b32 s2, exec_lo
	v_cmpx_gt_i32_e64 s11, v3
	s_cbranch_execz .LBB55_5
; %bb.3:
	s_clause 0x4
	s_load_b64 s[2:3], s[0:1], 0x20
	s_load_b64 s[4:5], s[0:1], 0x30
	s_load_b32 s14, s[0:1], 0x0
	s_load_b64 s[6:7], s[0:1], 0x10
	s_load_b64 s[8:9], s[0:1], 0x40
	v_dual_lshlrev_b32 v0, 2, v0 :: v_dual_lshlrev_b32 v4, 2, v2
	v_lshlrev_b32_e32 v5, 4, v3
	s_wait_xcnt 0x0
	s_mov_b32 s1, 0
	s_wait_kmcnt 0x0
	s_cmp_eq_u32 s14, 0
	s_cselect_b32 vcc_lo, -1, 0
	s_lshl_b32 s0, s10, 4
	s_delay_alu instid0(SALU_CYCLE_1)
	v_add3_u32 v0, v1, s0, v0
	s_lshl_b32 s0, s13, 4
	s_delay_alu instid0(VALU_DEP_1) | instid1(SALU_CYCLE_1)
	v_subrev_nc_u32_e32 v0, s0, v0
.LBB55_4:                               ; =>This Inner Loop Header: Depth=1
	global_load_b32 v14, v3, s[2:3] scale_offset
	v_dual_add_nc_u32 v1, v4, v5 :: v_dual_add_nc_u32 v6, v2, v5
	v_add_nc_u32_e32 v5, 0x400, v5
	s_wait_xcnt 0x0
	s_delay_alu instid0(VALU_DEP_2) | instskip(NEXT) | instid1(VALU_DEP_3)
	v_dual_add_nc_u32 v3, 64, v3 :: v_dual_add_nc_u32 v7, 1, v1
	v_dual_add_nc_u32 v8, 4, v6 :: v_dual_add_nc_u32 v9, 2, v1
	;; [unrolled: 1-line block ×3, first 2 shown]
	v_dual_cndmask_b32 v1, v6, v1 :: v_dual_add_nc_u32 v12, 12, v6
	s_delay_alu instid0(VALU_DEP_2) | instskip(SKIP_1) | instid1(VALU_DEP_3)
	v_dual_cndmask_b32 v15, v8, v7 :: v_dual_cndmask_b32 v16, v10, v9
	v_cmp_le_i32_e64 s0, s11, v3
	v_cndmask_b32_e32 v17, v12, v11, vcc_lo
	s_clause 0x3
	global_load_b64 v[6:7], v1, s[6:7] scale_offset
	global_load_b64 v[8:9], v15, s[6:7] scale_offset
	;; [unrolled: 1-line block ×4, first 2 shown]
	s_wait_xcnt 0x3
	v_ashrrev_i32_e32 v1, 31, v0
	s_or_b32 s1, s0, s1
	s_delay_alu instid0(VALU_DEP_1) | instskip(SKIP_4) | instid1(VALU_DEP_1)
	v_lshl_add_u64 v[18:19], v[0:1], 2, s[8:9]
	v_lshl_add_u64 v[20:21], v[0:1], 3, s[4:5]
	v_add_nc_u32_e32 v0, 0x100, v0
	s_wait_loadcnt 0x4
	v_subrev_nc_u32_e32 v1, s13, v14
	v_lshl_add_u32 v14, v1, 2, s12
	s_wait_xcnt 0x1
	s_delay_alu instid0(VALU_DEP_1)
	v_dual_add_nc_u32 v15, 1, v14 :: v_dual_add_nc_u32 v16, 2, v14
	s_wait_xcnt 0x0
	v_add_nc_u32_e32 v17, 3, v14
	global_store_b128 v[18:19], v[14:17], off
	s_wait_loadcnt 0x2
	global_store_b128 v[20:21], v[6:9], off
	s_wait_loadcnt 0x0
	global_store_b128 v[20:21], v[10:13], off offset:16
	s_wait_xcnt 0x0
	s_and_not1_b32 exec_lo, exec_lo, s1
	s_cbranch_execnz .LBB55_4
.LBB55_5:
	s_endpgm
	.section	.rodata,"a",@progbits
	.p2align	6, 0x0
	.amdhsa_kernel _ZN9rocsparseL32bsr2csr_block_per_row_2_7_kernelILj256ELj4EliiEEv20rocsparse_direction_T3_S2_21rocsparse_index_base_PKT1_PKT2_PKS2_S2_S3_PS4_PS7_PS2_
		.amdhsa_group_segment_fixed_size 0
		.amdhsa_private_segment_fixed_size 0
		.amdhsa_kernarg_size 72
		.amdhsa_user_sgpr_count 2
		.amdhsa_user_sgpr_dispatch_ptr 0
		.amdhsa_user_sgpr_queue_ptr 0
		.amdhsa_user_sgpr_kernarg_segment_ptr 1
		.amdhsa_user_sgpr_dispatch_id 0
		.amdhsa_user_sgpr_kernarg_preload_length 0
		.amdhsa_user_sgpr_kernarg_preload_offset 0
		.amdhsa_user_sgpr_private_segment_size 0
		.amdhsa_wavefront_size32 1
		.amdhsa_uses_dynamic_stack 0
		.amdhsa_enable_private_segment 0
		.amdhsa_system_sgpr_workgroup_id_x 1
		.amdhsa_system_sgpr_workgroup_id_y 0
		.amdhsa_system_sgpr_workgroup_id_z 0
		.amdhsa_system_sgpr_workgroup_info 0
		.amdhsa_system_vgpr_workitem_id 0
		.amdhsa_next_free_vgpr 22
		.amdhsa_next_free_sgpr 15
		.amdhsa_named_barrier_count 0
		.amdhsa_reserve_vcc 1
		.amdhsa_float_round_mode_32 0
		.amdhsa_float_round_mode_16_64 0
		.amdhsa_float_denorm_mode_32 3
		.amdhsa_float_denorm_mode_16_64 3
		.amdhsa_fp16_overflow 0
		.amdhsa_memory_ordered 1
		.amdhsa_forward_progress 1
		.amdhsa_inst_pref_size 6
		.amdhsa_round_robin_scheduling 0
		.amdhsa_exception_fp_ieee_invalid_op 0
		.amdhsa_exception_fp_denorm_src 0
		.amdhsa_exception_fp_ieee_div_zero 0
		.amdhsa_exception_fp_ieee_overflow 0
		.amdhsa_exception_fp_ieee_underflow 0
		.amdhsa_exception_fp_ieee_inexact 0
		.amdhsa_exception_int_div_zero 0
	.end_amdhsa_kernel
	.section	.text._ZN9rocsparseL32bsr2csr_block_per_row_2_7_kernelILj256ELj4EliiEEv20rocsparse_direction_T3_S2_21rocsparse_index_base_PKT1_PKT2_PKS2_S2_S3_PS4_PS7_PS2_,"axG",@progbits,_ZN9rocsparseL32bsr2csr_block_per_row_2_7_kernelILj256ELj4EliiEEv20rocsparse_direction_T3_S2_21rocsparse_index_base_PKT1_PKT2_PKS2_S2_S3_PS4_PS7_PS2_,comdat
.Lfunc_end55:
	.size	_ZN9rocsparseL32bsr2csr_block_per_row_2_7_kernelILj256ELj4EliiEEv20rocsparse_direction_T3_S2_21rocsparse_index_base_PKT1_PKT2_PKS2_S2_S3_PS4_PS7_PS2_, .Lfunc_end55-_ZN9rocsparseL32bsr2csr_block_per_row_2_7_kernelILj256ELj4EliiEEv20rocsparse_direction_T3_S2_21rocsparse_index_base_PKT1_PKT2_PKS2_S2_S3_PS4_PS7_PS2_
                                        ; -- End function
	.set _ZN9rocsparseL32bsr2csr_block_per_row_2_7_kernelILj256ELj4EliiEEv20rocsparse_direction_T3_S2_21rocsparse_index_base_PKT1_PKT2_PKS2_S2_S3_PS4_PS7_PS2_.num_vgpr, 22
	.set _ZN9rocsparseL32bsr2csr_block_per_row_2_7_kernelILj256ELj4EliiEEv20rocsparse_direction_T3_S2_21rocsparse_index_base_PKT1_PKT2_PKS2_S2_S3_PS4_PS7_PS2_.num_agpr, 0
	.set _ZN9rocsparseL32bsr2csr_block_per_row_2_7_kernelILj256ELj4EliiEEv20rocsparse_direction_T3_S2_21rocsparse_index_base_PKT1_PKT2_PKS2_S2_S3_PS4_PS7_PS2_.numbered_sgpr, 15
	.set _ZN9rocsparseL32bsr2csr_block_per_row_2_7_kernelILj256ELj4EliiEEv20rocsparse_direction_T3_S2_21rocsparse_index_base_PKT1_PKT2_PKS2_S2_S3_PS4_PS7_PS2_.num_named_barrier, 0
	.set _ZN9rocsparseL32bsr2csr_block_per_row_2_7_kernelILj256ELj4EliiEEv20rocsparse_direction_T3_S2_21rocsparse_index_base_PKT1_PKT2_PKS2_S2_S3_PS4_PS7_PS2_.private_seg_size, 0
	.set _ZN9rocsparseL32bsr2csr_block_per_row_2_7_kernelILj256ELj4EliiEEv20rocsparse_direction_T3_S2_21rocsparse_index_base_PKT1_PKT2_PKS2_S2_S3_PS4_PS7_PS2_.uses_vcc, 1
	.set _ZN9rocsparseL32bsr2csr_block_per_row_2_7_kernelILj256ELj4EliiEEv20rocsparse_direction_T3_S2_21rocsparse_index_base_PKT1_PKT2_PKS2_S2_S3_PS4_PS7_PS2_.uses_flat_scratch, 0
	.set _ZN9rocsparseL32bsr2csr_block_per_row_2_7_kernelILj256ELj4EliiEEv20rocsparse_direction_T3_S2_21rocsparse_index_base_PKT1_PKT2_PKS2_S2_S3_PS4_PS7_PS2_.has_dyn_sized_stack, 0
	.set _ZN9rocsparseL32bsr2csr_block_per_row_2_7_kernelILj256ELj4EliiEEv20rocsparse_direction_T3_S2_21rocsparse_index_base_PKT1_PKT2_PKS2_S2_S3_PS4_PS7_PS2_.has_recursion, 0
	.set _ZN9rocsparseL32bsr2csr_block_per_row_2_7_kernelILj256ELj4EliiEEv20rocsparse_direction_T3_S2_21rocsparse_index_base_PKT1_PKT2_PKS2_S2_S3_PS4_PS7_PS2_.has_indirect_call, 0
	.section	.AMDGPU.csdata,"",@progbits
; Kernel info:
; codeLenInByte = 672
; TotalNumSgprs: 17
; NumVgprs: 22
; ScratchSize: 0
; MemoryBound: 0
; FloatMode: 240
; IeeeMode: 1
; LDSByteSize: 0 bytes/workgroup (compile time only)
; SGPRBlocks: 0
; VGPRBlocks: 1
; NumSGPRsForWavesPerEU: 17
; NumVGPRsForWavesPerEU: 22
; NamedBarCnt: 0
; Occupancy: 16
; WaveLimiterHint : 0
; COMPUTE_PGM_RSRC2:SCRATCH_EN: 0
; COMPUTE_PGM_RSRC2:USER_SGPR: 2
; COMPUTE_PGM_RSRC2:TRAP_HANDLER: 0
; COMPUTE_PGM_RSRC2:TGID_X_EN: 1
; COMPUTE_PGM_RSRC2:TGID_Y_EN: 0
; COMPUTE_PGM_RSRC2:TGID_Z_EN: 0
; COMPUTE_PGM_RSRC2:TIDIG_COMP_CNT: 0
	.section	.text._ZN9rocsparseL32bsr2csr_block_per_row_2_7_kernelILj256ELj5EliiEEv20rocsparse_direction_T3_S2_21rocsparse_index_base_PKT1_PKT2_PKS2_S2_S3_PS4_PS7_PS2_,"axG",@progbits,_ZN9rocsparseL32bsr2csr_block_per_row_2_7_kernelILj256ELj5EliiEEv20rocsparse_direction_T3_S2_21rocsparse_index_base_PKT1_PKT2_PKS2_S2_S3_PS4_PS7_PS2_,comdat
	.globl	_ZN9rocsparseL32bsr2csr_block_per_row_2_7_kernelILj256ELj5EliiEEv20rocsparse_direction_T3_S2_21rocsparse_index_base_PKT1_PKT2_PKS2_S2_S3_PS4_PS7_PS2_ ; -- Begin function _ZN9rocsparseL32bsr2csr_block_per_row_2_7_kernelILj256ELj5EliiEEv20rocsparse_direction_T3_S2_21rocsparse_index_base_PKT1_PKT2_PKS2_S2_S3_PS4_PS7_PS2_
	.p2align	8
	.type	_ZN9rocsparseL32bsr2csr_block_per_row_2_7_kernelILj256ELj5EliiEEv20rocsparse_direction_T3_S2_21rocsparse_index_base_PKT1_PKT2_PKS2_S2_S3_PS4_PS7_PS2_,@function
_ZN9rocsparseL32bsr2csr_block_per_row_2_7_kernelILj256ELj5EliiEEv20rocsparse_direction_T3_S2_21rocsparse_index_base_PKT1_PKT2_PKS2_S2_S3_PS4_PS7_PS2_: ; @_ZN9rocsparseL32bsr2csr_block_per_row_2_7_kernelILj256ELj5EliiEEv20rocsparse_direction_T3_S2_21rocsparse_index_base_PKT1_PKT2_PKS2_S2_S3_PS4_PS7_PS2_
; %bb.0:
	s_clause 0x1
	s_load_b32 s12, s[0:1], 0x2c
	s_load_b64 s[2:3], s[0:1], 0x38
	s_bfe_u32 s4, ttmp6, 0x4000c
	s_and_b32 s5, ttmp6, 15
	s_add_co_i32 s4, s4, 1
	s_getreg_b32 s6, hwreg(HW_REG_IB_STS2, 6, 4)
	s_mul_i32 s4, ttmp9, s4
	s_delay_alu instid0(SALU_CYCLE_1) | instskip(SKIP_4) | instid1(VALU_DEP_1)
	s_add_co_i32 s5, s5, s4
	s_cmp_eq_u32 s6, 0
	s_cselect_b32 s4, ttmp9, s5
	s_mov_b32 s5, exec_lo
	v_or_b32_e32 v1, s4, v0
	v_cmpx_eq_u32_e32 0, v1
	s_cbranch_execz .LBB56_2
; %bb.1:
	s_wait_kmcnt 0x0
	v_dual_mov_b32 v1, 0 :: v_dual_mov_b32 v2, s12
	global_store_b32 v1, v2, s[2:3]
.LBB56_2:
	s_wait_xcnt 0x0
	s_or_b32 exec_lo, exec_lo, s5
	v_and_b32_e32 v1, 7, v0
	s_mov_b32 s5, exec_lo
	s_delay_alu instid0(VALU_DEP_1)
	v_cmpx_gt_u32_e32 5, v1
	s_cbranch_execz .LBB56_6
; %bb.3:
	s_clause 0x1
	s_load_b64 s[6:7], s[0:1], 0x18
	s_load_b32 s13, s[0:1], 0xc
	s_ashr_i32 s5, s4, 31
	v_lshrrev_b32_e32 v0, 3, v0
	s_lshl_b64 s[8:9], s[4:5], 2
	s_mul_i32 s4, s4, 5
	s_delay_alu instid0(SALU_CYCLE_1)
	v_add3_u32 v5, v1, s4, 1
	s_wait_kmcnt 0x0
	s_add_nc_u64 s[6:7], s[6:7], s[8:9]
	s_load_b64 s[10:11], s[6:7], 0x0
	s_wait_kmcnt 0x0
	s_sub_co_i32 s5, s10, s13
	s_sub_co_i32 s11, s11, s13
	v_add_nc_u32_e32 v2, s5, v0
	s_sub_co_i32 s6, s11, s5
	s_mul_i32 s7, s5, 25
	s_mul_i32 s6, s6, 5
	s_delay_alu instid0(SALU_CYCLE_1) | instskip(SKIP_2) | instid1(VALU_DEP_2)
	v_mul_lo_u32 v3, s6, v1
	s_add_co_i32 s6, s6, s12
	v_cmp_gt_i32_e32 vcc_lo, s11, v2
	v_add3_u32 v4, s6, s7, v3
	global_store_b32 v5, v4, s[2:3] scale_offset
	s_wait_xcnt 0x0
	s_and_b32 exec_lo, exec_lo, vcc_lo
	s_cbranch_execz .LBB56_6
; %bb.4:
	s_clause 0x2
	s_load_b64 s[2:3], s[0:1], 0x20
	s_load_b64 s[4:5], s[0:1], 0x30
	s_load_b32 s14, s[0:1], 0x0
	v_add_nc_u32_e32 v4, s10, v0
	v_mul_u32_u24_e32 v5, 5, v1
	s_clause 0x1
	s_load_b64 s[6:7], s[0:1], 0x10
	s_load_b64 s[8:9], s[0:1], 0x40
	v_mul_u32_u24_e32 v0, 5, v0
	s_wait_xcnt 0x0
	s_mul_i32 s0, s10, 25
	s_mov_b32 s1, 0
	v_mad_u32 v4, v4, 25, v5
	s_mov_b32 s10, 0
	v_add3_u32 v0, v3, s0, v0
	v_mad_u32 v3, v2, 25, v1
	s_mul_i32 s0, s13, 25
	s_delay_alu instid0(VALU_DEP_2) | instid1(SALU_CYCLE_1)
	v_subrev_nc_u32_e32 v0, s0, v0
	s_delay_alu instid0(VALU_DEP_4)
	v_subrev_nc_u32_e32 v4, s0, v4
	s_wait_kmcnt 0x0
	s_cmp_eq_u32 s14, 0
	s_cselect_b32 vcc_lo, -1, 0
.LBB56_5:                               ; =>This Inner Loop Header: Depth=1
	global_load_b32 v1, v2, s[2:3] scale_offset
	v_dual_add_nc_u32 v5, s10, v3 :: v_dual_add_nc_u32 v6, s10, v4
	s_addk_co_i32 s10, 0x320
	s_wait_xcnt 0x0
	s_delay_alu instid0(VALU_DEP_1) | instskip(NEXT) | instid1(VALU_DEP_2)
	v_dual_add_nc_u32 v2, 32, v2 :: v_dual_add_nc_u32 v9, 5, v5
	v_dual_cndmask_b32 v7, v5, v6 :: v_dual_add_nc_u32 v10, 4, v6
	v_dual_add_nc_u32 v8, 1, v6 :: v_dual_add_nc_u32 v11, 20, v5
	v_dual_add_nc_u32 v12, 2, v6 :: v_dual_add_nc_u32 v13, 10, v5
	;; [unrolled: 1-line block ×3, first 2 shown]
	s_delay_alu instid0(VALU_DEP_3)
	v_dual_cndmask_b32 v15, v11, v10 :: v_dual_cndmask_b32 v16, v9, v8
	global_load_b64 v[6:7], v7, s[6:7] scale_offset
	v_cmp_le_i32_e64 s0, s11, v2
	v_cndmask_b32_e32 v5, v5, v14, vcc_lo
	s_or_b32 s1, s0, s1
	s_wait_loadcnt 0x1
	v_subrev_nc_u32_e32 v1, s13, v1
	s_delay_alu instid0(VALU_DEP_1) | instskip(SKIP_2) | instid1(VALU_DEP_2)
	v_mad_u32 v14, v1, 5, s12
	v_ashrrev_i32_e32 v1, 31, v0
	v_cndmask_b32_e32 v17, v13, v12, vcc_lo
	v_lshl_add_u64 v[20:21], v[0:1], 2, s[8:9]
	v_lshl_add_u64 v[22:23], v[0:1], 3, s[4:5]
	v_add_nc_u32_e32 v1, 4, v14
	s_clause 0x3
	global_load_b64 v[18:19], v15, s[6:7] scale_offset
	global_load_b64 v[8:9], v16, s[6:7] scale_offset
	;; [unrolled: 1-line block ×4, first 2 shown]
	s_wait_xcnt 0x2
	v_dual_add_nc_u32 v15, 1, v14 :: v_dual_add_nc_u32 v16, 2, v14
	s_wait_xcnt 0x1
	v_add_nc_u32_e32 v17, 3, v14
	global_store_b32 v0, v1, s[8:9] offset:16 scale_offset
	s_wait_loadcnt 0x3
	global_store_b64 v0, v[18:19], s[4:5] offset:32 scale_offset
	s_wait_xcnt 0x0
	v_add_nc_u32_e32 v0, 0xa0, v0
	s_wait_loadcnt 0x2
	global_store_b128 v[22:23], v[6:9], off
	s_wait_loadcnt 0x0
	global_store_b128 v[22:23], v[10:13], off offset:16
	global_store_b128 v[20:21], v[14:17], off
	s_wait_xcnt 0x0
	s_and_not1_b32 exec_lo, exec_lo, s1
	s_cbranch_execnz .LBB56_5
.LBB56_6:
	s_endpgm
	.section	.rodata,"a",@progbits
	.p2align	6, 0x0
	.amdhsa_kernel _ZN9rocsparseL32bsr2csr_block_per_row_2_7_kernelILj256ELj5EliiEEv20rocsparse_direction_T3_S2_21rocsparse_index_base_PKT1_PKT2_PKS2_S2_S3_PS4_PS7_PS2_
		.amdhsa_group_segment_fixed_size 0
		.amdhsa_private_segment_fixed_size 0
		.amdhsa_kernarg_size 72
		.amdhsa_user_sgpr_count 2
		.amdhsa_user_sgpr_dispatch_ptr 0
		.amdhsa_user_sgpr_queue_ptr 0
		.amdhsa_user_sgpr_kernarg_segment_ptr 1
		.amdhsa_user_sgpr_dispatch_id 0
		.amdhsa_user_sgpr_kernarg_preload_length 0
		.amdhsa_user_sgpr_kernarg_preload_offset 0
		.amdhsa_user_sgpr_private_segment_size 0
		.amdhsa_wavefront_size32 1
		.amdhsa_uses_dynamic_stack 0
		.amdhsa_enable_private_segment 0
		.amdhsa_system_sgpr_workgroup_id_x 1
		.amdhsa_system_sgpr_workgroup_id_y 0
		.amdhsa_system_sgpr_workgroup_id_z 0
		.amdhsa_system_sgpr_workgroup_info 0
		.amdhsa_system_vgpr_workitem_id 0
		.amdhsa_next_free_vgpr 24
		.amdhsa_next_free_sgpr 15
		.amdhsa_named_barrier_count 0
		.amdhsa_reserve_vcc 1
		.amdhsa_float_round_mode_32 0
		.amdhsa_float_round_mode_16_64 0
		.amdhsa_float_denorm_mode_32 3
		.amdhsa_float_denorm_mode_16_64 3
		.amdhsa_fp16_overflow 0
		.amdhsa_memory_ordered 1
		.amdhsa_forward_progress 1
		.amdhsa_inst_pref_size 6
		.amdhsa_round_robin_scheduling 0
		.amdhsa_exception_fp_ieee_invalid_op 0
		.amdhsa_exception_fp_denorm_src 0
		.amdhsa_exception_fp_ieee_div_zero 0
		.amdhsa_exception_fp_ieee_overflow 0
		.amdhsa_exception_fp_ieee_underflow 0
		.amdhsa_exception_fp_ieee_inexact 0
		.amdhsa_exception_int_div_zero 0
	.end_amdhsa_kernel
	.section	.text._ZN9rocsparseL32bsr2csr_block_per_row_2_7_kernelILj256ELj5EliiEEv20rocsparse_direction_T3_S2_21rocsparse_index_base_PKT1_PKT2_PKS2_S2_S3_PS4_PS7_PS2_,"axG",@progbits,_ZN9rocsparseL32bsr2csr_block_per_row_2_7_kernelILj256ELj5EliiEEv20rocsparse_direction_T3_S2_21rocsparse_index_base_PKT1_PKT2_PKS2_S2_S3_PS4_PS7_PS2_,comdat
.Lfunc_end56:
	.size	_ZN9rocsparseL32bsr2csr_block_per_row_2_7_kernelILj256ELj5EliiEEv20rocsparse_direction_T3_S2_21rocsparse_index_base_PKT1_PKT2_PKS2_S2_S3_PS4_PS7_PS2_, .Lfunc_end56-_ZN9rocsparseL32bsr2csr_block_per_row_2_7_kernelILj256ELj5EliiEEv20rocsparse_direction_T3_S2_21rocsparse_index_base_PKT1_PKT2_PKS2_S2_S3_PS4_PS7_PS2_
                                        ; -- End function
	.set _ZN9rocsparseL32bsr2csr_block_per_row_2_7_kernelILj256ELj5EliiEEv20rocsparse_direction_T3_S2_21rocsparse_index_base_PKT1_PKT2_PKS2_S2_S3_PS4_PS7_PS2_.num_vgpr, 24
	.set _ZN9rocsparseL32bsr2csr_block_per_row_2_7_kernelILj256ELj5EliiEEv20rocsparse_direction_T3_S2_21rocsparse_index_base_PKT1_PKT2_PKS2_S2_S3_PS4_PS7_PS2_.num_agpr, 0
	.set _ZN9rocsparseL32bsr2csr_block_per_row_2_7_kernelILj256ELj5EliiEEv20rocsparse_direction_T3_S2_21rocsparse_index_base_PKT1_PKT2_PKS2_S2_S3_PS4_PS7_PS2_.numbered_sgpr, 15
	.set _ZN9rocsparseL32bsr2csr_block_per_row_2_7_kernelILj256ELj5EliiEEv20rocsparse_direction_T3_S2_21rocsparse_index_base_PKT1_PKT2_PKS2_S2_S3_PS4_PS7_PS2_.num_named_barrier, 0
	.set _ZN9rocsparseL32bsr2csr_block_per_row_2_7_kernelILj256ELj5EliiEEv20rocsparse_direction_T3_S2_21rocsparse_index_base_PKT1_PKT2_PKS2_S2_S3_PS4_PS7_PS2_.private_seg_size, 0
	.set _ZN9rocsparseL32bsr2csr_block_per_row_2_7_kernelILj256ELj5EliiEEv20rocsparse_direction_T3_S2_21rocsparse_index_base_PKT1_PKT2_PKS2_S2_S3_PS4_PS7_PS2_.uses_vcc, 1
	.set _ZN9rocsparseL32bsr2csr_block_per_row_2_7_kernelILj256ELj5EliiEEv20rocsparse_direction_T3_S2_21rocsparse_index_base_PKT1_PKT2_PKS2_S2_S3_PS4_PS7_PS2_.uses_flat_scratch, 0
	.set _ZN9rocsparseL32bsr2csr_block_per_row_2_7_kernelILj256ELj5EliiEEv20rocsparse_direction_T3_S2_21rocsparse_index_base_PKT1_PKT2_PKS2_S2_S3_PS4_PS7_PS2_.has_dyn_sized_stack, 0
	.set _ZN9rocsparseL32bsr2csr_block_per_row_2_7_kernelILj256ELj5EliiEEv20rocsparse_direction_T3_S2_21rocsparse_index_base_PKT1_PKT2_PKS2_S2_S3_PS4_PS7_PS2_.has_recursion, 0
	.set _ZN9rocsparseL32bsr2csr_block_per_row_2_7_kernelILj256ELj5EliiEEv20rocsparse_direction_T3_S2_21rocsparse_index_base_PKT1_PKT2_PKS2_S2_S3_PS4_PS7_PS2_.has_indirect_call, 0
	.section	.AMDGPU.csdata,"",@progbits
; Kernel info:
; codeLenInByte = 760
; TotalNumSgprs: 17
; NumVgprs: 24
; ScratchSize: 0
; MemoryBound: 0
; FloatMode: 240
; IeeeMode: 1
; LDSByteSize: 0 bytes/workgroup (compile time only)
; SGPRBlocks: 0
; VGPRBlocks: 1
; NumSGPRsForWavesPerEU: 17
; NumVGPRsForWavesPerEU: 24
; NamedBarCnt: 0
; Occupancy: 16
; WaveLimiterHint : 1
; COMPUTE_PGM_RSRC2:SCRATCH_EN: 0
; COMPUTE_PGM_RSRC2:USER_SGPR: 2
; COMPUTE_PGM_RSRC2:TRAP_HANDLER: 0
; COMPUTE_PGM_RSRC2:TGID_X_EN: 1
; COMPUTE_PGM_RSRC2:TGID_Y_EN: 0
; COMPUTE_PGM_RSRC2:TGID_Z_EN: 0
; COMPUTE_PGM_RSRC2:TIDIG_COMP_CNT: 0
	.section	.text._ZN9rocsparseL32bsr2csr_block_per_row_2_7_kernelILj256ELj6EliiEEv20rocsparse_direction_T3_S2_21rocsparse_index_base_PKT1_PKT2_PKS2_S2_S3_PS4_PS7_PS2_,"axG",@progbits,_ZN9rocsparseL32bsr2csr_block_per_row_2_7_kernelILj256ELj6EliiEEv20rocsparse_direction_T3_S2_21rocsparse_index_base_PKT1_PKT2_PKS2_S2_S3_PS4_PS7_PS2_,comdat
	.globl	_ZN9rocsparseL32bsr2csr_block_per_row_2_7_kernelILj256ELj6EliiEEv20rocsparse_direction_T3_S2_21rocsparse_index_base_PKT1_PKT2_PKS2_S2_S3_PS4_PS7_PS2_ ; -- Begin function _ZN9rocsparseL32bsr2csr_block_per_row_2_7_kernelILj256ELj6EliiEEv20rocsparse_direction_T3_S2_21rocsparse_index_base_PKT1_PKT2_PKS2_S2_S3_PS4_PS7_PS2_
	.p2align	8
	.type	_ZN9rocsparseL32bsr2csr_block_per_row_2_7_kernelILj256ELj6EliiEEv20rocsparse_direction_T3_S2_21rocsparse_index_base_PKT1_PKT2_PKS2_S2_S3_PS4_PS7_PS2_,@function
_ZN9rocsparseL32bsr2csr_block_per_row_2_7_kernelILj256ELj6EliiEEv20rocsparse_direction_T3_S2_21rocsparse_index_base_PKT1_PKT2_PKS2_S2_S3_PS4_PS7_PS2_: ; @_ZN9rocsparseL32bsr2csr_block_per_row_2_7_kernelILj256ELj6EliiEEv20rocsparse_direction_T3_S2_21rocsparse_index_base_PKT1_PKT2_PKS2_S2_S3_PS4_PS7_PS2_
; %bb.0:
	s_clause 0x1
	s_load_b32 s12, s[0:1], 0x2c
	s_load_b64 s[2:3], s[0:1], 0x38
	s_bfe_u32 s4, ttmp6, 0x4000c
	s_and_b32 s5, ttmp6, 15
	s_add_co_i32 s4, s4, 1
	s_getreg_b32 s6, hwreg(HW_REG_IB_STS2, 6, 4)
	s_mul_i32 s4, ttmp9, s4
	s_delay_alu instid0(SALU_CYCLE_1) | instskip(SKIP_4) | instid1(VALU_DEP_1)
	s_add_co_i32 s5, s5, s4
	s_cmp_eq_u32 s6, 0
	s_cselect_b32 s4, ttmp9, s5
	s_mov_b32 s5, exec_lo
	v_or_b32_e32 v1, s4, v0
	v_cmpx_eq_u32_e32 0, v1
	s_cbranch_execz .LBB57_2
; %bb.1:
	s_wait_kmcnt 0x0
	v_dual_mov_b32 v1, 0 :: v_dual_mov_b32 v2, s12
	global_store_b32 v1, v2, s[2:3]
.LBB57_2:
	s_wait_xcnt 0x0
	s_or_b32 exec_lo, exec_lo, s5
	v_and_b32_e32 v1, 7, v0
	s_mov_b32 s5, exec_lo
	s_delay_alu instid0(VALU_DEP_1)
	v_cmpx_gt_u32_e32 6, v1
	s_cbranch_execz .LBB57_6
; %bb.3:
	s_clause 0x1
	s_load_b64 s[6:7], s[0:1], 0x18
	s_load_b32 s13, s[0:1], 0xc
	s_ashr_i32 s5, s4, 31
	v_lshrrev_b32_e32 v0, 3, v0
	s_lshl_b64 s[8:9], s[4:5], 2
	s_mul_i32 s4, s4, 6
	s_delay_alu instid0(SALU_CYCLE_1)
	v_add3_u32 v5, v1, s4, 1
	s_wait_kmcnt 0x0
	s_add_nc_u64 s[6:7], s[6:7], s[8:9]
	s_load_b64 s[10:11], s[6:7], 0x0
	s_wait_kmcnt 0x0
	s_sub_co_i32 s5, s10, s13
	s_sub_co_i32 s11, s11, s13
	v_add_nc_u32_e32 v2, s5, v0
	s_sub_co_i32 s6, s11, s5
	s_mul_i32 s7, s5, 36
	s_mul_i32 s6, s6, 6
	s_delay_alu instid0(SALU_CYCLE_1) | instskip(SKIP_2) | instid1(VALU_DEP_2)
	v_mul_lo_u32 v4, s6, v1
	s_add_co_i32 s6, s6, s12
	v_cmp_gt_i32_e32 vcc_lo, s11, v2
	v_add3_u32 v3, s6, s7, v4
	global_store_b32 v5, v3, s[2:3] scale_offset
	s_wait_xcnt 0x0
	s_and_b32 exec_lo, exec_lo, vcc_lo
	s_cbranch_execz .LBB57_6
; %bb.4:
	s_clause 0x4
	s_load_b64 s[2:3], s[0:1], 0x20
	s_load_b64 s[4:5], s[0:1], 0x30
	s_load_b32 s14, s[0:1], 0x0
	s_load_b64 s[6:7], s[0:1], 0x10
	s_load_b64 s[8:9], s[0:1], 0x40
	v_mul_u32_u24_e32 v0, 6, v0
	s_wait_xcnt 0x0
	s_mul_i32 s0, s10, 36
	v_mad_u32 v3, v2, 36, v1
	s_mov_b32 s1, 0
	v_add3_u32 v0, v4, s0, v0
	s_mul_i32 s0, s13, 36
	v_mul_u32_u24_e32 v4, 5, v1
	s_delay_alu instid0(VALU_DEP_2)
	v_subrev_nc_u32_e32 v0, s0, v0
	s_wait_kmcnt 0x0
	s_cmp_eq_u32 s14, 0
	s_cselect_b32 vcc_lo, -1, 0
.LBB57_5:                               ; =>This Inner Loop Header: Depth=1
	global_load_b32 v5, v2, s[2:3] scale_offset
	v_dual_add_nc_u32 v1, v4, v3 :: v_dual_add_nc_u32 v6, 6, v3
	v_dual_add_nc_u32 v7, 12, v3 :: v_dual_add_nc_u32 v8, 18, v3
	;; [unrolled: 1-line block ×3, first 2 shown]
	s_delay_alu instid0(VALU_DEP_3) | instskip(SKIP_2) | instid1(VALU_DEP_2)
	v_dual_cndmask_b32 v18, v3, v1 :: v_dual_add_nc_u32 v11, 1, v1
	v_dual_add_nc_u32 v12, 2, v1 :: v_dual_add_nc_u32 v13, 3, v1
	v_dual_add_nc_u32 v14, 4, v1 :: v_dual_add_nc_u32 v1, 5, v1
	v_dual_cndmask_b32 v19, v6, v11 :: v_dual_cndmask_b32 v20, v7, v12
	s_delay_alu instid0(VALU_DEP_2) | instskip(SKIP_1) | instid1(VALU_DEP_3)
	v_dual_cndmask_b32 v21, v8, v13 :: v_dual_cndmask_b32 v22, v9, v14
	s_wait_xcnt 0x0
	v_dual_cndmask_b32 v1, v10, v1 :: v_dual_add_nc_u32 v2, 32, v2
	s_clause 0x5
	global_load_b64 v[6:7], v18, s[6:7] scale_offset
	global_load_b64 v[8:9], v19, s[6:7] scale_offset
	;; [unrolled: 1-line block ×6, first 2 shown]
	v_add_nc_u32_e32 v3, 0x480, v3
	v_cmp_le_i32_e64 s0, s11, v2
	s_or_b32 s1, s0, s1
	s_wait_loadcnt 0x6
	v_subrev_nc_u32_e32 v5, s13, v5
	s_wait_xcnt 0x5
	s_delay_alu instid0(VALU_DEP_1) | instskip(SKIP_1) | instid1(VALU_DEP_1)
	v_mad_u32 v18, v5, 6, s12
	s_wait_xcnt 0x0
	v_dual_ashrrev_i32 v1, 31, v0 :: v_dual_add_nc_u32 v19, 1, v18
	s_delay_alu instid0(VALU_DEP_1)
	v_lshl_add_u64 v[22:23], v[0:1], 2, s[8:9]
	v_lshl_add_u64 v[24:25], v[0:1], 3, s[4:5]
	v_add_nc_u32_e32 v0, 0xc0, v0
	v_dual_add_nc_u32 v20, 2, v18 :: v_dual_add_nc_u32 v21, 3, v18
	v_dual_add_nc_u32 v26, 4, v18 :: v_dual_add_nc_u32 v27, 5, v18
	s_wait_loadcnt 0x4
	global_store_b128 v[24:25], v[6:9], off
	s_wait_loadcnt 0x2
	global_store_b128 v[24:25], v[10:13], off offset:16
	s_wait_loadcnt 0x0
	global_store_b128 v[24:25], v[14:17], off offset:32
	s_clause 0x1
	global_store_b128 v[22:23], v[18:21], off
	global_store_b64 v[22:23], v[26:27], off offset:16
	s_wait_xcnt 0x0
	s_and_not1_b32 exec_lo, exec_lo, s1
	s_cbranch_execnz .LBB57_5
.LBB57_6:
	s_endpgm
	.section	.rodata,"a",@progbits
	.p2align	6, 0x0
	.amdhsa_kernel _ZN9rocsparseL32bsr2csr_block_per_row_2_7_kernelILj256ELj6EliiEEv20rocsparse_direction_T3_S2_21rocsparse_index_base_PKT1_PKT2_PKS2_S2_S3_PS4_PS7_PS2_
		.amdhsa_group_segment_fixed_size 0
		.amdhsa_private_segment_fixed_size 0
		.amdhsa_kernarg_size 72
		.amdhsa_user_sgpr_count 2
		.amdhsa_user_sgpr_dispatch_ptr 0
		.amdhsa_user_sgpr_queue_ptr 0
		.amdhsa_user_sgpr_kernarg_segment_ptr 1
		.amdhsa_user_sgpr_dispatch_id 0
		.amdhsa_user_sgpr_kernarg_preload_length 0
		.amdhsa_user_sgpr_kernarg_preload_offset 0
		.amdhsa_user_sgpr_private_segment_size 0
		.amdhsa_wavefront_size32 1
		.amdhsa_uses_dynamic_stack 0
		.amdhsa_enable_private_segment 0
		.amdhsa_system_sgpr_workgroup_id_x 1
		.amdhsa_system_sgpr_workgroup_id_y 0
		.amdhsa_system_sgpr_workgroup_id_z 0
		.amdhsa_system_sgpr_workgroup_info 0
		.amdhsa_system_vgpr_workitem_id 0
		.amdhsa_next_free_vgpr 28
		.amdhsa_next_free_sgpr 15
		.amdhsa_named_barrier_count 0
		.amdhsa_reserve_vcc 1
		.amdhsa_float_round_mode_32 0
		.amdhsa_float_round_mode_16_64 0
		.amdhsa_float_denorm_mode_32 3
		.amdhsa_float_denorm_mode_16_64 3
		.amdhsa_fp16_overflow 0
		.amdhsa_memory_ordered 1
		.amdhsa_forward_progress 1
		.amdhsa_inst_pref_size 7
		.amdhsa_round_robin_scheduling 0
		.amdhsa_exception_fp_ieee_invalid_op 0
		.amdhsa_exception_fp_denorm_src 0
		.amdhsa_exception_fp_ieee_div_zero 0
		.amdhsa_exception_fp_ieee_overflow 0
		.amdhsa_exception_fp_ieee_underflow 0
		.amdhsa_exception_fp_ieee_inexact 0
		.amdhsa_exception_int_div_zero 0
	.end_amdhsa_kernel
	.section	.text._ZN9rocsparseL32bsr2csr_block_per_row_2_7_kernelILj256ELj6EliiEEv20rocsparse_direction_T3_S2_21rocsparse_index_base_PKT1_PKT2_PKS2_S2_S3_PS4_PS7_PS2_,"axG",@progbits,_ZN9rocsparseL32bsr2csr_block_per_row_2_7_kernelILj256ELj6EliiEEv20rocsparse_direction_T3_S2_21rocsparse_index_base_PKT1_PKT2_PKS2_S2_S3_PS4_PS7_PS2_,comdat
.Lfunc_end57:
	.size	_ZN9rocsparseL32bsr2csr_block_per_row_2_7_kernelILj256ELj6EliiEEv20rocsparse_direction_T3_S2_21rocsparse_index_base_PKT1_PKT2_PKS2_S2_S3_PS4_PS7_PS2_, .Lfunc_end57-_ZN9rocsparseL32bsr2csr_block_per_row_2_7_kernelILj256ELj6EliiEEv20rocsparse_direction_T3_S2_21rocsparse_index_base_PKT1_PKT2_PKS2_S2_S3_PS4_PS7_PS2_
                                        ; -- End function
	.set _ZN9rocsparseL32bsr2csr_block_per_row_2_7_kernelILj256ELj6EliiEEv20rocsparse_direction_T3_S2_21rocsparse_index_base_PKT1_PKT2_PKS2_S2_S3_PS4_PS7_PS2_.num_vgpr, 28
	.set _ZN9rocsparseL32bsr2csr_block_per_row_2_7_kernelILj256ELj6EliiEEv20rocsparse_direction_T3_S2_21rocsparse_index_base_PKT1_PKT2_PKS2_S2_S3_PS4_PS7_PS2_.num_agpr, 0
	.set _ZN9rocsparseL32bsr2csr_block_per_row_2_7_kernelILj256ELj6EliiEEv20rocsparse_direction_T3_S2_21rocsparse_index_base_PKT1_PKT2_PKS2_S2_S3_PS4_PS7_PS2_.numbered_sgpr, 15
	.set _ZN9rocsparseL32bsr2csr_block_per_row_2_7_kernelILj256ELj6EliiEEv20rocsparse_direction_T3_S2_21rocsparse_index_base_PKT1_PKT2_PKS2_S2_S3_PS4_PS7_PS2_.num_named_barrier, 0
	.set _ZN9rocsparseL32bsr2csr_block_per_row_2_7_kernelILj256ELj6EliiEEv20rocsparse_direction_T3_S2_21rocsparse_index_base_PKT1_PKT2_PKS2_S2_S3_PS4_PS7_PS2_.private_seg_size, 0
	.set _ZN9rocsparseL32bsr2csr_block_per_row_2_7_kernelILj256ELj6EliiEEv20rocsparse_direction_T3_S2_21rocsparse_index_base_PKT1_PKT2_PKS2_S2_S3_PS4_PS7_PS2_.uses_vcc, 1
	.set _ZN9rocsparseL32bsr2csr_block_per_row_2_7_kernelILj256ELj6EliiEEv20rocsparse_direction_T3_S2_21rocsparse_index_base_PKT1_PKT2_PKS2_S2_S3_PS4_PS7_PS2_.uses_flat_scratch, 0
	.set _ZN9rocsparseL32bsr2csr_block_per_row_2_7_kernelILj256ELj6EliiEEv20rocsparse_direction_T3_S2_21rocsparse_index_base_PKT1_PKT2_PKS2_S2_S3_PS4_PS7_PS2_.has_dyn_sized_stack, 0
	.set _ZN9rocsparseL32bsr2csr_block_per_row_2_7_kernelILj256ELj6EliiEEv20rocsparse_direction_T3_S2_21rocsparse_index_base_PKT1_PKT2_PKS2_S2_S3_PS4_PS7_PS2_.has_recursion, 0
	.set _ZN9rocsparseL32bsr2csr_block_per_row_2_7_kernelILj256ELj6EliiEEv20rocsparse_direction_T3_S2_21rocsparse_index_base_PKT1_PKT2_PKS2_S2_S3_PS4_PS7_PS2_.has_indirect_call, 0
	.section	.AMDGPU.csdata,"",@progbits
; Kernel info:
; codeLenInByte = 772
; TotalNumSgprs: 17
; NumVgprs: 28
; ScratchSize: 0
; MemoryBound: 0
; FloatMode: 240
; IeeeMode: 1
; LDSByteSize: 0 bytes/workgroup (compile time only)
; SGPRBlocks: 0
; VGPRBlocks: 1
; NumSGPRsForWavesPerEU: 17
; NumVGPRsForWavesPerEU: 28
; NamedBarCnt: 0
; Occupancy: 16
; WaveLimiterHint : 0
; COMPUTE_PGM_RSRC2:SCRATCH_EN: 0
; COMPUTE_PGM_RSRC2:USER_SGPR: 2
; COMPUTE_PGM_RSRC2:TRAP_HANDLER: 0
; COMPUTE_PGM_RSRC2:TGID_X_EN: 1
; COMPUTE_PGM_RSRC2:TGID_Y_EN: 0
; COMPUTE_PGM_RSRC2:TGID_Z_EN: 0
; COMPUTE_PGM_RSRC2:TIDIG_COMP_CNT: 0
	.section	.text._ZN9rocsparseL32bsr2csr_block_per_row_2_7_kernelILj256ELj7EliiEEv20rocsparse_direction_T3_S2_21rocsparse_index_base_PKT1_PKT2_PKS2_S2_S3_PS4_PS7_PS2_,"axG",@progbits,_ZN9rocsparseL32bsr2csr_block_per_row_2_7_kernelILj256ELj7EliiEEv20rocsparse_direction_T3_S2_21rocsparse_index_base_PKT1_PKT2_PKS2_S2_S3_PS4_PS7_PS2_,comdat
	.globl	_ZN9rocsparseL32bsr2csr_block_per_row_2_7_kernelILj256ELj7EliiEEv20rocsparse_direction_T3_S2_21rocsparse_index_base_PKT1_PKT2_PKS2_S2_S3_PS4_PS7_PS2_ ; -- Begin function _ZN9rocsparseL32bsr2csr_block_per_row_2_7_kernelILj256ELj7EliiEEv20rocsparse_direction_T3_S2_21rocsparse_index_base_PKT1_PKT2_PKS2_S2_S3_PS4_PS7_PS2_
	.p2align	8
	.type	_ZN9rocsparseL32bsr2csr_block_per_row_2_7_kernelILj256ELj7EliiEEv20rocsparse_direction_T3_S2_21rocsparse_index_base_PKT1_PKT2_PKS2_S2_S3_PS4_PS7_PS2_,@function
_ZN9rocsparseL32bsr2csr_block_per_row_2_7_kernelILj256ELj7EliiEEv20rocsparse_direction_T3_S2_21rocsparse_index_base_PKT1_PKT2_PKS2_S2_S3_PS4_PS7_PS2_: ; @_ZN9rocsparseL32bsr2csr_block_per_row_2_7_kernelILj256ELj7EliiEEv20rocsparse_direction_T3_S2_21rocsparse_index_base_PKT1_PKT2_PKS2_S2_S3_PS4_PS7_PS2_
; %bb.0:
	s_clause 0x1
	s_load_b32 s12, s[0:1], 0x2c
	s_load_b64 s[2:3], s[0:1], 0x38
	s_bfe_u32 s4, ttmp6, 0x4000c
	s_and_b32 s5, ttmp6, 15
	s_add_co_i32 s4, s4, 1
	s_getreg_b32 s6, hwreg(HW_REG_IB_STS2, 6, 4)
	s_mul_i32 s4, ttmp9, s4
	s_delay_alu instid0(SALU_CYCLE_1) | instskip(SKIP_4) | instid1(VALU_DEP_1)
	s_add_co_i32 s5, s5, s4
	s_cmp_eq_u32 s6, 0
	s_cselect_b32 s4, ttmp9, s5
	s_mov_b32 s5, exec_lo
	v_or_b32_e32 v1, s4, v0
	v_cmpx_eq_u32_e32 0, v1
	s_cbranch_execz .LBB58_2
; %bb.1:
	s_wait_kmcnt 0x0
	v_dual_mov_b32 v1, 0 :: v_dual_mov_b32 v2, s12
	global_store_b32 v1, v2, s[2:3]
.LBB58_2:
	s_wait_xcnt 0x0
	s_or_b32 exec_lo, exec_lo, s5
	v_and_b32_e32 v1, 7, v0
	s_mov_b32 s5, exec_lo
	s_delay_alu instid0(VALU_DEP_1)
	v_cmpx_ne_u32_e32 7, v1
	s_cbranch_execz .LBB58_6
; %bb.3:
	s_clause 0x1
	s_load_b64 s[6:7], s[0:1], 0x18
	s_load_b32 s13, s[0:1], 0xc
	s_ashr_i32 s5, s4, 31
	v_lshrrev_b32_e32 v0, 3, v0
	s_lshl_b64 s[8:9], s[4:5], 2
	s_mul_i32 s4, s4, 7
	s_delay_alu instid0(SALU_CYCLE_1)
	v_add3_u32 v5, v1, s4, 1
	s_wait_kmcnt 0x0
	s_add_nc_u64 s[6:7], s[6:7], s[8:9]
	s_load_b64 s[10:11], s[6:7], 0x0
	s_wait_kmcnt 0x0
	s_sub_co_i32 s5, s10, s13
	s_sub_co_i32 s11, s11, s13
	v_add_nc_u32_e32 v2, s5, v0
	s_sub_co_i32 s6, s11, s5
	s_mul_i32 s7, s5, 49
	s_mul_i32 s6, s6, 7
	s_delay_alu instid0(SALU_CYCLE_1) | instskip(SKIP_2) | instid1(VALU_DEP_2)
	v_mul_lo_u32 v4, s6, v1
	s_add_co_i32 s6, s6, s12
	v_cmp_gt_i32_e32 vcc_lo, s11, v2
	v_add3_u32 v3, s6, s7, v4
	global_store_b32 v5, v3, s[2:3] scale_offset
	s_wait_xcnt 0x0
	s_and_b32 exec_lo, exec_lo, vcc_lo
	s_cbranch_execz .LBB58_6
; %bb.4:
	s_clause 0x4
	s_load_b64 s[2:3], s[0:1], 0x20
	s_load_b64 s[4:5], s[0:1], 0x30
	s_load_b32 s14, s[0:1], 0x0
	s_load_b64 s[6:7], s[0:1], 0x10
	s_load_b64 s[8:9], s[0:1], 0x40
	v_mul_u32_u24_e32 v0, 7, v0
	s_wait_xcnt 0x0
	s_mul_i32 s0, s10, 49
	v_mad_u32 v3, v2, 49, v1
	s_mov_b32 s1, 0
	v_add3_u32 v0, v4, s0, v0
	s_mul_i32 s0, s13, 49
	v_mul_u32_u24_e32 v4, 6, v1
	s_delay_alu instid0(VALU_DEP_2)
	v_subrev_nc_u32_e32 v0, s0, v0
	s_wait_kmcnt 0x0
	s_cmp_eq_u32 s14, 0
	s_cselect_b32 vcc_lo, -1, 0
.LBB58_5:                               ; =>This Inner Loop Header: Depth=1
	global_load_b32 v5, v2, s[2:3] scale_offset
	v_dual_add_nc_u32 v1, v4, v3 :: v_dual_add_nc_u32 v8, 7, v3
	v_dual_add_nc_u32 v13, 42, v3 :: v_dual_add_nc_u32 v11, 28, v3
	s_delay_alu instid0(VALU_DEP_2) | instskip(SKIP_4) | instid1(VALU_DEP_3)
	v_dual_add_nc_u32 v12, 35, v3 :: v_dual_add_nc_u32 v14, 1, v1
	v_dual_add_nc_u32 v15, 2, v1 :: v_dual_add_nc_u32 v16, 3, v1
	;; [unrolled: 1-line block ×3, first 2 shown]
	v_dual_cndmask_b32 v6, v3, v1 :: v_dual_add_nc_u32 v1, 5, v1
	v_dual_add_nc_u32 v9, 14, v3 :: v_dual_add_nc_u32 v10, 21, v3
	v_dual_cndmask_b32 v19, v8, v14 :: v_dual_cndmask_b32 v22, v13, v17
	s_delay_alu instid0(VALU_DEP_3) | instskip(NEXT) | instid1(VALU_DEP_3)
	v_dual_cndmask_b32 v18, v11, v18 :: v_dual_cndmask_b32 v1, v12, v1
	v_dual_cndmask_b32 v23, v9, v15 :: v_dual_cndmask_b32 v24, v10, v16
	s_clause 0x6
	global_load_b64 v[6:7], v6, s[6:7] scale_offset
	global_load_b64 v[20:21], v22, s[6:7] scale_offset
	;; [unrolled: 1-line block ×7, first 2 shown]
	s_wait_xcnt 0x3
	v_dual_ashrrev_i32 v1, 31, v0 :: v_dual_add_nc_u32 v2, 32, v2
	v_add_nc_u32_e32 v3, 0x620, v3
	s_delay_alu instid0(VALU_DEP_2) | instskip(NEXT) | instid1(VALU_DEP_3)
	v_lshl_add_u64 v[26:27], v[0:1], 2, s[8:9]
	v_cmp_le_i32_e64 s0, s11, v2
	v_lshl_add_u64 v[28:29], v[0:1], 3, s[4:5]
	s_or_b32 s1, s0, s1
	s_wait_loadcnt 0x7
	v_subrev_nc_u32_e32 v5, s13, v5
	s_delay_alu instid0(VALU_DEP_1) | instskip(SKIP_1) | instid1(VALU_DEP_1)
	v_mad_u32 v18, v5, 7, s12
	s_wait_xcnt 0x2
	v_add_nc_u32_e32 v19, 1, v18
	s_wait_loadcnt 0x5
	global_store_b64 v0, v[20:21], s[4:5] offset:48 scale_offset
	s_wait_xcnt 0x0
	v_add_nc_u32_e32 v0, 0xe0, v0
	v_dual_add_nc_u32 v20, 2, v18 :: v_dual_add_nc_u32 v21, 3, v18
	v_dual_add_nc_u32 v22, 4, v18 :: v_dual_add_nc_u32 v23, 5, v18
	v_add_nc_u32_e32 v24, 6, v18
	s_wait_loadcnt 0x2
	global_store_b128 v[28:29], v[6:9], off
	s_wait_loadcnt 0x0
	s_clause 0x1
	global_store_b128 v[28:29], v[14:17], off offset:16
	global_store_b128 v[28:29], v[10:13], off offset:32
	s_clause 0x1
	global_store_b128 v[26:27], v[18:21], off
	global_store_b96 v[26:27], v[22:24], off offset:16
	s_wait_xcnt 0x0
	s_and_not1_b32 exec_lo, exec_lo, s1
	s_cbranch_execnz .LBB58_5
.LBB58_6:
	s_endpgm
	.section	.rodata,"a",@progbits
	.p2align	6, 0x0
	.amdhsa_kernel _ZN9rocsparseL32bsr2csr_block_per_row_2_7_kernelILj256ELj7EliiEEv20rocsparse_direction_T3_S2_21rocsparse_index_base_PKT1_PKT2_PKS2_S2_S3_PS4_PS7_PS2_
		.amdhsa_group_segment_fixed_size 0
		.amdhsa_private_segment_fixed_size 0
		.amdhsa_kernarg_size 72
		.amdhsa_user_sgpr_count 2
		.amdhsa_user_sgpr_dispatch_ptr 0
		.amdhsa_user_sgpr_queue_ptr 0
		.amdhsa_user_sgpr_kernarg_segment_ptr 1
		.amdhsa_user_sgpr_dispatch_id 0
		.amdhsa_user_sgpr_kernarg_preload_length 0
		.amdhsa_user_sgpr_kernarg_preload_offset 0
		.amdhsa_user_sgpr_private_segment_size 0
		.amdhsa_wavefront_size32 1
		.amdhsa_uses_dynamic_stack 0
		.amdhsa_enable_private_segment 0
		.amdhsa_system_sgpr_workgroup_id_x 1
		.amdhsa_system_sgpr_workgroup_id_y 0
		.amdhsa_system_sgpr_workgroup_id_z 0
		.amdhsa_system_sgpr_workgroup_info 0
		.amdhsa_system_vgpr_workitem_id 0
		.amdhsa_next_free_vgpr 30
		.amdhsa_next_free_sgpr 15
		.amdhsa_named_barrier_count 0
		.amdhsa_reserve_vcc 1
		.amdhsa_float_round_mode_32 0
		.amdhsa_float_round_mode_16_64 0
		.amdhsa_float_denorm_mode_32 3
		.amdhsa_float_denorm_mode_16_64 3
		.amdhsa_fp16_overflow 0
		.amdhsa_memory_ordered 1
		.amdhsa_forward_progress 1
		.amdhsa_inst_pref_size 7
		.amdhsa_round_robin_scheduling 0
		.amdhsa_exception_fp_ieee_invalid_op 0
		.amdhsa_exception_fp_denorm_src 0
		.amdhsa_exception_fp_ieee_div_zero 0
		.amdhsa_exception_fp_ieee_overflow 0
		.amdhsa_exception_fp_ieee_underflow 0
		.amdhsa_exception_fp_ieee_inexact 0
		.amdhsa_exception_int_div_zero 0
	.end_amdhsa_kernel
	.section	.text._ZN9rocsparseL32bsr2csr_block_per_row_2_7_kernelILj256ELj7EliiEEv20rocsparse_direction_T3_S2_21rocsparse_index_base_PKT1_PKT2_PKS2_S2_S3_PS4_PS7_PS2_,"axG",@progbits,_ZN9rocsparseL32bsr2csr_block_per_row_2_7_kernelILj256ELj7EliiEEv20rocsparse_direction_T3_S2_21rocsparse_index_base_PKT1_PKT2_PKS2_S2_S3_PS4_PS7_PS2_,comdat
.Lfunc_end58:
	.size	_ZN9rocsparseL32bsr2csr_block_per_row_2_7_kernelILj256ELj7EliiEEv20rocsparse_direction_T3_S2_21rocsparse_index_base_PKT1_PKT2_PKS2_S2_S3_PS4_PS7_PS2_, .Lfunc_end58-_ZN9rocsparseL32bsr2csr_block_per_row_2_7_kernelILj256ELj7EliiEEv20rocsparse_direction_T3_S2_21rocsparse_index_base_PKT1_PKT2_PKS2_S2_S3_PS4_PS7_PS2_
                                        ; -- End function
	.set _ZN9rocsparseL32bsr2csr_block_per_row_2_7_kernelILj256ELj7EliiEEv20rocsparse_direction_T3_S2_21rocsparse_index_base_PKT1_PKT2_PKS2_S2_S3_PS4_PS7_PS2_.num_vgpr, 30
	.set _ZN9rocsparseL32bsr2csr_block_per_row_2_7_kernelILj256ELj7EliiEEv20rocsparse_direction_T3_S2_21rocsparse_index_base_PKT1_PKT2_PKS2_S2_S3_PS4_PS7_PS2_.num_agpr, 0
	.set _ZN9rocsparseL32bsr2csr_block_per_row_2_7_kernelILj256ELj7EliiEEv20rocsparse_direction_T3_S2_21rocsparse_index_base_PKT1_PKT2_PKS2_S2_S3_PS4_PS7_PS2_.numbered_sgpr, 15
	.set _ZN9rocsparseL32bsr2csr_block_per_row_2_7_kernelILj256ELj7EliiEEv20rocsparse_direction_T3_S2_21rocsparse_index_base_PKT1_PKT2_PKS2_S2_S3_PS4_PS7_PS2_.num_named_barrier, 0
	.set _ZN9rocsparseL32bsr2csr_block_per_row_2_7_kernelILj256ELj7EliiEEv20rocsparse_direction_T3_S2_21rocsparse_index_base_PKT1_PKT2_PKS2_S2_S3_PS4_PS7_PS2_.private_seg_size, 0
	.set _ZN9rocsparseL32bsr2csr_block_per_row_2_7_kernelILj256ELj7EliiEEv20rocsparse_direction_T3_S2_21rocsparse_index_base_PKT1_PKT2_PKS2_S2_S3_PS4_PS7_PS2_.uses_vcc, 1
	.set _ZN9rocsparseL32bsr2csr_block_per_row_2_7_kernelILj256ELj7EliiEEv20rocsparse_direction_T3_S2_21rocsparse_index_base_PKT1_PKT2_PKS2_S2_S3_PS4_PS7_PS2_.uses_flat_scratch, 0
	.set _ZN9rocsparseL32bsr2csr_block_per_row_2_7_kernelILj256ELj7EliiEEv20rocsparse_direction_T3_S2_21rocsparse_index_base_PKT1_PKT2_PKS2_S2_S3_PS4_PS7_PS2_.has_dyn_sized_stack, 0
	.set _ZN9rocsparseL32bsr2csr_block_per_row_2_7_kernelILj256ELj7EliiEEv20rocsparse_direction_T3_S2_21rocsparse_index_base_PKT1_PKT2_PKS2_S2_S3_PS4_PS7_PS2_.has_recursion, 0
	.set _ZN9rocsparseL32bsr2csr_block_per_row_2_7_kernelILj256ELj7EliiEEv20rocsparse_direction_T3_S2_21rocsparse_index_base_PKT1_PKT2_PKS2_S2_S3_PS4_PS7_PS2_.has_indirect_call, 0
	.section	.AMDGPU.csdata,"",@progbits
; Kernel info:
; codeLenInByte = 820
; TotalNumSgprs: 17
; NumVgprs: 30
; ScratchSize: 0
; MemoryBound: 0
; FloatMode: 240
; IeeeMode: 1
; LDSByteSize: 0 bytes/workgroup (compile time only)
; SGPRBlocks: 0
; VGPRBlocks: 1
; NumSGPRsForWavesPerEU: 17
; NumVGPRsForWavesPerEU: 30
; NamedBarCnt: 0
; Occupancy: 16
; WaveLimiterHint : 0
; COMPUTE_PGM_RSRC2:SCRATCH_EN: 0
; COMPUTE_PGM_RSRC2:USER_SGPR: 2
; COMPUTE_PGM_RSRC2:TRAP_HANDLER: 0
; COMPUTE_PGM_RSRC2:TGID_X_EN: 1
; COMPUTE_PGM_RSRC2:TGID_Y_EN: 0
; COMPUTE_PGM_RSRC2:TGID_Z_EN: 0
; COMPUTE_PGM_RSRC2:TIDIG_COMP_CNT: 0
	.section	.text._ZN9rocsparseL33bsr2csr_block_per_row_8_32_kernelILj1024ELj8EliiEEv20rocsparse_direction_T3_S2_21rocsparse_index_base_PKT1_PKT2_PKS2_S2_S3_PS4_PS7_PS2_,"axG",@progbits,_ZN9rocsparseL33bsr2csr_block_per_row_8_32_kernelILj1024ELj8EliiEEv20rocsparse_direction_T3_S2_21rocsparse_index_base_PKT1_PKT2_PKS2_S2_S3_PS4_PS7_PS2_,comdat
	.globl	_ZN9rocsparseL33bsr2csr_block_per_row_8_32_kernelILj1024ELj8EliiEEv20rocsparse_direction_T3_S2_21rocsparse_index_base_PKT1_PKT2_PKS2_S2_S3_PS4_PS7_PS2_ ; -- Begin function _ZN9rocsparseL33bsr2csr_block_per_row_8_32_kernelILj1024ELj8EliiEEv20rocsparse_direction_T3_S2_21rocsparse_index_base_PKT1_PKT2_PKS2_S2_S3_PS4_PS7_PS2_
	.p2align	8
	.type	_ZN9rocsparseL33bsr2csr_block_per_row_8_32_kernelILj1024ELj8EliiEEv20rocsparse_direction_T3_S2_21rocsparse_index_base_PKT1_PKT2_PKS2_S2_S3_PS4_PS7_PS2_,@function
_ZN9rocsparseL33bsr2csr_block_per_row_8_32_kernelILj1024ELj8EliiEEv20rocsparse_direction_T3_S2_21rocsparse_index_base_PKT1_PKT2_PKS2_S2_S3_PS4_PS7_PS2_: ; @_ZN9rocsparseL33bsr2csr_block_per_row_8_32_kernelILj1024ELj8EliiEEv20rocsparse_direction_T3_S2_21rocsparse_index_base_PKT1_PKT2_PKS2_S2_S3_PS4_PS7_PS2_
; %bb.0:
	s_clause 0x1
	s_load_b64 s[2:3], s[0:1], 0x28
	s_load_b64 s[4:5], s[0:1], 0x38
	s_bfe_u32 s6, ttmp6, 0x4000c
	s_and_b32 s7, ttmp6, 15
	s_add_co_i32 s6, s6, 1
	s_getreg_b32 s8, hwreg(HW_REG_IB_STS2, 6, 4)
	s_mul_i32 s6, ttmp9, s6
	s_delay_alu instid0(SALU_CYCLE_1) | instskip(SKIP_4) | instid1(VALU_DEP_1)
	s_add_co_i32 s7, s7, s6
	s_cmp_eq_u32 s8, 0
	s_cselect_b32 s6, ttmp9, s7
	s_mov_b32 s7, exec_lo
	v_or_b32_e32 v1, s6, v0
	v_cmpx_eq_u32_e32 0, v1
	s_cbranch_execz .LBB59_2
; %bb.1:
	s_wait_kmcnt 0x0
	v_dual_mov_b32 v1, 0 :: v_dual_mov_b32 v2, s3
	global_store_b32 v1, v2, s[4:5]
.LBB59_2:
	s_wait_xcnt 0x0
	s_or_b32 exec_lo, exec_lo, s7
	v_and_b32_e32 v1, 7, v0
	v_bfe_u32 v2, v0, 3, 3
	s_mov_b32 s7, exec_lo
	s_delay_alu instid0(VALU_DEP_1) | instskip(SKIP_1) | instid1(VALU_DEP_1)
	v_max_i32_e32 v3, v2, v1
	s_wait_kmcnt 0x0
	v_cmpx_gt_i32_e64 s2, v3
	s_cbranch_execz .LBB59_6
; %bb.3:
	s_clause 0x1
	s_load_b64 s[8:9], s[0:1], 0x18
	s_load_b32 s10, s[0:1], 0xc
	s_ashr_i32 s7, s6, 31
	v_lshrrev_b32_e32 v3, 6, v0
	s_lshl_b64 s[12:13], s[6:7], 2
	v_mad_u32 v5, s2, s6, v2
	s_wait_kmcnt 0x0
	s_add_nc_u64 s[8:9], s[8:9], s[12:13]
	s_load_b64 s[12:13], s[8:9], 0x0
	s_wait_kmcnt 0x0
	s_sub_co_i32 s8, s12, s10
	s_sub_co_i32 s11, s13, s10
	s_mul_i32 s12, s2, s2
	s_sub_co_i32 s13, s11, s8
	s_mul_i32 s9, s8, s12
	s_mul_i32 s7, s13, s2
	v_add_nc_u32_e32 v0, s8, v3
	s_add_co_i32 s14, s7, s3
	s_delay_alu instid0(SALU_CYCLE_1) | instskip(NEXT) | instid1(SALU_CYCLE_1)
	s_add_co_i32 s14, s14, s9
	v_mad_u32 v4, s7, v2, s14
	s_delay_alu instid0(VALU_DEP_2)
	v_cmp_gt_i32_e32 vcc_lo, s11, v0
	global_store_b32 v5, v4, s[4:5] offset:4 scale_offset
	s_wait_xcnt 0x0
	s_and_b32 exec_lo, exec_lo, vcc_lo
	s_cbranch_execz .LBB59_6
; %bb.4:
	s_clause 0x2
	s_load_b64 s[4:5], s[0:1], 0x20
	s_load_b64 s[6:7], s[0:1], 0x30
	s_load_b32 s14, s[0:1], 0x0
	v_mad_u32 v3, s2, s8, v3
	v_mad_u32 v4, s2, v1, v2
	;; [unrolled: 1-line block ×3, first 2 shown]
	s_load_b64 s[8:9], s[0:1], 0x10
	s_delay_alu instid0(VALU_DEP_3)
	v_mad_u32 v3, s13, v2, v3
	s_wait_xcnt 0x0
	s_load_b64 s[0:1], s[0:1], 0x40
	s_wait_kmcnt 0x0
	s_cmp_eq_u32 s14, 0
	s_cselect_b32 vcc_lo, -1, 0
	s_delay_alu instid0(VALU_DEP_1) | instskip(NEXT) | instid1(VALU_DEP_3)
	v_mad_u32 v3, s2, v3, v1
	v_cndmask_b32_e32 v2, v4, v5, vcc_lo
	v_add_nc_u32_e32 v1, s3, v1
	s_mov_b32 s3, 0
	s_lshl_b32 s13, s2, 4
	s_delay_alu instid0(VALU_DEP_2)
	v_mad_u32 v2, s12, v0, v2
	s_lshl_b32 s12, s12, 4
.LBB59_5:                               ; =>This Inner Loop Header: Depth=1
	global_load_b32 v6, v0, s[4:5] scale_offset
	global_load_b64 v[4:5], v2, s[8:9] scale_offset
	s_wait_xcnt 0x0
	v_dual_add_nc_u32 v0, 16, v0 :: v_dual_add_nc_u32 v2, s12, v2
	s_delay_alu instid0(VALU_DEP_1) | instskip(SKIP_3) | instid1(VALU_DEP_1)
	v_cmp_le_i32_e32 vcc_lo, s11, v0
	s_or_b32 s3, vcc_lo, s3
	s_wait_loadcnt 0x1
	v_subrev_nc_u32_e32 v6, s10, v6
	v_mad_u32 v6, v6, s2, v1
	global_store_b32 v3, v6, s[0:1] scale_offset
	s_wait_loadcnt 0x0
	global_store_b64 v3, v[4:5], s[6:7] scale_offset
	s_wait_xcnt 0x0
	v_add_nc_u32_e32 v3, s13, v3
	s_and_not1_b32 exec_lo, exec_lo, s3
	s_cbranch_execnz .LBB59_5
.LBB59_6:
	s_endpgm
	.section	.rodata,"a",@progbits
	.p2align	6, 0x0
	.amdhsa_kernel _ZN9rocsparseL33bsr2csr_block_per_row_8_32_kernelILj1024ELj8EliiEEv20rocsparse_direction_T3_S2_21rocsparse_index_base_PKT1_PKT2_PKS2_S2_S3_PS4_PS7_PS2_
		.amdhsa_group_segment_fixed_size 0
		.amdhsa_private_segment_fixed_size 0
		.amdhsa_kernarg_size 72
		.amdhsa_user_sgpr_count 2
		.amdhsa_user_sgpr_dispatch_ptr 0
		.amdhsa_user_sgpr_queue_ptr 0
		.amdhsa_user_sgpr_kernarg_segment_ptr 1
		.amdhsa_user_sgpr_dispatch_id 0
		.amdhsa_user_sgpr_kernarg_preload_length 0
		.amdhsa_user_sgpr_kernarg_preload_offset 0
		.amdhsa_user_sgpr_private_segment_size 0
		.amdhsa_wavefront_size32 1
		.amdhsa_uses_dynamic_stack 0
		.amdhsa_enable_private_segment 0
		.amdhsa_system_sgpr_workgroup_id_x 1
		.amdhsa_system_sgpr_workgroup_id_y 0
		.amdhsa_system_sgpr_workgroup_id_z 0
		.amdhsa_system_sgpr_workgroup_info 0
		.amdhsa_system_vgpr_workitem_id 0
		.amdhsa_next_free_vgpr 7
		.amdhsa_next_free_sgpr 15
		.amdhsa_named_barrier_count 0
		.amdhsa_reserve_vcc 1
		.amdhsa_float_round_mode_32 0
		.amdhsa_float_round_mode_16_64 0
		.amdhsa_float_denorm_mode_32 3
		.amdhsa_float_denorm_mode_16_64 3
		.amdhsa_fp16_overflow 0
		.amdhsa_memory_ordered 1
		.amdhsa_forward_progress 1
		.amdhsa_inst_pref_size 5
		.amdhsa_round_robin_scheduling 0
		.amdhsa_exception_fp_ieee_invalid_op 0
		.amdhsa_exception_fp_denorm_src 0
		.amdhsa_exception_fp_ieee_div_zero 0
		.amdhsa_exception_fp_ieee_overflow 0
		.amdhsa_exception_fp_ieee_underflow 0
		.amdhsa_exception_fp_ieee_inexact 0
		.amdhsa_exception_int_div_zero 0
	.end_amdhsa_kernel
	.section	.text._ZN9rocsparseL33bsr2csr_block_per_row_8_32_kernelILj1024ELj8EliiEEv20rocsparse_direction_T3_S2_21rocsparse_index_base_PKT1_PKT2_PKS2_S2_S3_PS4_PS7_PS2_,"axG",@progbits,_ZN9rocsparseL33bsr2csr_block_per_row_8_32_kernelILj1024ELj8EliiEEv20rocsparse_direction_T3_S2_21rocsparse_index_base_PKT1_PKT2_PKS2_S2_S3_PS4_PS7_PS2_,comdat
.Lfunc_end59:
	.size	_ZN9rocsparseL33bsr2csr_block_per_row_8_32_kernelILj1024ELj8EliiEEv20rocsparse_direction_T3_S2_21rocsparse_index_base_PKT1_PKT2_PKS2_S2_S3_PS4_PS7_PS2_, .Lfunc_end59-_ZN9rocsparseL33bsr2csr_block_per_row_8_32_kernelILj1024ELj8EliiEEv20rocsparse_direction_T3_S2_21rocsparse_index_base_PKT1_PKT2_PKS2_S2_S3_PS4_PS7_PS2_
                                        ; -- End function
	.set _ZN9rocsparseL33bsr2csr_block_per_row_8_32_kernelILj1024ELj8EliiEEv20rocsparse_direction_T3_S2_21rocsparse_index_base_PKT1_PKT2_PKS2_S2_S3_PS4_PS7_PS2_.num_vgpr, 7
	.set _ZN9rocsparseL33bsr2csr_block_per_row_8_32_kernelILj1024ELj8EliiEEv20rocsparse_direction_T3_S2_21rocsparse_index_base_PKT1_PKT2_PKS2_S2_S3_PS4_PS7_PS2_.num_agpr, 0
	.set _ZN9rocsparseL33bsr2csr_block_per_row_8_32_kernelILj1024ELj8EliiEEv20rocsparse_direction_T3_S2_21rocsparse_index_base_PKT1_PKT2_PKS2_S2_S3_PS4_PS7_PS2_.numbered_sgpr, 15
	.set _ZN9rocsparseL33bsr2csr_block_per_row_8_32_kernelILj1024ELj8EliiEEv20rocsparse_direction_T3_S2_21rocsparse_index_base_PKT1_PKT2_PKS2_S2_S3_PS4_PS7_PS2_.num_named_barrier, 0
	.set _ZN9rocsparseL33bsr2csr_block_per_row_8_32_kernelILj1024ELj8EliiEEv20rocsparse_direction_T3_S2_21rocsparse_index_base_PKT1_PKT2_PKS2_S2_S3_PS4_PS7_PS2_.private_seg_size, 0
	.set _ZN9rocsparseL33bsr2csr_block_per_row_8_32_kernelILj1024ELj8EliiEEv20rocsparse_direction_T3_S2_21rocsparse_index_base_PKT1_PKT2_PKS2_S2_S3_PS4_PS7_PS2_.uses_vcc, 1
	.set _ZN9rocsparseL33bsr2csr_block_per_row_8_32_kernelILj1024ELj8EliiEEv20rocsparse_direction_T3_S2_21rocsparse_index_base_PKT1_PKT2_PKS2_S2_S3_PS4_PS7_PS2_.uses_flat_scratch, 0
	.set _ZN9rocsparseL33bsr2csr_block_per_row_8_32_kernelILj1024ELj8EliiEEv20rocsparse_direction_T3_S2_21rocsparse_index_base_PKT1_PKT2_PKS2_S2_S3_PS4_PS7_PS2_.has_dyn_sized_stack, 0
	.set _ZN9rocsparseL33bsr2csr_block_per_row_8_32_kernelILj1024ELj8EliiEEv20rocsparse_direction_T3_S2_21rocsparse_index_base_PKT1_PKT2_PKS2_S2_S3_PS4_PS7_PS2_.has_recursion, 0
	.set _ZN9rocsparseL33bsr2csr_block_per_row_8_32_kernelILj1024ELj8EliiEEv20rocsparse_direction_T3_S2_21rocsparse_index_base_PKT1_PKT2_PKS2_S2_S3_PS4_PS7_PS2_.has_indirect_call, 0
	.section	.AMDGPU.csdata,"",@progbits
; Kernel info:
; codeLenInByte = 544
; TotalNumSgprs: 17
; NumVgprs: 7
; ScratchSize: 0
; MemoryBound: 0
; FloatMode: 240
; IeeeMode: 1
; LDSByteSize: 0 bytes/workgroup (compile time only)
; SGPRBlocks: 0
; VGPRBlocks: 0
; NumSGPRsForWavesPerEU: 17
; NumVGPRsForWavesPerEU: 7
; NamedBarCnt: 0
; Occupancy: 16
; WaveLimiterHint : 0
; COMPUTE_PGM_RSRC2:SCRATCH_EN: 0
; COMPUTE_PGM_RSRC2:USER_SGPR: 2
; COMPUTE_PGM_RSRC2:TRAP_HANDLER: 0
; COMPUTE_PGM_RSRC2:TGID_X_EN: 1
; COMPUTE_PGM_RSRC2:TGID_Y_EN: 0
; COMPUTE_PGM_RSRC2:TGID_Z_EN: 0
; COMPUTE_PGM_RSRC2:TIDIG_COMP_CNT: 0
	.section	.text._ZN9rocsparseL33bsr2csr_block_per_row_8_32_kernelILj1024ELj16EliiEEv20rocsparse_direction_T3_S2_21rocsparse_index_base_PKT1_PKT2_PKS2_S2_S3_PS4_PS7_PS2_,"axG",@progbits,_ZN9rocsparseL33bsr2csr_block_per_row_8_32_kernelILj1024ELj16EliiEEv20rocsparse_direction_T3_S2_21rocsparse_index_base_PKT1_PKT2_PKS2_S2_S3_PS4_PS7_PS2_,comdat
	.globl	_ZN9rocsparseL33bsr2csr_block_per_row_8_32_kernelILj1024ELj16EliiEEv20rocsparse_direction_T3_S2_21rocsparse_index_base_PKT1_PKT2_PKS2_S2_S3_PS4_PS7_PS2_ ; -- Begin function _ZN9rocsparseL33bsr2csr_block_per_row_8_32_kernelILj1024ELj16EliiEEv20rocsparse_direction_T3_S2_21rocsparse_index_base_PKT1_PKT2_PKS2_S2_S3_PS4_PS7_PS2_
	.p2align	8
	.type	_ZN9rocsparseL33bsr2csr_block_per_row_8_32_kernelILj1024ELj16EliiEEv20rocsparse_direction_T3_S2_21rocsparse_index_base_PKT1_PKT2_PKS2_S2_S3_PS4_PS7_PS2_,@function
_ZN9rocsparseL33bsr2csr_block_per_row_8_32_kernelILj1024ELj16EliiEEv20rocsparse_direction_T3_S2_21rocsparse_index_base_PKT1_PKT2_PKS2_S2_S3_PS4_PS7_PS2_: ; @_ZN9rocsparseL33bsr2csr_block_per_row_8_32_kernelILj1024ELj16EliiEEv20rocsparse_direction_T3_S2_21rocsparse_index_base_PKT1_PKT2_PKS2_S2_S3_PS4_PS7_PS2_
; %bb.0:
	s_clause 0x1
	s_load_b64 s[2:3], s[0:1], 0x28
	s_load_b64 s[4:5], s[0:1], 0x38
	s_bfe_u32 s6, ttmp6, 0x4000c
	s_and_b32 s7, ttmp6, 15
	s_add_co_i32 s6, s6, 1
	s_getreg_b32 s8, hwreg(HW_REG_IB_STS2, 6, 4)
	s_mul_i32 s6, ttmp9, s6
	s_delay_alu instid0(SALU_CYCLE_1) | instskip(SKIP_4) | instid1(VALU_DEP_1)
	s_add_co_i32 s7, s7, s6
	s_cmp_eq_u32 s8, 0
	s_cselect_b32 s6, ttmp9, s7
	s_mov_b32 s7, exec_lo
	v_or_b32_e32 v1, s6, v0
	v_cmpx_eq_u32_e32 0, v1
	s_cbranch_execz .LBB60_2
; %bb.1:
	s_wait_kmcnt 0x0
	v_dual_mov_b32 v1, 0 :: v_dual_mov_b32 v2, s3
	global_store_b32 v1, v2, s[4:5]
.LBB60_2:
	s_wait_xcnt 0x0
	s_or_b32 exec_lo, exec_lo, s7
	v_and_b32_e32 v1, 15, v0
	v_bfe_u32 v2, v0, 4, 4
	s_mov_b32 s7, exec_lo
	s_delay_alu instid0(VALU_DEP_1) | instskip(SKIP_1) | instid1(VALU_DEP_1)
	v_max_i32_e32 v3, v2, v1
	s_wait_kmcnt 0x0
	v_cmpx_gt_i32_e64 s2, v3
	s_cbranch_execz .LBB60_6
; %bb.3:
	s_clause 0x1
	s_load_b64 s[8:9], s[0:1], 0x18
	s_load_b32 s10, s[0:1], 0xc
	s_ashr_i32 s7, s6, 31
	v_lshrrev_b32_e32 v3, 8, v0
	s_lshl_b64 s[12:13], s[6:7], 2
	v_mad_u32 v5, s2, s6, v2
	s_wait_kmcnt 0x0
	s_add_nc_u64 s[8:9], s[8:9], s[12:13]
	s_load_b64 s[12:13], s[8:9], 0x0
	s_wait_kmcnt 0x0
	s_sub_co_i32 s8, s12, s10
	s_sub_co_i32 s11, s13, s10
	s_mul_i32 s12, s2, s2
	s_sub_co_i32 s13, s11, s8
	s_mul_i32 s9, s8, s12
	s_mul_i32 s7, s13, s2
	v_add_nc_u32_e32 v0, s8, v3
	s_add_co_i32 s14, s7, s3
	s_delay_alu instid0(SALU_CYCLE_1) | instskip(NEXT) | instid1(SALU_CYCLE_1)
	s_add_co_i32 s14, s14, s9
	v_mad_u32 v4, s7, v2, s14
	s_delay_alu instid0(VALU_DEP_2)
	v_cmp_gt_i32_e32 vcc_lo, s11, v0
	global_store_b32 v5, v4, s[4:5] offset:4 scale_offset
	s_wait_xcnt 0x0
	s_and_b32 exec_lo, exec_lo, vcc_lo
	s_cbranch_execz .LBB60_6
; %bb.4:
	s_clause 0x2
	s_load_b64 s[4:5], s[0:1], 0x20
	s_load_b64 s[6:7], s[0:1], 0x30
	s_load_b32 s14, s[0:1], 0x0
	v_mad_u32 v3, s2, s8, v3
	v_mad_u32 v4, s2, v1, v2
	v_mad_u32 v5, s2, v2, v1
	s_load_b64 s[8:9], s[0:1], 0x10
	s_delay_alu instid0(VALU_DEP_3)
	v_mad_u32 v3, s13, v2, v3
	s_wait_xcnt 0x0
	s_load_b64 s[0:1], s[0:1], 0x40
	s_wait_kmcnt 0x0
	s_cmp_eq_u32 s14, 0
	s_cselect_b32 vcc_lo, -1, 0
	s_delay_alu instid0(VALU_DEP_1) | instskip(NEXT) | instid1(VALU_DEP_3)
	v_mad_u32 v3, s2, v3, v1
	v_cndmask_b32_e32 v2, v4, v5, vcc_lo
	v_add_nc_u32_e32 v1, s3, v1
	s_mov_b32 s3, 0
	s_lshl_b32 s13, s2, 2
	s_delay_alu instid0(VALU_DEP_2)
	v_mad_u32 v2, s12, v0, v2
	s_lshl_b32 s12, s12, 2
.LBB60_5:                               ; =>This Inner Loop Header: Depth=1
	global_load_b32 v6, v0, s[4:5] scale_offset
	global_load_b64 v[4:5], v2, s[8:9] scale_offset
	s_wait_xcnt 0x0
	v_dual_add_nc_u32 v0, 4, v0 :: v_dual_add_nc_u32 v2, s12, v2
	s_delay_alu instid0(VALU_DEP_1) | instskip(SKIP_3) | instid1(VALU_DEP_1)
	v_cmp_le_i32_e32 vcc_lo, s11, v0
	s_or_b32 s3, vcc_lo, s3
	s_wait_loadcnt 0x1
	v_subrev_nc_u32_e32 v6, s10, v6
	v_mad_u32 v6, v6, s2, v1
	global_store_b32 v3, v6, s[0:1] scale_offset
	s_wait_loadcnt 0x0
	global_store_b64 v3, v[4:5], s[6:7] scale_offset
	s_wait_xcnt 0x0
	v_add_nc_u32_e32 v3, s13, v3
	s_and_not1_b32 exec_lo, exec_lo, s3
	s_cbranch_execnz .LBB60_5
.LBB60_6:
	s_endpgm
	.section	.rodata,"a",@progbits
	.p2align	6, 0x0
	.amdhsa_kernel _ZN9rocsparseL33bsr2csr_block_per_row_8_32_kernelILj1024ELj16EliiEEv20rocsparse_direction_T3_S2_21rocsparse_index_base_PKT1_PKT2_PKS2_S2_S3_PS4_PS7_PS2_
		.amdhsa_group_segment_fixed_size 0
		.amdhsa_private_segment_fixed_size 0
		.amdhsa_kernarg_size 72
		.amdhsa_user_sgpr_count 2
		.amdhsa_user_sgpr_dispatch_ptr 0
		.amdhsa_user_sgpr_queue_ptr 0
		.amdhsa_user_sgpr_kernarg_segment_ptr 1
		.amdhsa_user_sgpr_dispatch_id 0
		.amdhsa_user_sgpr_kernarg_preload_length 0
		.amdhsa_user_sgpr_kernarg_preload_offset 0
		.amdhsa_user_sgpr_private_segment_size 0
		.amdhsa_wavefront_size32 1
		.amdhsa_uses_dynamic_stack 0
		.amdhsa_enable_private_segment 0
		.amdhsa_system_sgpr_workgroup_id_x 1
		.amdhsa_system_sgpr_workgroup_id_y 0
		.amdhsa_system_sgpr_workgroup_id_z 0
		.amdhsa_system_sgpr_workgroup_info 0
		.amdhsa_system_vgpr_workitem_id 0
		.amdhsa_next_free_vgpr 7
		.amdhsa_next_free_sgpr 15
		.amdhsa_named_barrier_count 0
		.amdhsa_reserve_vcc 1
		.amdhsa_float_round_mode_32 0
		.amdhsa_float_round_mode_16_64 0
		.amdhsa_float_denorm_mode_32 3
		.amdhsa_float_denorm_mode_16_64 3
		.amdhsa_fp16_overflow 0
		.amdhsa_memory_ordered 1
		.amdhsa_forward_progress 1
		.amdhsa_inst_pref_size 5
		.amdhsa_round_robin_scheduling 0
		.amdhsa_exception_fp_ieee_invalid_op 0
		.amdhsa_exception_fp_denorm_src 0
		.amdhsa_exception_fp_ieee_div_zero 0
		.amdhsa_exception_fp_ieee_overflow 0
		.amdhsa_exception_fp_ieee_underflow 0
		.amdhsa_exception_fp_ieee_inexact 0
		.amdhsa_exception_int_div_zero 0
	.end_amdhsa_kernel
	.section	.text._ZN9rocsparseL33bsr2csr_block_per_row_8_32_kernelILj1024ELj16EliiEEv20rocsparse_direction_T3_S2_21rocsparse_index_base_PKT1_PKT2_PKS2_S2_S3_PS4_PS7_PS2_,"axG",@progbits,_ZN9rocsparseL33bsr2csr_block_per_row_8_32_kernelILj1024ELj16EliiEEv20rocsparse_direction_T3_S2_21rocsparse_index_base_PKT1_PKT2_PKS2_S2_S3_PS4_PS7_PS2_,comdat
.Lfunc_end60:
	.size	_ZN9rocsparseL33bsr2csr_block_per_row_8_32_kernelILj1024ELj16EliiEEv20rocsparse_direction_T3_S2_21rocsparse_index_base_PKT1_PKT2_PKS2_S2_S3_PS4_PS7_PS2_, .Lfunc_end60-_ZN9rocsparseL33bsr2csr_block_per_row_8_32_kernelILj1024ELj16EliiEEv20rocsparse_direction_T3_S2_21rocsparse_index_base_PKT1_PKT2_PKS2_S2_S3_PS4_PS7_PS2_
                                        ; -- End function
	.set _ZN9rocsparseL33bsr2csr_block_per_row_8_32_kernelILj1024ELj16EliiEEv20rocsparse_direction_T3_S2_21rocsparse_index_base_PKT1_PKT2_PKS2_S2_S3_PS4_PS7_PS2_.num_vgpr, 7
	.set _ZN9rocsparseL33bsr2csr_block_per_row_8_32_kernelILj1024ELj16EliiEEv20rocsparse_direction_T3_S2_21rocsparse_index_base_PKT1_PKT2_PKS2_S2_S3_PS4_PS7_PS2_.num_agpr, 0
	.set _ZN9rocsparseL33bsr2csr_block_per_row_8_32_kernelILj1024ELj16EliiEEv20rocsparse_direction_T3_S2_21rocsparse_index_base_PKT1_PKT2_PKS2_S2_S3_PS4_PS7_PS2_.numbered_sgpr, 15
	.set _ZN9rocsparseL33bsr2csr_block_per_row_8_32_kernelILj1024ELj16EliiEEv20rocsparse_direction_T3_S2_21rocsparse_index_base_PKT1_PKT2_PKS2_S2_S3_PS4_PS7_PS2_.num_named_barrier, 0
	.set _ZN9rocsparseL33bsr2csr_block_per_row_8_32_kernelILj1024ELj16EliiEEv20rocsparse_direction_T3_S2_21rocsparse_index_base_PKT1_PKT2_PKS2_S2_S3_PS4_PS7_PS2_.private_seg_size, 0
	.set _ZN9rocsparseL33bsr2csr_block_per_row_8_32_kernelILj1024ELj16EliiEEv20rocsparse_direction_T3_S2_21rocsparse_index_base_PKT1_PKT2_PKS2_S2_S3_PS4_PS7_PS2_.uses_vcc, 1
	.set _ZN9rocsparseL33bsr2csr_block_per_row_8_32_kernelILj1024ELj16EliiEEv20rocsparse_direction_T3_S2_21rocsparse_index_base_PKT1_PKT2_PKS2_S2_S3_PS4_PS7_PS2_.uses_flat_scratch, 0
	.set _ZN9rocsparseL33bsr2csr_block_per_row_8_32_kernelILj1024ELj16EliiEEv20rocsparse_direction_T3_S2_21rocsparse_index_base_PKT1_PKT2_PKS2_S2_S3_PS4_PS7_PS2_.has_dyn_sized_stack, 0
	.set _ZN9rocsparseL33bsr2csr_block_per_row_8_32_kernelILj1024ELj16EliiEEv20rocsparse_direction_T3_S2_21rocsparse_index_base_PKT1_PKT2_PKS2_S2_S3_PS4_PS7_PS2_.has_recursion, 0
	.set _ZN9rocsparseL33bsr2csr_block_per_row_8_32_kernelILj1024ELj16EliiEEv20rocsparse_direction_T3_S2_21rocsparse_index_base_PKT1_PKT2_PKS2_S2_S3_PS4_PS7_PS2_.has_indirect_call, 0
	.section	.AMDGPU.csdata,"",@progbits
; Kernel info:
; codeLenInByte = 544
; TotalNumSgprs: 17
; NumVgprs: 7
; ScratchSize: 0
; MemoryBound: 0
; FloatMode: 240
; IeeeMode: 1
; LDSByteSize: 0 bytes/workgroup (compile time only)
; SGPRBlocks: 0
; VGPRBlocks: 0
; NumSGPRsForWavesPerEU: 17
; NumVGPRsForWavesPerEU: 7
; NamedBarCnt: 0
; Occupancy: 16
; WaveLimiterHint : 0
; COMPUTE_PGM_RSRC2:SCRATCH_EN: 0
; COMPUTE_PGM_RSRC2:USER_SGPR: 2
; COMPUTE_PGM_RSRC2:TRAP_HANDLER: 0
; COMPUTE_PGM_RSRC2:TGID_X_EN: 1
; COMPUTE_PGM_RSRC2:TGID_Y_EN: 0
; COMPUTE_PGM_RSRC2:TGID_Z_EN: 0
; COMPUTE_PGM_RSRC2:TIDIG_COMP_CNT: 0
	.section	.text._ZN9rocsparseL33bsr2csr_block_per_row_8_32_kernelILj1024ELj32EliiEEv20rocsparse_direction_T3_S2_21rocsparse_index_base_PKT1_PKT2_PKS2_S2_S3_PS4_PS7_PS2_,"axG",@progbits,_ZN9rocsparseL33bsr2csr_block_per_row_8_32_kernelILj1024ELj32EliiEEv20rocsparse_direction_T3_S2_21rocsparse_index_base_PKT1_PKT2_PKS2_S2_S3_PS4_PS7_PS2_,comdat
	.globl	_ZN9rocsparseL33bsr2csr_block_per_row_8_32_kernelILj1024ELj32EliiEEv20rocsparse_direction_T3_S2_21rocsparse_index_base_PKT1_PKT2_PKS2_S2_S3_PS4_PS7_PS2_ ; -- Begin function _ZN9rocsparseL33bsr2csr_block_per_row_8_32_kernelILj1024ELj32EliiEEv20rocsparse_direction_T3_S2_21rocsparse_index_base_PKT1_PKT2_PKS2_S2_S3_PS4_PS7_PS2_
	.p2align	8
	.type	_ZN9rocsparseL33bsr2csr_block_per_row_8_32_kernelILj1024ELj32EliiEEv20rocsparse_direction_T3_S2_21rocsparse_index_base_PKT1_PKT2_PKS2_S2_S3_PS4_PS7_PS2_,@function
_ZN9rocsparseL33bsr2csr_block_per_row_8_32_kernelILj1024ELj32EliiEEv20rocsparse_direction_T3_S2_21rocsparse_index_base_PKT1_PKT2_PKS2_S2_S3_PS4_PS7_PS2_: ; @_ZN9rocsparseL33bsr2csr_block_per_row_8_32_kernelILj1024ELj32EliiEEv20rocsparse_direction_T3_S2_21rocsparse_index_base_PKT1_PKT2_PKS2_S2_S3_PS4_PS7_PS2_
; %bb.0:
	s_clause 0x1
	s_load_b64 s[2:3], s[0:1], 0x28
	s_load_b64 s[6:7], s[0:1], 0x38
	s_bfe_u32 s4, ttmp6, 0x4000c
	s_and_b32 s5, ttmp6, 15
	s_add_co_i32 s4, s4, 1
	s_getreg_b32 s8, hwreg(HW_REG_IB_STS2, 6, 4)
	s_mul_i32 s4, ttmp9, s4
	s_delay_alu instid0(SALU_CYCLE_1) | instskip(SKIP_3) | instid1(SALU_CYCLE_1)
	s_add_co_i32 s5, s5, s4
	s_cmp_eq_u32 s8, 0
	s_mov_b32 s4, exec_lo
	s_cselect_b32 s8, ttmp9, s5
	v_or_b32_e32 v1, s8, v0
	s_delay_alu instid0(VALU_DEP_1)
	v_cmpx_eq_u32_e32 0, v1
	s_cbranch_execz .LBB61_2
; %bb.1:
	s_wait_kmcnt 0x0
	v_dual_mov_b32 v1, 0 :: v_dual_mov_b32 v2, s3
	global_store_b32 v1, v2, s[6:7]
.LBB61_2:
	s_wait_xcnt 0x0
	s_or_b32 exec_lo, exec_lo, s4
	v_dual_lshrrev_b32 v0, 5, v0 :: v_dual_bitop2_b32 v1, 31, v0 bitop3:0x40
	s_mov_b32 s4, exec_lo
	s_delay_alu instid0(VALU_DEP_1) | instskip(SKIP_1) | instid1(VALU_DEP_1)
	v_max_i32_e32 v2, v0, v1
	s_wait_kmcnt 0x0
	v_cmpx_gt_i32_e64 s2, v2
	s_cbranch_execz .LBB61_6
; %bb.3:
	s_clause 0x1
	s_load_b64 s[4:5], s[0:1], 0x18
	s_load_b32 s12, s[0:1], 0xc
	s_ashr_i32 s9, s8, 31
	s_mul_i32 s14, s2, s2
	s_lshl_b64 s[10:11], s[8:9], 2
	v_mad_u32 v3, s2, s8, v0
	s_wait_kmcnt 0x0
	s_add_nc_u64 s[4:5], s[4:5], s[10:11]
	s_load_b64 s[16:17], s[4:5], 0x0
	s_wait_kmcnt 0x0
	s_sub_co_i32 s4, s16, s12
	s_sub_co_i32 s13, s17, s12
	s_mul_i32 s10, s4, s14
	s_sub_co_i32 s5, s13, s4
	s_delay_alu instid0(SALU_CYCLE_1) | instskip(NEXT) | instid1(SALU_CYCLE_1)
	s_mul_i32 s9, s5, s2
	s_add_co_i32 s11, s9, s3
	s_delay_alu instid0(SALU_CYCLE_1)
	s_add_co_i32 s11, s11, s10
	s_cmp_ge_i32 s16, s17
	v_mad_u32 v2, s9, v0, s11
	global_store_b32 v3, v2, s[6:7] offset:4 scale_offset
	s_cbranch_scc1 .LBB61_6
; %bb.4:
	s_wait_xcnt 0x0
	v_mul_lo_u32 v2, v0, s5
	s_clause 0x3
	s_load_b64 s[16:17], s[0:1], 0x20
	s_load_b32 s5, s[0:1], 0x0
	s_load_b64 s[6:7], s[0:1], 0x10
	s_load_b64 s[8:9], s[0:1], 0x30
	v_mad_u32 v3, s2, v1, v0
	v_mad_u32 v4, s2, v0, v1
	s_wait_xcnt 0x0
	s_load_b64 s[0:1], s[0:1], 0x40
	s_delay_alu instid0(VALU_DEP_3) | instskip(SKIP_3) | instid1(VALU_DEP_1)
	v_mad_u32 v2, s2, s4, v2
	s_wait_kmcnt 0x0
	s_cmp_eq_u32 s5, 0
	s_cselect_b32 vcc_lo, -1, 0
	v_mad_u32 v0, s2, v2, v1
	s_delay_alu instid0(VALU_DEP_3) | instskip(SKIP_1) | instid1(VALU_DEP_1)
	v_dual_cndmask_b32 v2, v3, v4 :: v_dual_add_nc_u32 v1, s3, v1
	s_ashr_i32 s5, s4, 31
	v_add_nc_u32_e32 v2, s10, v2
	s_lshl_b64 s[10:11], s[4:5], 2
	s_delay_alu instid0(SALU_CYCLE_1)
	s_add_nc_u64 s[10:11], s[16:17], s[10:11]
.LBB61_5:                               ; =>This Inner Loop Header: Depth=1
	global_load_b64 v[4:5], v2, s[6:7] scale_offset
	s_load_b32 s3, s[10:11], 0x0
	v_add_nc_u32_e32 v2, s14, v2
	s_add_co_i32 s4, s4, 1
	s_wait_xcnt 0x0
	s_add_nc_u64 s[10:11], s[10:11], 4
	s_wait_kmcnt 0x0
	s_sub_co_i32 s3, s3, s12
	s_cmp_lt_i32 s4, s13
	v_mad_u32 v3, s3, s2, v1
	global_store_b32 v0, v3, s[0:1] scale_offset
	s_wait_loadcnt 0x0
	global_store_b64 v0, v[4:5], s[8:9] scale_offset
	s_wait_xcnt 0x0
	v_add_nc_u32_e32 v0, s2, v0
	s_cbranch_scc1 .LBB61_5
.LBB61_6:
	s_endpgm
	.section	.rodata,"a",@progbits
	.p2align	6, 0x0
	.amdhsa_kernel _ZN9rocsparseL33bsr2csr_block_per_row_8_32_kernelILj1024ELj32EliiEEv20rocsparse_direction_T3_S2_21rocsparse_index_base_PKT1_PKT2_PKS2_S2_S3_PS4_PS7_PS2_
		.amdhsa_group_segment_fixed_size 0
		.amdhsa_private_segment_fixed_size 0
		.amdhsa_kernarg_size 72
		.amdhsa_user_sgpr_count 2
		.amdhsa_user_sgpr_dispatch_ptr 0
		.amdhsa_user_sgpr_queue_ptr 0
		.amdhsa_user_sgpr_kernarg_segment_ptr 1
		.amdhsa_user_sgpr_dispatch_id 0
		.amdhsa_user_sgpr_kernarg_preload_length 0
		.amdhsa_user_sgpr_kernarg_preload_offset 0
		.amdhsa_user_sgpr_private_segment_size 0
		.amdhsa_wavefront_size32 1
		.amdhsa_uses_dynamic_stack 0
		.amdhsa_enable_private_segment 0
		.amdhsa_system_sgpr_workgroup_id_x 1
		.amdhsa_system_sgpr_workgroup_id_y 0
		.amdhsa_system_sgpr_workgroup_id_z 0
		.amdhsa_system_sgpr_workgroup_info 0
		.amdhsa_system_vgpr_workitem_id 0
		.amdhsa_next_free_vgpr 6
		.amdhsa_next_free_sgpr 18
		.amdhsa_named_barrier_count 0
		.amdhsa_reserve_vcc 1
		.amdhsa_float_round_mode_32 0
		.amdhsa_float_round_mode_16_64 0
		.amdhsa_float_denorm_mode_32 3
		.amdhsa_float_denorm_mode_16_64 3
		.amdhsa_fp16_overflow 0
		.amdhsa_memory_ordered 1
		.amdhsa_forward_progress 1
		.amdhsa_inst_pref_size 5
		.amdhsa_round_robin_scheduling 0
		.amdhsa_exception_fp_ieee_invalid_op 0
		.amdhsa_exception_fp_denorm_src 0
		.amdhsa_exception_fp_ieee_div_zero 0
		.amdhsa_exception_fp_ieee_overflow 0
		.amdhsa_exception_fp_ieee_underflow 0
		.amdhsa_exception_fp_ieee_inexact 0
		.amdhsa_exception_int_div_zero 0
	.end_amdhsa_kernel
	.section	.text._ZN9rocsparseL33bsr2csr_block_per_row_8_32_kernelILj1024ELj32EliiEEv20rocsparse_direction_T3_S2_21rocsparse_index_base_PKT1_PKT2_PKS2_S2_S3_PS4_PS7_PS2_,"axG",@progbits,_ZN9rocsparseL33bsr2csr_block_per_row_8_32_kernelILj1024ELj32EliiEEv20rocsparse_direction_T3_S2_21rocsparse_index_base_PKT1_PKT2_PKS2_S2_S3_PS4_PS7_PS2_,comdat
.Lfunc_end61:
	.size	_ZN9rocsparseL33bsr2csr_block_per_row_8_32_kernelILj1024ELj32EliiEEv20rocsparse_direction_T3_S2_21rocsparse_index_base_PKT1_PKT2_PKS2_S2_S3_PS4_PS7_PS2_, .Lfunc_end61-_ZN9rocsparseL33bsr2csr_block_per_row_8_32_kernelILj1024ELj32EliiEEv20rocsparse_direction_T3_S2_21rocsparse_index_base_PKT1_PKT2_PKS2_S2_S3_PS4_PS7_PS2_
                                        ; -- End function
	.set _ZN9rocsparseL33bsr2csr_block_per_row_8_32_kernelILj1024ELj32EliiEEv20rocsparse_direction_T3_S2_21rocsparse_index_base_PKT1_PKT2_PKS2_S2_S3_PS4_PS7_PS2_.num_vgpr, 6
	.set _ZN9rocsparseL33bsr2csr_block_per_row_8_32_kernelILj1024ELj32EliiEEv20rocsparse_direction_T3_S2_21rocsparse_index_base_PKT1_PKT2_PKS2_S2_S3_PS4_PS7_PS2_.num_agpr, 0
	.set _ZN9rocsparseL33bsr2csr_block_per_row_8_32_kernelILj1024ELj32EliiEEv20rocsparse_direction_T3_S2_21rocsparse_index_base_PKT1_PKT2_PKS2_S2_S3_PS4_PS7_PS2_.numbered_sgpr, 18
	.set _ZN9rocsparseL33bsr2csr_block_per_row_8_32_kernelILj1024ELj32EliiEEv20rocsparse_direction_T3_S2_21rocsparse_index_base_PKT1_PKT2_PKS2_S2_S3_PS4_PS7_PS2_.num_named_barrier, 0
	.set _ZN9rocsparseL33bsr2csr_block_per_row_8_32_kernelILj1024ELj32EliiEEv20rocsparse_direction_T3_S2_21rocsparse_index_base_PKT1_PKT2_PKS2_S2_S3_PS4_PS7_PS2_.private_seg_size, 0
	.set _ZN9rocsparseL33bsr2csr_block_per_row_8_32_kernelILj1024ELj32EliiEEv20rocsparse_direction_T3_S2_21rocsparse_index_base_PKT1_PKT2_PKS2_S2_S3_PS4_PS7_PS2_.uses_vcc, 1
	.set _ZN9rocsparseL33bsr2csr_block_per_row_8_32_kernelILj1024ELj32EliiEEv20rocsparse_direction_T3_S2_21rocsparse_index_base_PKT1_PKT2_PKS2_S2_S3_PS4_PS7_PS2_.uses_flat_scratch, 0
	.set _ZN9rocsparseL33bsr2csr_block_per_row_8_32_kernelILj1024ELj32EliiEEv20rocsparse_direction_T3_S2_21rocsparse_index_base_PKT1_PKT2_PKS2_S2_S3_PS4_PS7_PS2_.has_dyn_sized_stack, 0
	.set _ZN9rocsparseL33bsr2csr_block_per_row_8_32_kernelILj1024ELj32EliiEEv20rocsparse_direction_T3_S2_21rocsparse_index_base_PKT1_PKT2_PKS2_S2_S3_PS4_PS7_PS2_.has_recursion, 0
	.set _ZN9rocsparseL33bsr2csr_block_per_row_8_32_kernelILj1024ELj32EliiEEv20rocsparse_direction_T3_S2_21rocsparse_index_base_PKT1_PKT2_PKS2_S2_S3_PS4_PS7_PS2_.has_indirect_call, 0
	.section	.AMDGPU.csdata,"",@progbits
; Kernel info:
; codeLenInByte = 516
; TotalNumSgprs: 20
; NumVgprs: 6
; ScratchSize: 0
; MemoryBound: 0
; FloatMode: 240
; IeeeMode: 1
; LDSByteSize: 0 bytes/workgroup (compile time only)
; SGPRBlocks: 0
; VGPRBlocks: 0
; NumSGPRsForWavesPerEU: 20
; NumVGPRsForWavesPerEU: 6
; NamedBarCnt: 0
; Occupancy: 16
; WaveLimiterHint : 0
; COMPUTE_PGM_RSRC2:SCRATCH_EN: 0
; COMPUTE_PGM_RSRC2:USER_SGPR: 2
; COMPUTE_PGM_RSRC2:TRAP_HANDLER: 0
; COMPUTE_PGM_RSRC2:TGID_X_EN: 1
; COMPUTE_PGM_RSRC2:TGID_Y_EN: 0
; COMPUTE_PGM_RSRC2:TGID_Z_EN: 0
; COMPUTE_PGM_RSRC2:TIDIG_COMP_CNT: 0
	.section	.text._ZN9rocsparseL35bsr2csr_block_per_row_33_256_kernelILj1024ELj64ELj32EliiEEv20rocsparse_direction_T4_S2_21rocsparse_index_base_PKT2_PKT3_PKS2_S2_S3_PS4_PS7_PS2_,"axG",@progbits,_ZN9rocsparseL35bsr2csr_block_per_row_33_256_kernelILj1024ELj64ELj32EliiEEv20rocsparse_direction_T4_S2_21rocsparse_index_base_PKT2_PKT3_PKS2_S2_S3_PS4_PS7_PS2_,comdat
	.globl	_ZN9rocsparseL35bsr2csr_block_per_row_33_256_kernelILj1024ELj64ELj32EliiEEv20rocsparse_direction_T4_S2_21rocsparse_index_base_PKT2_PKT3_PKS2_S2_S3_PS4_PS7_PS2_ ; -- Begin function _ZN9rocsparseL35bsr2csr_block_per_row_33_256_kernelILj1024ELj64ELj32EliiEEv20rocsparse_direction_T4_S2_21rocsparse_index_base_PKT2_PKT3_PKS2_S2_S3_PS4_PS7_PS2_
	.p2align	8
	.type	_ZN9rocsparseL35bsr2csr_block_per_row_33_256_kernelILj1024ELj64ELj32EliiEEv20rocsparse_direction_T4_S2_21rocsparse_index_base_PKT2_PKT3_PKS2_S2_S3_PS4_PS7_PS2_,@function
_ZN9rocsparseL35bsr2csr_block_per_row_33_256_kernelILj1024ELj64ELj32EliiEEv20rocsparse_direction_T4_S2_21rocsparse_index_base_PKT2_PKT3_PKS2_S2_S3_PS4_PS7_PS2_: ; @_ZN9rocsparseL35bsr2csr_block_per_row_33_256_kernelILj1024ELj64ELj32EliiEEv20rocsparse_direction_T4_S2_21rocsparse_index_base_PKT2_PKT3_PKS2_S2_S3_PS4_PS7_PS2_
; %bb.0:
	s_load_b64 s[2:3], s[0:1], 0x18
	s_bfe_u32 s4, ttmp6, 0x4000c
	s_and_b32 s5, ttmp6, 15
	s_add_co_i32 s4, s4, 1
	s_getreg_b32 s6, hwreg(HW_REG_IB_STS2, 6, 4)
	s_mul_i32 s4, ttmp9, s4
	s_delay_alu instid0(SALU_CYCLE_1)
	s_add_co_i32 s5, s5, s4
	s_cmp_eq_u32 s6, 0
	s_cselect_b32 s10, ttmp9, s5
	s_clause 0x1
	s_load_b64 s[4:5], s[0:1], 0x28
	s_load_b64 s[8:9], s[0:1], 0x38
	s_ashr_i32 s11, s10, 31
	v_or_b32_e32 v1, s10, v0
	s_lshl_b64 s[6:7], s[10:11], 2
	s_wait_kmcnt 0x0
	s_add_nc_u64 s[2:3], s[2:3], s[6:7]
	s_load_b64 s[14:15], s[2:3], 0x0
	s_wait_xcnt 0x0
	s_mov_b32 s2, exec_lo
	v_cmpx_eq_u32_e32 0, v1
	s_cbranch_execz .LBB62_2
; %bb.1:
	v_dual_mov_b32 v1, 0 :: v_dual_mov_b32 v2, s5
	global_store_b32 v1, v2, s[8:9]
.LBB62_2:
	s_wait_xcnt 0x0
	s_or_b32 exec_lo, exec_lo, s2
	s_load_b32 s16, s[0:1], 0xc
	v_lshrrev_b32_e32 v2, 5, v0
	s_mul_i32 s10, s4, s10
	s_delay_alu instid0(VALU_DEP_1)
	v_cmp_gt_i32_e64 s2, s4, v2
	s_wait_kmcnt 0x0
	s_sub_co_i32 s6, s14, s16
	s_sub_co_i32 s17, s15, s16
	s_mul_i32 s7, s4, s6
	s_sub_co_i32 s12, s17, s6
	s_mul_i32 s3, s7, s4
	s_mul_i32 s13, s12, s4
	s_add_co_i32 s18, s3, s5
	s_delay_alu instid0(SALU_CYCLE_1)
	s_add_co_i32 s18, s18, s13
	s_and_saveexec_b32 s3, s2
	s_cbranch_execz .LBB62_4
; %bb.3:
	v_mad_u32 v1, v2, s13, s18
	v_add_nc_u32_e32 v3, s10, v2
	global_store_b32 v3, v1, s[8:9] offset:4 scale_offset
.LBB62_4:
	s_wait_xcnt 0x0
	s_or_b32 exec_lo, exec_lo, s3
	v_or_b32_e32 v1, 32, v2
	s_delay_alu instid0(VALU_DEP_1)
	v_cmp_gt_i32_e64 s3, s4, v1
	s_and_saveexec_b32 s19, s3
	s_cbranch_execz .LBB62_6
; %bb.5:
	v_mov_b32_e32 v3, 0
	s_ashr_i32 s11, s10, 31
	v_mad_u32 v1, v1, s13, s18
	s_delay_alu instid0(VALU_DEP_2) | instskip(NEXT) | instid1(VALU_DEP_1)
	v_add_nc_u64_e32 v[4:5], s[10:11], v[2:3]
	v_lshl_add_u64 v[4:5], v[4:5], 2, s[8:9]
	global_store_b32 v[4:5], v1, off offset:132
.LBB62_6:
	s_wait_xcnt 0x0
	s_or_b32 exec_lo, exec_lo, s19
	s_cmp_lt_i32 s14, s15
	s_cbranch_scc0 .LBB62_17
; %bb.7:
	s_clause 0x1
	s_load_b64 s[20:21], s[0:1], 0x20
	s_load_b32 s18, s[0:1], 0x0
	v_mad_u32 v8, v2, s12, s7
	v_dual_add_nc_u32 v3, s7, v2 :: v_dual_bitop2_b32 v0, 31, v0 bitop3:0x40
	s_clause 0x2
	s_load_b64 s[8:9], s[0:1], 0x10
	s_load_b64 s[10:11], s[0:1], 0x30
	;; [unrolled: 1-line block ×3, first 2 shown]
	v_dual_add_nc_u32 v5, s7, v0 :: v_dual_bitop2_b32 v1, 32, v0 bitop3:0x54
	v_add_nc_u32_e32 v4, 32, v3
	v_mul_lo_u32 v3, s4, v3
	s_wait_xcnt 0x0
	v_cmp_gt_i32_e64 s0, s4, v0
	v_lshl_add_u32 v6, s15, 5, v8
	v_add_nc_u32_e32 v7, 32, v5
	v_mul_lo_u32 v4, s4, v4
	v_mul_lo_u32 v5, s4, v5
	;; [unrolled: 1-line block ×3, first 2 shown]
	s_wait_kmcnt 0x0
	s_cmp_eq_u32 s18, 0
	s_cselect_b32 vcc_lo, -1, 0
	s_lshl_b32 s1, s14, 5
	s_ashr_i32 s7, s6, 31
	v_subrev_nc_u32_e32 v9, s1, v6
	v_mul_lo_u32 v6, s4, v7
	v_cmp_gt_i32_e64 s1, s4, v1
	s_lshl_b64 s[22:23], s[6:7], 2
	s_mul_i32 s14, s4, s4
	v_mul_lo_u32 v7, s4, v9
	s_and_b32 s15, s2, s0
	s_and_b32 s2, s2, s1
	;; [unrolled: 1-line block ×4, first 2 shown]
	s_add_nc_u64 s[0:1], s[20:21], s[22:23]
	s_branch .LBB62_9
.LBB62_8:                               ;   in Loop: Header=BB62_9 Depth=1
	s_wait_xcnt 0x0
	s_or_b32 exec_lo, exec_lo, s7
	v_dual_add_nc_u32 v4, s14, v4 :: v_dual_add_nc_u32 v3, s14, v3
	v_dual_add_nc_u32 v2, s14, v2 :: v_dual_add_nc_u32 v7, s4, v7
	v_add_nc_u32_e32 v8, s4, v8
	s_add_co_i32 s6, s6, 1
	s_add_nc_u64 s[0:1], s[0:1], 4
	s_cmp_ge_i32 s6, s17
	s_cbranch_scc1 .LBB62_17
.LBB62_9:                               ; =>This Inner Loop Header: Depth=1
	s_load_b32 s7, s[0:1], 0x0
	s_wait_kmcnt 0x0
	s_sub_co_i32 s7, s7, s16
	s_delay_alu instid0(SALU_CYCLE_1) | instskip(NEXT) | instid1(SALU_CYCLE_1)
	s_mul_i32 s7, s7, s4
	s_add_co_i32 s7, s7, s5
	s_delay_alu instid0(SALU_CYCLE_1)
	v_add_nc_u32_e32 v9, s7, v0
	s_and_saveexec_b32 s19, s15
	s_cbranch_execz .LBB62_11
; %bb.10:                               ;   in Loop: Header=BB62_9 Depth=1
	v_dual_add_nc_u32 v10, v0, v3 :: v_dual_add_nc_u32 v11, v5, v2
	s_delay_alu instid0(VALU_DEP_1)
	v_dual_add_nc_u32 v12, v0, v8 :: v_dual_cndmask_b32 v10, v11, v10, vcc_lo
	global_load_b64 v[10:11], v10, s[8:9] scale_offset
	global_store_b32 v12, v9, s[12:13] scale_offset
	s_wait_loadcnt 0x0
	global_store_b64 v12, v[10:11], s[10:11] scale_offset
.LBB62_11:                              ;   in Loop: Header=BB62_9 Depth=1
	s_wait_xcnt 0x0
	s_or_b32 exec_lo, exec_lo, s19
	v_dual_add_nc_u32 v10, s7, v1 :: v_dual_add_nc_u32 v11, v6, v2
	s_and_saveexec_b32 s7, s2
	s_cbranch_execnz .LBB62_14
; %bb.12:                               ;   in Loop: Header=BB62_9 Depth=1
	s_or_b32 exec_lo, exec_lo, s7
	v_add_nc_u32_e32 v12, v0, v4
	s_and_saveexec_b32 s7, s18
	s_cbranch_execnz .LBB62_15
.LBB62_13:                              ;   in Loop: Header=BB62_9 Depth=1
	s_or_b32 exec_lo, exec_lo, s7
	s_and_saveexec_b32 s7, s3
	s_cbranch_execz .LBB62_8
	s_branch .LBB62_16
.LBB62_14:                              ;   in Loop: Header=BB62_9 Depth=1
	v_add3_u32 v12, v0, v3, 32
	v_add3_u32 v14, v0, v8, 32
	s_delay_alu instid0(VALU_DEP_2)
	v_cndmask_b32_e32 v12, v11, v12, vcc_lo
	global_load_b64 v[12:13], v12, s[8:9] scale_offset
	global_store_b32 v14, v10, s[12:13] scale_offset
	s_wait_loadcnt 0x0
	global_store_b64 v14, v[12:13], s[10:11] scale_offset
	s_wait_xcnt 0x0
	s_or_b32 exec_lo, exec_lo, s7
	v_add_nc_u32_e32 v12, v0, v4
	s_and_saveexec_b32 s7, s18
	s_cbranch_execz .LBB62_13
.LBB62_15:                              ;   in Loop: Header=BB62_9 Depth=1
	v_add3_u32 v13, v5, v2, 32
	s_delay_alu instid0(VALU_DEP_1)
	v_cndmask_b32_e32 v13, v13, v12, vcc_lo
	global_load_b64 v[14:15], v13, s[8:9] scale_offset
	s_wait_xcnt 0x0
	v_add_nc_u32_e32 v13, v0, v7
	global_store_b32 v13, v9, s[12:13] scale_offset
	s_wait_loadcnt 0x0
	global_store_b64 v13, v[14:15], s[10:11] scale_offset
	s_wait_xcnt 0x0
	s_or_b32 exec_lo, exec_lo, s7
	s_and_saveexec_b32 s7, s3
	s_cbranch_execz .LBB62_8
.LBB62_16:                              ;   in Loop: Header=BB62_9 Depth=1
	v_cndmask_b32_e32 v9, v11, v12, vcc_lo
	s_delay_alu instid0(VALU_DEP_1)
	v_add_nc_u32_e32 v9, 32, v9
	global_load_b64 v[12:13], v9, s[8:9] scale_offset
	s_wait_xcnt 0x0
	v_add3_u32 v9, v0, v7, 32
	global_store_b32 v9, v10, s[12:13] scale_offset
	s_wait_loadcnt 0x0
	global_store_b64 v9, v[12:13], s[10:11] scale_offset
	s_branch .LBB62_8
.LBB62_17:
	s_endpgm
	.section	.rodata,"a",@progbits
	.p2align	6, 0x0
	.amdhsa_kernel _ZN9rocsparseL35bsr2csr_block_per_row_33_256_kernelILj1024ELj64ELj32EliiEEv20rocsparse_direction_T4_S2_21rocsparse_index_base_PKT2_PKT3_PKS2_S2_S3_PS4_PS7_PS2_
		.amdhsa_group_segment_fixed_size 0
		.amdhsa_private_segment_fixed_size 0
		.amdhsa_kernarg_size 72
		.amdhsa_user_sgpr_count 2
		.amdhsa_user_sgpr_dispatch_ptr 0
		.amdhsa_user_sgpr_queue_ptr 0
		.amdhsa_user_sgpr_kernarg_segment_ptr 1
		.amdhsa_user_sgpr_dispatch_id 0
		.amdhsa_user_sgpr_kernarg_preload_length 0
		.amdhsa_user_sgpr_kernarg_preload_offset 0
		.amdhsa_user_sgpr_private_segment_size 0
		.amdhsa_wavefront_size32 1
		.amdhsa_uses_dynamic_stack 0
		.amdhsa_enable_private_segment 0
		.amdhsa_system_sgpr_workgroup_id_x 1
		.amdhsa_system_sgpr_workgroup_id_y 0
		.amdhsa_system_sgpr_workgroup_id_z 0
		.amdhsa_system_sgpr_workgroup_info 0
		.amdhsa_system_vgpr_workitem_id 0
		.amdhsa_next_free_vgpr 16
		.amdhsa_next_free_sgpr 24
		.amdhsa_named_barrier_count 0
		.amdhsa_reserve_vcc 1
		.amdhsa_float_round_mode_32 0
		.amdhsa_float_round_mode_16_64 0
		.amdhsa_float_denorm_mode_32 3
		.amdhsa_float_denorm_mode_16_64 3
		.amdhsa_fp16_overflow 0
		.amdhsa_memory_ordered 1
		.amdhsa_forward_progress 1
		.amdhsa_inst_pref_size 8
		.amdhsa_round_robin_scheduling 0
		.amdhsa_exception_fp_ieee_invalid_op 0
		.amdhsa_exception_fp_denorm_src 0
		.amdhsa_exception_fp_ieee_div_zero 0
		.amdhsa_exception_fp_ieee_overflow 0
		.amdhsa_exception_fp_ieee_underflow 0
		.amdhsa_exception_fp_ieee_inexact 0
		.amdhsa_exception_int_div_zero 0
	.end_amdhsa_kernel
	.section	.text._ZN9rocsparseL35bsr2csr_block_per_row_33_256_kernelILj1024ELj64ELj32EliiEEv20rocsparse_direction_T4_S2_21rocsparse_index_base_PKT2_PKT3_PKS2_S2_S3_PS4_PS7_PS2_,"axG",@progbits,_ZN9rocsparseL35bsr2csr_block_per_row_33_256_kernelILj1024ELj64ELj32EliiEEv20rocsparse_direction_T4_S2_21rocsparse_index_base_PKT2_PKT3_PKS2_S2_S3_PS4_PS7_PS2_,comdat
.Lfunc_end62:
	.size	_ZN9rocsparseL35bsr2csr_block_per_row_33_256_kernelILj1024ELj64ELj32EliiEEv20rocsparse_direction_T4_S2_21rocsparse_index_base_PKT2_PKT3_PKS2_S2_S3_PS4_PS7_PS2_, .Lfunc_end62-_ZN9rocsparseL35bsr2csr_block_per_row_33_256_kernelILj1024ELj64ELj32EliiEEv20rocsparse_direction_T4_S2_21rocsparse_index_base_PKT2_PKT3_PKS2_S2_S3_PS4_PS7_PS2_
                                        ; -- End function
	.set _ZN9rocsparseL35bsr2csr_block_per_row_33_256_kernelILj1024ELj64ELj32EliiEEv20rocsparse_direction_T4_S2_21rocsparse_index_base_PKT2_PKT3_PKS2_S2_S3_PS4_PS7_PS2_.num_vgpr, 16
	.set _ZN9rocsparseL35bsr2csr_block_per_row_33_256_kernelILj1024ELj64ELj32EliiEEv20rocsparse_direction_T4_S2_21rocsparse_index_base_PKT2_PKT3_PKS2_S2_S3_PS4_PS7_PS2_.num_agpr, 0
	.set _ZN9rocsparseL35bsr2csr_block_per_row_33_256_kernelILj1024ELj64ELj32EliiEEv20rocsparse_direction_T4_S2_21rocsparse_index_base_PKT2_PKT3_PKS2_S2_S3_PS4_PS7_PS2_.numbered_sgpr, 24
	.set _ZN9rocsparseL35bsr2csr_block_per_row_33_256_kernelILj1024ELj64ELj32EliiEEv20rocsparse_direction_T4_S2_21rocsparse_index_base_PKT2_PKT3_PKS2_S2_S3_PS4_PS7_PS2_.num_named_barrier, 0
	.set _ZN9rocsparseL35bsr2csr_block_per_row_33_256_kernelILj1024ELj64ELj32EliiEEv20rocsparse_direction_T4_S2_21rocsparse_index_base_PKT2_PKT3_PKS2_S2_S3_PS4_PS7_PS2_.private_seg_size, 0
	.set _ZN9rocsparseL35bsr2csr_block_per_row_33_256_kernelILj1024ELj64ELj32EliiEEv20rocsparse_direction_T4_S2_21rocsparse_index_base_PKT2_PKT3_PKS2_S2_S3_PS4_PS7_PS2_.uses_vcc, 1
	.set _ZN9rocsparseL35bsr2csr_block_per_row_33_256_kernelILj1024ELj64ELj32EliiEEv20rocsparse_direction_T4_S2_21rocsparse_index_base_PKT2_PKT3_PKS2_S2_S3_PS4_PS7_PS2_.uses_flat_scratch, 0
	.set _ZN9rocsparseL35bsr2csr_block_per_row_33_256_kernelILj1024ELj64ELj32EliiEEv20rocsparse_direction_T4_S2_21rocsparse_index_base_PKT2_PKT3_PKS2_S2_S3_PS4_PS7_PS2_.has_dyn_sized_stack, 0
	.set _ZN9rocsparseL35bsr2csr_block_per_row_33_256_kernelILj1024ELj64ELj32EliiEEv20rocsparse_direction_T4_S2_21rocsparse_index_base_PKT2_PKT3_PKS2_S2_S3_PS4_PS7_PS2_.has_recursion, 0
	.set _ZN9rocsparseL35bsr2csr_block_per_row_33_256_kernelILj1024ELj64ELj32EliiEEv20rocsparse_direction_T4_S2_21rocsparse_index_base_PKT2_PKT3_PKS2_S2_S3_PS4_PS7_PS2_.has_indirect_call, 0
	.section	.AMDGPU.csdata,"",@progbits
; Kernel info:
; codeLenInByte = 1012
; TotalNumSgprs: 26
; NumVgprs: 16
; ScratchSize: 0
; MemoryBound: 0
; FloatMode: 240
; IeeeMode: 1
; LDSByteSize: 0 bytes/workgroup (compile time only)
; SGPRBlocks: 0
; VGPRBlocks: 0
; NumSGPRsForWavesPerEU: 26
; NumVGPRsForWavesPerEU: 16
; NamedBarCnt: 0
; Occupancy: 16
; WaveLimiterHint : 1
; COMPUTE_PGM_RSRC2:SCRATCH_EN: 0
; COMPUTE_PGM_RSRC2:USER_SGPR: 2
; COMPUTE_PGM_RSRC2:TRAP_HANDLER: 0
; COMPUTE_PGM_RSRC2:TGID_X_EN: 1
; COMPUTE_PGM_RSRC2:TGID_Y_EN: 0
; COMPUTE_PGM_RSRC2:TGID_Z_EN: 0
; COMPUTE_PGM_RSRC2:TIDIG_COMP_CNT: 0
	.section	.text._ZN9rocsparseL35bsr2csr_block_per_row_33_256_kernelILj1024ELj128ELj32EliiEEv20rocsparse_direction_T4_S2_21rocsparse_index_base_PKT2_PKT3_PKS2_S2_S3_PS4_PS7_PS2_,"axG",@progbits,_ZN9rocsparseL35bsr2csr_block_per_row_33_256_kernelILj1024ELj128ELj32EliiEEv20rocsparse_direction_T4_S2_21rocsparse_index_base_PKT2_PKT3_PKS2_S2_S3_PS4_PS7_PS2_,comdat
	.globl	_ZN9rocsparseL35bsr2csr_block_per_row_33_256_kernelILj1024ELj128ELj32EliiEEv20rocsparse_direction_T4_S2_21rocsparse_index_base_PKT2_PKT3_PKS2_S2_S3_PS4_PS7_PS2_ ; -- Begin function _ZN9rocsparseL35bsr2csr_block_per_row_33_256_kernelILj1024ELj128ELj32EliiEEv20rocsparse_direction_T4_S2_21rocsparse_index_base_PKT2_PKT3_PKS2_S2_S3_PS4_PS7_PS2_
	.p2align	8
	.type	_ZN9rocsparseL35bsr2csr_block_per_row_33_256_kernelILj1024ELj128ELj32EliiEEv20rocsparse_direction_T4_S2_21rocsparse_index_base_PKT2_PKT3_PKS2_S2_S3_PS4_PS7_PS2_,@function
_ZN9rocsparseL35bsr2csr_block_per_row_33_256_kernelILj1024ELj128ELj32EliiEEv20rocsparse_direction_T4_S2_21rocsparse_index_base_PKT2_PKT3_PKS2_S2_S3_PS4_PS7_PS2_: ; @_ZN9rocsparseL35bsr2csr_block_per_row_33_256_kernelILj1024ELj128ELj32EliiEEv20rocsparse_direction_T4_S2_21rocsparse_index_base_PKT2_PKT3_PKS2_S2_S3_PS4_PS7_PS2_
; %bb.0:
	s_load_b64 s[4:5], s[0:1], 0x18
	s_bfe_u32 s2, ttmp6, 0x4000c
	s_and_b32 s3, ttmp6, 15
	s_add_co_i32 s2, s2, 1
	s_getreg_b32 s6, hwreg(HW_REG_IB_STS2, 6, 4)
	s_mul_i32 s2, ttmp9, s2
	s_delay_alu instid0(SALU_CYCLE_1)
	s_add_co_i32 s3, s3, s2
	s_cmp_eq_u32 s6, 0
	s_clause 0x1
	s_load_b64 s[8:9], s[0:1], 0x28
	s_load_b64 s[6:7], s[0:1], 0x38
	s_cselect_b32 s2, ttmp9, s3
	s_delay_alu instid0(SALU_CYCLE_1)
	s_ashr_i32 s3, s2, 31
	v_or_b32_e32 v1, s2, v0
	s_lshl_b64 s[10:11], s[2:3], 2
	s_mov_b32 s3, exec_lo
	s_wait_kmcnt 0x0
	s_add_nc_u64 s[4:5], s[4:5], s[10:11]
	s_load_b64 s[18:19], s[4:5], 0x0
	v_cmpx_eq_u32_e32 0, v1
	s_cbranch_execz .LBB63_2
; %bb.1:
	v_dual_mov_b32 v1, 0 :: v_dual_mov_b32 v2, s9
	global_store_b32 v1, v2, s[6:7]
.LBB63_2:
	s_wait_xcnt 0x0
	s_or_b32 exec_lo, exec_lo, s3
	s_load_b32 s22, s[0:1], 0xc
	v_lshrrev_b32_e32 v2, 5, v0
	s_mul_i32 s12, s8, s2
	s_delay_alu instid0(VALU_DEP_1)
	v_cmp_gt_i32_e64 s4, s8, v2
	s_wait_kmcnt 0x0
	s_sub_co_i32 s10, s18, s22
	s_sub_co_i32 s23, s19, s22
	s_mul_i32 s11, s8, s10
	s_sub_co_i32 s34, s23, s10
	s_mul_i32 s3, s11, s8
	s_mul_i32 s14, s34, s8
	s_add_co_i32 s15, s3, s9
	s_delay_alu instid0(SALU_CYCLE_1)
	s_add_co_i32 s15, s15, s14
	s_and_saveexec_b32 s2, s4
	s_cbranch_execz .LBB63_4
; %bb.3:
	v_mad_u32 v1, v2, s14, s15
	v_add_nc_u32_e32 v3, s12, v2
	global_store_b32 v3, v1, s[6:7] offset:4 scale_offset
.LBB63_4:
	s_wait_xcnt 0x0
	s_or_b32 exec_lo, exec_lo, s2
	v_or_b32_e32 v1, 32, v2
	s_delay_alu instid0(VALU_DEP_1)
	v_cmp_gt_i32_e64 s5, s8, v1
	s_and_saveexec_b32 s2, s5
	s_cbranch_execz .LBB63_6
; %bb.5:
	v_mov_b32_e32 v3, 0
	s_ashr_i32 s13, s12, 31
	v_mad_u32 v1, v1, s14, s15
	s_delay_alu instid0(VALU_DEP_2) | instskip(NEXT) | instid1(VALU_DEP_1)
	v_add_nc_u64_e32 v[4:5], s[12:13], v[2:3]
	v_lshl_add_u64 v[4:5], v[4:5], 2, s[6:7]
	global_store_b32 v[4:5], v1, off offset:132
.LBB63_6:
	s_wait_xcnt 0x0
	s_or_b32 exec_lo, exec_lo, s2
	v_or_b32_e32 v1, 64, v2
	s_delay_alu instid0(VALU_DEP_1)
	v_cmp_gt_i32_e64 s2, s8, v1
	s_and_saveexec_b32 s3, s2
	s_cbranch_execz .LBB63_8
; %bb.7:
	v_mov_b32_e32 v3, 0
	s_ashr_i32 s13, s12, 31
	v_mad_u32 v1, v1, s14, s15
	s_delay_alu instid0(VALU_DEP_2) | instskip(NEXT) | instid1(VALU_DEP_1)
	v_add_nc_u64_e32 v[4:5], s[12:13], v[2:3]
	v_lshl_add_u64 v[4:5], v[4:5], 2, s[6:7]
	global_store_b32 v[4:5], v1, off offset:260
.LBB63_8:
	;; [unrolled: 16-line block ×3, first 2 shown]
	s_wait_xcnt 0x0
	s_or_b32 exec_lo, exec_lo, s16
	s_cmp_lt_i32 s18, s19
	s_cbranch_scc0 .LBB63_45
; %bb.11:
	s_clause 0x1
	s_load_b64 s[20:21], s[0:1], 0x20
	s_load_b32 s7, s[0:1], 0x0
	v_mad_u32 v15, v2, s34, s11
	v_dual_add_nc_u32 v8, s11, v2 :: v_dual_bitop2_b32 v0, 31, v0 bitop3:0x40
	s_clause 0x2
	s_load_b64 s[12:13], s[0:1], 0x10
	s_load_b64 s[14:15], s[0:1], 0x30
	s_load_b64 s[16:17], s[0:1], 0x40
	s_mul_i32 s24, s8, s8
	s_mov_b32 s25, 0
	v_dual_add_nc_u32 v12, s11, v0 :: v_dual_bitop2_b32 v1, 32, v0 bitop3:0x54
	v_dual_add_nc_u32 v5, 32, v8 :: v_dual_add_nc_u32 v6, 64, v8
	v_add_nc_u32_e32 v7, 0x60, v8
	v_mad_u32 v11, 0x60, s19, v15
	v_lshl_add_u32 v13, s19, 5, v15
	v_lshl_add_u32 v14, s19, 6, v15
	v_add_nc_u32_e32 v9, 0x60, v12
	v_dual_add_nc_u32 v10, 64, v12 :: v_dual_add_nc_u32 v16, 32, v12
	v_or_b32_e32 v3, 64, v0
	v_or_b32_e32 v4, 0x60, v0
	s_wait_kmcnt 0x0
	s_cmp_eq_u32 s7, 0
	v_mul_lo_u32 v5, s8, v5
	s_cselect_b32 vcc_lo, -1, 0
	s_lshl_b32 s11, s18, 5
	v_mul_lo_u32 v6, s8, v6
	v_subrev_nc_u32_e32 v13, s11, v13
	s_lshl_b32 s11, s18, 6
	s_mulk_i32 s18, 0x60
	v_subrev_nc_u32_e32 v14, s11, v14
	v_subrev_nc_u32_e32 v17, s18, v11
	v_mul_lo_u32 v7, s8, v7
	v_mul_lo_u32 v8, s8, v8
	v_mad_u32 v9, s8, v9, v2
	v_mad_u32 v10, s8, v10, v2
	;; [unrolled: 1-line block ×4, first 2 shown]
	v_mul_lo_u32 v12, s8, v13
	v_mul_lo_u32 v13, s8, v14
	;; [unrolled: 1-line block ×4, first 2 shown]
	v_cmp_gt_i32_e64 s0, s8, v0
	v_cmp_gt_i32_e64 s1, s8, v1
	;; [unrolled: 1-line block ×4, first 2 shown]
	s_ashr_i32 s11, s10, 31
	s_and_b32 s26, s4, s0
	s_and_b32 s27, s4, s1
	;; [unrolled: 1-line block ×8, first 2 shown]
	s_lshl_b64 s[0:1], s[10:11], 2
	s_and_b32 s28, s4, s6
	s_and_b32 s4, s4, s7
	;; [unrolled: 1-line block ×8, first 2 shown]
	s_add_nc_u64 s[0:1], s[20:21], s[0:1]
	s_branch .LBB63_13
.LBB63_12:                              ;   in Loop: Header=BB63_13 Depth=1
	s_wait_xcnt 0x0
	s_or_b32 exec_lo, exec_lo, s7
	v_dual_add_nc_u32 v5, s24, v5 :: v_dual_add_nc_u32 v6, s24, v6
	v_dual_add_nc_u32 v7, s24, v7 :: v_dual_add_nc_u32 v8, s24, v8
	;; [unrolled: 1-line block ×4, first 2 shown]
	s_add_co_i32 s10, s10, 1
	s_add_co_i32 s25, s25, s24
	s_cmp_ge_i32 s10, s23
	s_add_nc_u64 s[0:1], s[0:1], 4
	s_cbranch_scc1 .LBB63_45
.LBB63_13:                              ; =>This Inner Loop Header: Depth=1
	s_load_b32 s7, s[0:1], 0x0
	s_wait_kmcnt 0x0
	s_sub_co_i32 s7, s7, s22
	s_delay_alu instid0(SALU_CYCLE_1) | instskip(NEXT) | instid1(SALU_CYCLE_1)
	s_mul_i32 s7, s7, s8
	s_add_co_i32 s7, s7, s9
	s_delay_alu instid0(SALU_CYCLE_1)
	v_add_nc_u32_e32 v16, s7, v0
	s_and_saveexec_b32 s11, s26
	s_cbranch_execz .LBB63_15
; %bb.14:                               ;   in Loop: Header=BB63_13 Depth=1
	v_dual_add_nc_u32 v17, v0, v8 :: v_dual_add_nc_u32 v18, s25, v2
	s_delay_alu instid0(VALU_DEP_1)
	v_cndmask_b32_e32 v17, v18, v17, vcc_lo
	global_load_b64 v[18:19], v17, s[12:13] scale_offset
	s_wait_xcnt 0x0
	v_add_nc_u32_e32 v17, v0, v15
	global_store_b32 v17, v16, s[16:17] scale_offset
	s_wait_loadcnt 0x0
	global_store_b64 v17, v[18:19], s[14:15] scale_offset
.LBB63_15:                              ;   in Loop: Header=BB63_13 Depth=1
	s_wait_xcnt 0x0
	s_or_b32 exec_lo, exec_lo, s11
	v_dual_add_nc_u32 v17, s7, v1 :: v_dual_add_nc_u32 v22, s25, v11
	s_and_saveexec_b32 s11, s27
	s_cbranch_execz .LBB63_17
; %bb.16:                               ;   in Loop: Header=BB63_13 Depth=1
	v_add3_u32 v18, v0, v8, 32
	v_add3_u32 v20, v0, v15, 32
	s_delay_alu instid0(VALU_DEP_2)
	v_cndmask_b32_e32 v18, v22, v18, vcc_lo
	global_load_b64 v[18:19], v18, s[12:13] scale_offset
	global_store_b32 v20, v17, s[16:17] scale_offset
	s_wait_loadcnt 0x0
	global_store_b64 v20, v[18:19], s[14:15] scale_offset
.LBB63_17:                              ;   in Loop: Header=BB63_13 Depth=1
	s_wait_xcnt 0x0
	s_or_b32 exec_lo, exec_lo, s11
	v_dual_add_nc_u32 v18, s7, v3 :: v_dual_add_nc_u32 v21, s25, v10
	s_and_saveexec_b32 s11, s28
	s_cbranch_execz .LBB63_19
; %bb.18:                               ;   in Loop: Header=BB63_13 Depth=1
	v_add3_u32 v19, v0, v8, 64
	s_delay_alu instid0(VALU_DEP_1)
	v_cndmask_b32_e32 v19, v21, v19, vcc_lo
	global_load_b64 v[24:25], v19, s[12:13] scale_offset
	s_wait_xcnt 0x0
	v_add3_u32 v19, v0, v15, 64
	global_store_b32 v19, v18, s[16:17] scale_offset
	s_wait_loadcnt 0x0
	global_store_b64 v19, v[24:25], s[14:15] scale_offset
.LBB63_19:                              ;   in Loop: Header=BB63_13 Depth=1
	s_wait_xcnt 0x0
	s_or_b32 exec_lo, exec_lo, s11
	v_dual_add_nc_u32 v19, s7, v4 :: v_dual_add_nc_u32 v20, s25, v9
	s_and_saveexec_b32 s7, s4
	s_cbranch_execnz .LBB63_32
; %bb.20:                               ;   in Loop: Header=BB63_13 Depth=1
	s_or_b32 exec_lo, exec_lo, s7
	v_add_nc_u32_e32 v23, v0, v5
	s_and_saveexec_b32 s7, s29
	s_cbranch_execnz .LBB63_33
.LBB63_21:                              ;   in Loop: Header=BB63_13 Depth=1
	s_or_b32 exec_lo, exec_lo, s7
	s_and_saveexec_b32 s7, s30
	s_cbranch_execnz .LBB63_34
.LBB63_22:                              ;   in Loop: Header=BB63_13 Depth=1
	s_or_b32 exec_lo, exec_lo, s7
	s_and_saveexec_b32 s7, s31
	s_cbranch_execnz .LBB63_35
.LBB63_23:                              ;   in Loop: Header=BB63_13 Depth=1
	s_or_b32 exec_lo, exec_lo, s7
	s_and_saveexec_b32 s7, s5
	s_cbranch_execnz .LBB63_36
.LBB63_24:                              ;   in Loop: Header=BB63_13 Depth=1
	s_or_b32 exec_lo, exec_lo, s7
	v_add_nc_u32_e32 v22, v0, v6
	s_and_saveexec_b32 s7, s33
	s_cbranch_execnz .LBB63_37
.LBB63_25:                              ;   in Loop: Header=BB63_13 Depth=1
	s_or_b32 exec_lo, exec_lo, s7
	s_and_saveexec_b32 s7, s34
	s_cbranch_execnz .LBB63_38
.LBB63_26:                              ;   in Loop: Header=BB63_13 Depth=1
	s_or_b32 exec_lo, exec_lo, s7
	s_and_saveexec_b32 s7, s18
	s_cbranch_execnz .LBB63_39
.LBB63_27:                              ;   in Loop: Header=BB63_13 Depth=1
	s_or_b32 exec_lo, exec_lo, s7
	s_and_saveexec_b32 s7, s2
	s_cbranch_execnz .LBB63_40
.LBB63_28:                              ;   in Loop: Header=BB63_13 Depth=1
	s_or_b32 exec_lo, exec_lo, s7
	v_add_nc_u32_e32 v21, v0, v7
	s_and_saveexec_b32 s7, s19
	s_cbranch_execnz .LBB63_41
.LBB63_29:                              ;   in Loop: Header=BB63_13 Depth=1
	s_or_b32 exec_lo, exec_lo, s7
	s_and_saveexec_b32 s7, s35
	s_cbranch_execnz .LBB63_42
.LBB63_30:                              ;   in Loop: Header=BB63_13 Depth=1
	s_or_b32 exec_lo, exec_lo, s7
	s_and_saveexec_b32 s7, s6
	s_cbranch_execnz .LBB63_43
.LBB63_31:                              ;   in Loop: Header=BB63_13 Depth=1
	s_or_b32 exec_lo, exec_lo, s7
	s_and_saveexec_b32 s7, s3
	s_cbranch_execz .LBB63_12
	s_branch .LBB63_44
.LBB63_32:                              ;   in Loop: Header=BB63_13 Depth=1
	v_add3_u32 v23, v0, v8, 0x60
	s_delay_alu instid0(VALU_DEP_1)
	v_cndmask_b32_e32 v23, v20, v23, vcc_lo
	global_load_b64 v[24:25], v23, s[12:13] scale_offset
	s_wait_xcnt 0x0
	v_add3_u32 v23, v0, v15, 0x60
	global_store_b32 v23, v19, s[16:17] scale_offset
	s_wait_loadcnt 0x0
	global_store_b64 v23, v[24:25], s[14:15] scale_offset
	s_wait_xcnt 0x0
	s_or_b32 exec_lo, exec_lo, s7
	v_add_nc_u32_e32 v23, v0, v5
	s_and_saveexec_b32 s7, s29
	s_cbranch_execz .LBB63_21
.LBB63_33:                              ;   in Loop: Header=BB63_13 Depth=1
	v_add3_u32 v24, v2, s25, 32
	v_add_nc_u32_e32 v26, v0, v12
	s_delay_alu instid0(VALU_DEP_2)
	v_cndmask_b32_e32 v24, v24, v23, vcc_lo
	global_load_b64 v[24:25], v24, s[12:13] scale_offset
	global_store_b32 v26, v16, s[16:17] scale_offset
	s_wait_loadcnt 0x0
	global_store_b64 v26, v[24:25], s[14:15] scale_offset
	s_wait_xcnt 0x0
	s_or_b32 exec_lo, exec_lo, s7
	s_and_saveexec_b32 s7, s30
	s_cbranch_execz .LBB63_22
.LBB63_34:                              ;   in Loop: Header=BB63_13 Depth=1
	v_cndmask_b32_e32 v22, v22, v23, vcc_lo
	v_add3_u32 v24, v0, v12, 32
	s_delay_alu instid0(VALU_DEP_2)
	v_add_nc_u32_e32 v22, 32, v22
	global_load_b64 v[22:23], v22, s[12:13] scale_offset
	global_store_b32 v24, v17, s[16:17] scale_offset
	s_wait_loadcnt 0x0
	global_store_b64 v24, v[22:23], s[14:15] scale_offset
	s_wait_xcnt 0x0
	s_or_b32 exec_lo, exec_lo, s7
	s_and_saveexec_b32 s7, s31
	s_cbranch_execz .LBB63_23
.LBB63_35:                              ;   in Loop: Header=BB63_13 Depth=1
	v_add3_u32 v22, v0, v5, 64
	v_add3_u32 v23, v10, s25, 32
	;; [unrolled: 1-line block ×3, first 2 shown]
	s_delay_alu instid0(VALU_DEP_2)
	v_cndmask_b32_e32 v22, v23, v22, vcc_lo
	global_load_b64 v[22:23], v22, s[12:13] scale_offset
	global_store_b32 v24, v18, s[16:17] scale_offset
	s_wait_loadcnt 0x0
	global_store_b64 v24, v[22:23], s[14:15] scale_offset
	s_wait_xcnt 0x0
	s_or_b32 exec_lo, exec_lo, s7
	s_and_saveexec_b32 s7, s5
	s_cbranch_execz .LBB63_24
.LBB63_36:                              ;   in Loop: Header=BB63_13 Depth=1
	v_add3_u32 v22, v0, v5, 0x60
	v_add3_u32 v23, v9, s25, 32
	;; [unrolled: 1-line block ×3, first 2 shown]
	s_delay_alu instid0(VALU_DEP_2)
	v_cndmask_b32_e32 v22, v23, v22, vcc_lo
	global_load_b64 v[22:23], v22, s[12:13] scale_offset
	global_store_b32 v24, v19, s[16:17] scale_offset
	s_wait_loadcnt 0x0
	global_store_b64 v24, v[22:23], s[14:15] scale_offset
	s_wait_xcnt 0x0
	s_or_b32 exec_lo, exec_lo, s7
	v_add_nc_u32_e32 v22, v0, v6
	s_and_saveexec_b32 s7, s33
	s_cbranch_execz .LBB63_25
.LBB63_37:                              ;   in Loop: Header=BB63_13 Depth=1
	v_add3_u32 v23, v2, s25, 64
	s_delay_alu instid0(VALU_DEP_1)
	v_cndmask_b32_e32 v23, v23, v22, vcc_lo
	global_load_b64 v[24:25], v23, s[12:13] scale_offset
	s_wait_xcnt 0x0
	v_add_nc_u32_e32 v23, v0, v13
	global_store_b32 v23, v16, s[16:17] scale_offset
	s_wait_loadcnt 0x0
	global_store_b64 v23, v[24:25], s[14:15] scale_offset
	s_wait_xcnt 0x0
	s_or_b32 exec_lo, exec_lo, s7
	s_and_saveexec_b32 s7, s34
	s_cbranch_execz .LBB63_26
.LBB63_38:                              ;   in Loop: Header=BB63_13 Depth=1
	v_add3_u32 v23, v0, v6, 32
	v_add3_u32 v24, v11, s25, 64
	s_delay_alu instid0(VALU_DEP_1)
	v_cndmask_b32_e32 v23, v24, v23, vcc_lo
	global_load_b64 v[24:25], v23, s[12:13] scale_offset
	s_wait_xcnt 0x0
	v_add3_u32 v23, v0, v13, 32
	global_store_b32 v23, v17, s[16:17] scale_offset
	s_wait_loadcnt 0x0
	global_store_b64 v23, v[24:25], s[14:15] scale_offset
	s_wait_xcnt 0x0
	s_or_b32 exec_lo, exec_lo, s7
	s_and_saveexec_b32 s7, s18
	s_cbranch_execz .LBB63_27
.LBB63_39:                              ;   in Loop: Header=BB63_13 Depth=1
	v_cndmask_b32_e32 v21, v21, v22, vcc_lo
	s_delay_alu instid0(VALU_DEP_1)
	v_add_nc_u32_e32 v21, 64, v21
	global_load_b64 v[22:23], v21, s[12:13] scale_offset
	s_wait_xcnt 0x0
	v_add3_u32 v21, v0, v13, 64
	global_store_b32 v21, v18, s[16:17] scale_offset
	s_wait_loadcnt 0x0
	global_store_b64 v21, v[22:23], s[14:15] scale_offset
	s_wait_xcnt 0x0
	s_or_b32 exec_lo, exec_lo, s7
	s_and_saveexec_b32 s7, s2
	s_cbranch_execz .LBB63_28
.LBB63_40:                              ;   in Loop: Header=BB63_13 Depth=1
	v_add3_u32 v21, v0, v6, 0x60
	v_add3_u32 v22, v9, s25, 64
	s_delay_alu instid0(VALU_DEP_1)
	v_cndmask_b32_e32 v21, v22, v21, vcc_lo
	global_load_b64 v[22:23], v21, s[12:13] scale_offset
	s_wait_xcnt 0x0
	v_add3_u32 v21, v0, v13, 0x60
	global_store_b32 v21, v19, s[16:17] scale_offset
	s_wait_loadcnt 0x0
	global_store_b64 v21, v[22:23], s[14:15] scale_offset
	s_wait_xcnt 0x0
	s_or_b32 exec_lo, exec_lo, s7
	v_add_nc_u32_e32 v21, v0, v7
	s_and_saveexec_b32 s7, s19
	s_cbranch_execz .LBB63_29
.LBB63_41:                              ;   in Loop: Header=BB63_13 Depth=1
	v_add3_u32 v22, v2, s25, 0x60
	s_delay_alu instid0(VALU_DEP_1)
	v_dual_add_nc_u32 v24, v0, v14 :: v_dual_cndmask_b32 v22, v22, v21, vcc_lo
	global_load_b64 v[22:23], v22, s[12:13] scale_offset
	global_store_b32 v24, v16, s[16:17] scale_offset
	s_wait_loadcnt 0x0
	global_store_b64 v24, v[22:23], s[14:15] scale_offset
	s_wait_xcnt 0x0
	s_or_b32 exec_lo, exec_lo, s7
	s_and_saveexec_b32 s7, s35
	s_cbranch_execz .LBB63_30
.LBB63_42:                              ;   in Loop: Header=BB63_13 Depth=1
	v_add3_u32 v16, v0, v7, 32
	v_add3_u32 v22, v11, s25, 0x60
	s_delay_alu instid0(VALU_DEP_1)
	v_cndmask_b32_e32 v16, v22, v16, vcc_lo
	global_load_b64 v[22:23], v16, s[12:13] scale_offset
	s_wait_xcnt 0x0
	v_add3_u32 v16, v0, v14, 32
	global_store_b32 v16, v17, s[16:17] scale_offset
	s_wait_loadcnt 0x0
	global_store_b64 v16, v[22:23], s[14:15] scale_offset
	s_wait_xcnt 0x0
	s_or_b32 exec_lo, exec_lo, s7
	s_and_saveexec_b32 s7, s6
	s_cbranch_execz .LBB63_31
.LBB63_43:                              ;   in Loop: Header=BB63_13 Depth=1
	v_add3_u32 v16, v0, v7, 64
	v_add3_u32 v17, v10, s25, 0x60
	;; [unrolled: 1-line block ×3, first 2 shown]
	s_delay_alu instid0(VALU_DEP_2)
	v_cndmask_b32_e32 v16, v17, v16, vcc_lo
	global_load_b64 v[16:17], v16, s[12:13] scale_offset
	global_store_b32 v22, v18, s[16:17] scale_offset
	s_wait_loadcnt 0x0
	global_store_b64 v22, v[16:17], s[14:15] scale_offset
	s_wait_xcnt 0x0
	s_or_b32 exec_lo, exec_lo, s7
	s_and_saveexec_b32 s7, s3
	s_cbranch_execz .LBB63_12
.LBB63_44:                              ;   in Loop: Header=BB63_13 Depth=1
	v_cndmask_b32_e32 v16, v20, v21, vcc_lo
	v_add3_u32 v18, v0, v14, 0x60
	s_delay_alu instid0(VALU_DEP_2)
	v_add_nc_u32_e32 v16, 0x60, v16
	global_load_b64 v[16:17], v16, s[12:13] scale_offset
	global_store_b32 v18, v19, s[16:17] scale_offset
	s_wait_loadcnt 0x0
	global_store_b64 v18, v[16:17], s[14:15] scale_offset
	s_branch .LBB63_12
.LBB63_45:
	s_endpgm
	.section	.rodata,"a",@progbits
	.p2align	6, 0x0
	.amdhsa_kernel _ZN9rocsparseL35bsr2csr_block_per_row_33_256_kernelILj1024ELj128ELj32EliiEEv20rocsparse_direction_T4_S2_21rocsparse_index_base_PKT2_PKT3_PKS2_S2_S3_PS4_PS7_PS2_
		.amdhsa_group_segment_fixed_size 0
		.amdhsa_private_segment_fixed_size 0
		.amdhsa_kernarg_size 72
		.amdhsa_user_sgpr_count 2
		.amdhsa_user_sgpr_dispatch_ptr 0
		.amdhsa_user_sgpr_queue_ptr 0
		.amdhsa_user_sgpr_kernarg_segment_ptr 1
		.amdhsa_user_sgpr_dispatch_id 0
		.amdhsa_user_sgpr_kernarg_preload_length 0
		.amdhsa_user_sgpr_kernarg_preload_offset 0
		.amdhsa_user_sgpr_private_segment_size 0
		.amdhsa_wavefront_size32 1
		.amdhsa_uses_dynamic_stack 0
		.amdhsa_enable_private_segment 0
		.amdhsa_system_sgpr_workgroup_id_x 1
		.amdhsa_system_sgpr_workgroup_id_y 0
		.amdhsa_system_sgpr_workgroup_id_z 0
		.amdhsa_system_sgpr_workgroup_info 0
		.amdhsa_system_vgpr_workitem_id 0
		.amdhsa_next_free_vgpr 27
		.amdhsa_next_free_sgpr 36
		.amdhsa_named_barrier_count 0
		.amdhsa_reserve_vcc 1
		.amdhsa_float_round_mode_32 0
		.amdhsa_float_round_mode_16_64 0
		.amdhsa_float_denorm_mode_32 3
		.amdhsa_float_denorm_mode_16_64 3
		.amdhsa_fp16_overflow 0
		.amdhsa_memory_ordered 1
		.amdhsa_forward_progress 1
		.amdhsa_inst_pref_size 21
		.amdhsa_round_robin_scheduling 0
		.amdhsa_exception_fp_ieee_invalid_op 0
		.amdhsa_exception_fp_denorm_src 0
		.amdhsa_exception_fp_ieee_div_zero 0
		.amdhsa_exception_fp_ieee_overflow 0
		.amdhsa_exception_fp_ieee_underflow 0
		.amdhsa_exception_fp_ieee_inexact 0
		.amdhsa_exception_int_div_zero 0
	.end_amdhsa_kernel
	.section	.text._ZN9rocsparseL35bsr2csr_block_per_row_33_256_kernelILj1024ELj128ELj32EliiEEv20rocsparse_direction_T4_S2_21rocsparse_index_base_PKT2_PKT3_PKS2_S2_S3_PS4_PS7_PS2_,"axG",@progbits,_ZN9rocsparseL35bsr2csr_block_per_row_33_256_kernelILj1024ELj128ELj32EliiEEv20rocsparse_direction_T4_S2_21rocsparse_index_base_PKT2_PKT3_PKS2_S2_S3_PS4_PS7_PS2_,comdat
.Lfunc_end63:
	.size	_ZN9rocsparseL35bsr2csr_block_per_row_33_256_kernelILj1024ELj128ELj32EliiEEv20rocsparse_direction_T4_S2_21rocsparse_index_base_PKT2_PKT3_PKS2_S2_S3_PS4_PS7_PS2_, .Lfunc_end63-_ZN9rocsparseL35bsr2csr_block_per_row_33_256_kernelILj1024ELj128ELj32EliiEEv20rocsparse_direction_T4_S2_21rocsparse_index_base_PKT2_PKT3_PKS2_S2_S3_PS4_PS7_PS2_
                                        ; -- End function
	.set _ZN9rocsparseL35bsr2csr_block_per_row_33_256_kernelILj1024ELj128ELj32EliiEEv20rocsparse_direction_T4_S2_21rocsparse_index_base_PKT2_PKT3_PKS2_S2_S3_PS4_PS7_PS2_.num_vgpr, 27
	.set _ZN9rocsparseL35bsr2csr_block_per_row_33_256_kernelILj1024ELj128ELj32EliiEEv20rocsparse_direction_T4_S2_21rocsparse_index_base_PKT2_PKT3_PKS2_S2_S3_PS4_PS7_PS2_.num_agpr, 0
	.set _ZN9rocsparseL35bsr2csr_block_per_row_33_256_kernelILj1024ELj128ELj32EliiEEv20rocsparse_direction_T4_S2_21rocsparse_index_base_PKT2_PKT3_PKS2_S2_S3_PS4_PS7_PS2_.numbered_sgpr, 36
	.set _ZN9rocsparseL35bsr2csr_block_per_row_33_256_kernelILj1024ELj128ELj32EliiEEv20rocsparse_direction_T4_S2_21rocsparse_index_base_PKT2_PKT3_PKS2_S2_S3_PS4_PS7_PS2_.num_named_barrier, 0
	.set _ZN9rocsparseL35bsr2csr_block_per_row_33_256_kernelILj1024ELj128ELj32EliiEEv20rocsparse_direction_T4_S2_21rocsparse_index_base_PKT2_PKT3_PKS2_S2_S3_PS4_PS7_PS2_.private_seg_size, 0
	.set _ZN9rocsparseL35bsr2csr_block_per_row_33_256_kernelILj1024ELj128ELj32EliiEEv20rocsparse_direction_T4_S2_21rocsparse_index_base_PKT2_PKT3_PKS2_S2_S3_PS4_PS7_PS2_.uses_vcc, 1
	.set _ZN9rocsparseL35bsr2csr_block_per_row_33_256_kernelILj1024ELj128ELj32EliiEEv20rocsparse_direction_T4_S2_21rocsparse_index_base_PKT2_PKT3_PKS2_S2_S3_PS4_PS7_PS2_.uses_flat_scratch, 0
	.set _ZN9rocsparseL35bsr2csr_block_per_row_33_256_kernelILj1024ELj128ELj32EliiEEv20rocsparse_direction_T4_S2_21rocsparse_index_base_PKT2_PKT3_PKS2_S2_S3_PS4_PS7_PS2_.has_dyn_sized_stack, 0
	.set _ZN9rocsparseL35bsr2csr_block_per_row_33_256_kernelILj1024ELj128ELj32EliiEEv20rocsparse_direction_T4_S2_21rocsparse_index_base_PKT2_PKT3_PKS2_S2_S3_PS4_PS7_PS2_.has_recursion, 0
	.set _ZN9rocsparseL35bsr2csr_block_per_row_33_256_kernelILj1024ELj128ELj32EliiEEv20rocsparse_direction_T4_S2_21rocsparse_index_base_PKT2_PKT3_PKS2_S2_S3_PS4_PS7_PS2_.has_indirect_call, 0
	.section	.AMDGPU.csdata,"",@progbits
; Kernel info:
; codeLenInByte = 2604
; TotalNumSgprs: 38
; NumVgprs: 27
; ScratchSize: 0
; MemoryBound: 0
; FloatMode: 240
; IeeeMode: 1
; LDSByteSize: 0 bytes/workgroup (compile time only)
; SGPRBlocks: 0
; VGPRBlocks: 1
; NumSGPRsForWavesPerEU: 38
; NumVGPRsForWavesPerEU: 27
; NamedBarCnt: 0
; Occupancy: 16
; WaveLimiterHint : 1
; COMPUTE_PGM_RSRC2:SCRATCH_EN: 0
; COMPUTE_PGM_RSRC2:USER_SGPR: 2
; COMPUTE_PGM_RSRC2:TRAP_HANDLER: 0
; COMPUTE_PGM_RSRC2:TGID_X_EN: 1
; COMPUTE_PGM_RSRC2:TGID_Y_EN: 0
; COMPUTE_PGM_RSRC2:TGID_Z_EN: 0
; COMPUTE_PGM_RSRC2:TIDIG_COMP_CNT: 0
	.section	.text._ZN9rocsparseL35bsr2csr_block_per_row_33_256_kernelILj1024ELj256ELj32EliiEEv20rocsparse_direction_T4_S2_21rocsparse_index_base_PKT2_PKT3_PKS2_S2_S3_PS4_PS7_PS2_,"axG",@progbits,_ZN9rocsparseL35bsr2csr_block_per_row_33_256_kernelILj1024ELj256ELj32EliiEEv20rocsparse_direction_T4_S2_21rocsparse_index_base_PKT2_PKT3_PKS2_S2_S3_PS4_PS7_PS2_,comdat
	.globl	_ZN9rocsparseL35bsr2csr_block_per_row_33_256_kernelILj1024ELj256ELj32EliiEEv20rocsparse_direction_T4_S2_21rocsparse_index_base_PKT2_PKT3_PKS2_S2_S3_PS4_PS7_PS2_ ; -- Begin function _ZN9rocsparseL35bsr2csr_block_per_row_33_256_kernelILj1024ELj256ELj32EliiEEv20rocsparse_direction_T4_S2_21rocsparse_index_base_PKT2_PKT3_PKS2_S2_S3_PS4_PS7_PS2_
	.p2align	8
	.type	_ZN9rocsparseL35bsr2csr_block_per_row_33_256_kernelILj1024ELj256ELj32EliiEEv20rocsparse_direction_T4_S2_21rocsparse_index_base_PKT2_PKT3_PKS2_S2_S3_PS4_PS7_PS2_,@function
_ZN9rocsparseL35bsr2csr_block_per_row_33_256_kernelILj1024ELj256ELj32EliiEEv20rocsparse_direction_T4_S2_21rocsparse_index_base_PKT2_PKT3_PKS2_S2_S3_PS4_PS7_PS2_: ; @_ZN9rocsparseL35bsr2csr_block_per_row_33_256_kernelILj1024ELj256ELj32EliiEEv20rocsparse_direction_T4_S2_21rocsparse_index_base_PKT2_PKT3_PKS2_S2_S3_PS4_PS7_PS2_
; %bb.0:
	s_load_b64 s[2:3], s[0:1], 0x18
	s_bfe_u32 s4, ttmp6, 0x4000c
	s_and_b32 s5, ttmp6, 15
	s_add_co_i32 s4, s4, 1
	s_getreg_b32 s6, hwreg(HW_REG_IB_STS2, 6, 4)
	s_mul_i32 s4, ttmp9, s4
	s_clause 0x1
	s_load_b64 s[16:17], s[0:1], 0x28
	s_load_b64 s[10:11], s[0:1], 0x38
	s_add_co_i32 s5, s5, s4
	s_cmp_eq_u32 s6, 0
	s_cselect_b32 s4, ttmp9, s5
	s_delay_alu instid0(SALU_CYCLE_1)
	s_ashr_i32 s5, s4, 31
	v_or_b32_e32 v1, s4, v0
	s_lshl_b64 s[6:7], s[4:5], 2
	s_wait_kmcnt 0x0
	s_add_nc_u64 s[2:3], s[2:3], s[6:7]
	s_load_b64 s[26:27], s[2:3], 0x0
	s_wait_xcnt 0x0
	s_mov_b32 s2, exec_lo
	v_cmpx_eq_u32_e32 0, v1
	s_cbranch_execz .LBB64_2
; %bb.1:
	v_dual_mov_b32 v1, 0 :: v_dual_mov_b32 v2, s17
	global_store_b32 v1, v2, s[10:11]
.LBB64_2:
	s_wait_xcnt 0x0
	s_or_b32 exec_lo, exec_lo, s2
	s_load_b32 s30, s[0:1], 0xc
	v_lshrrev_b32_e32 v2, 5, v0
	s_mul_i32 s12, s16, s4
	s_delay_alu instid0(VALU_DEP_1)
	v_cmp_gt_i32_e64 s2, s16, v2
	s_wait_kmcnt 0x0
	s_sub_co_i32 s18, s26, s30
	s_sub_co_i32 s31, s27, s30
	s_mul_i32 s19, s16, s18
	s_sub_co_i32 s86, s31, s18
	s_mul_i32 s3, s19, s16
	s_mul_i32 s14, s86, s16
	s_add_co_i32 s15, s3, s17
	s_delay_alu instid0(SALU_CYCLE_1)
	s_add_co_i32 s15, s15, s14
	s_and_saveexec_b32 s3, s2
	s_cbranch_execz .LBB64_4
; %bb.3:
	v_mad_u32 v1, v2, s14, s15
	v_add_nc_u32_e32 v3, s12, v2
	global_store_b32 v3, v1, s[10:11] offset:4 scale_offset
.LBB64_4:
	s_wait_xcnt 0x0
	s_or_b32 exec_lo, exec_lo, s3
	v_or_b32_e32 v1, 32, v2
	s_delay_alu instid0(VALU_DEP_1)
	v_cmp_gt_i32_e64 s3, s16, v1
	s_and_saveexec_b32 s4, s3
	s_cbranch_execz .LBB64_6
; %bb.5:
	v_mov_b32_e32 v3, 0
	s_ashr_i32 s13, s12, 31
	v_mad_u32 v1, v1, s14, s15
	s_delay_alu instid0(VALU_DEP_2) | instskip(NEXT) | instid1(VALU_DEP_1)
	v_add_nc_u64_e32 v[4:5], s[12:13], v[2:3]
	v_lshl_add_u64 v[4:5], v[4:5], 2, s[10:11]
	global_store_b32 v[4:5], v1, off offset:132
.LBB64_6:
	s_wait_xcnt 0x0
	s_or_b32 exec_lo, exec_lo, s4
	v_or_b32_e32 v1, 64, v2
	s_delay_alu instid0(VALU_DEP_1)
	v_cmp_gt_i32_e64 s5, s16, v1
	s_and_saveexec_b32 s4, s5
	s_cbranch_execz .LBB64_8
; %bb.7:
	v_mov_b32_e32 v3, 0
	s_ashr_i32 s13, s12, 31
	v_mad_u32 v1, v1, s14, s15
	s_delay_alu instid0(VALU_DEP_2) | instskip(NEXT) | instid1(VALU_DEP_1)
	v_add_nc_u64_e32 v[4:5], s[12:13], v[2:3]
	v_lshl_add_u64 v[4:5], v[4:5], 2, s[10:11]
	global_store_b32 v[4:5], v1, off offset:260
.LBB64_8:
	;; [unrolled: 16-line block ×7, first 2 shown]
	s_wait_xcnt 0x0
	s_or_b32 exec_lo, exec_lo, s20
	s_cmp_lt_i32 s26, s27
	s_cbranch_scc0 .LBB64_149
; %bb.19:
	s_clause 0x3
	s_load_b64 s[28:29], s[0:1], 0x20
	s_load_b32 s11, s[0:1], 0x0
	s_load_b64 s[20:21], s[0:1], 0x10
	s_load_b64 s[22:23], s[0:1], 0x30
	v_mad_u32 v31, v2, s86, s19
	v_dual_add_nc_u32 v22, s19, v2 :: v_dual_bitop2_b32 v0, 31, v0 bitop3:0x40
	s_load_b64 s[24:25], s[0:1], 0x40
	s_mul_i32 s33, s16, s16
	s_mov_b32 s34, 0
	s_wait_xcnt 0x0
	v_cmp_gt_i32_e64 s0, s16, v0
	v_add_nc_u32_e32 v26, 0xe0, v22
	v_dual_add_nc_u32 v14, s19, v0 :: v_dual_bitop2_b32 v1, 32, v0 bitop3:0x54
	v_or_b32_e32 v3, 64, v0
	v_mad_u32 v23, 0xe0, s27, v31
	v_mad_u32 v24, 0xc0, s27, v31
	;; [unrolled: 1-line block ×5, first 2 shown]
	v_add_nc_u32_e32 v13, 0xa0, v14
	s_wait_kmcnt 0x0
	s_cmp_eq_u32 s11, 0
	v_add_nc_u32_e32 v15, 0x80, v14
	s_cselect_b32 vcc_lo, -1, 0
	s_and_b32 s35, s2, s0
	s_and_b32 s42, s3, s0
	;; [unrolled: 1-line block ×8, first 2 shown]
	s_mul_i32 s0, s26, 0xe0
	v_add_nc_u32_e32 v11, 0xe0, v14
	v_subrev_nc_u32_e32 v27, s0, v23
	v_mad_u32 v23, s16, v26, v0
	v_mad_u32 v26, 0x60, s27, v31
	v_add_nc_u32_e32 v12, 0xc0, v14
	v_add_nc_u32_e32 v16, 0x60, v14
	v_dual_add_nc_u32 v17, 64, v14 :: v_dual_add_nc_u32 v18, 32, v14
	v_add_nc_u32_e32 v19, 32, v22
	v_add_nc_u32_e32 v25, 0xc0, v22
	v_cmp_gt_i32_e64 s1, s16, v1
	s_mul_i32 s0, s26, 0xc0
	v_mad_u32 v11, s16, v11, v2
	v_mad_u32 v12, s16, v12, v2
	;; [unrolled: 1-line block ×7, first 2 shown]
	v_add_nc_u32_e32 v18, 64, v22
	v_mad_u32 v17, s16, v19, v0
	v_add_nc_u32_e32 v19, 0x60, v22
	v_add_nc_u32_e32 v20, 0x80, v22
	;; [unrolled: 1-line block ×3, first 2 shown]
	v_mad_u32 v22, s16, v25, v0
	v_subrev_nc_u32_e32 v25, s0, v24
	v_mul_lo_u32 v24, s16, v27
	v_lshl_add_u32 v27, s27, 7, v31
	s_mul_i32 s0, s26, 0xa0
	v_lshl_add_u32 v29, s27, 6, v31
	v_lshl_add_u32 v30, s27, 5, v31
	s_and_b32 s36, s2, s1
	s_and_b32 s43, s3, s1
	;; [unrolled: 1-line block ×8, first 2 shown]
	s_lshl_b32 s1, s26, 7
	v_subrev_nc_u32_e32 v28, s0, v28
	s_mul_i32 s0, s26, 0x60
	v_subrev_nc_u32_e32 v27, s1, v27
	v_subrev_nc_u32_e32 v32, s0, v26
	s_lshl_b32 s0, s26, 6
	s_lshl_b32 s1, s26, 5
	v_subrev_nc_u32_e32 v29, s0, v29
	v_subrev_nc_u32_e32 v30, s1, v30
	v_or_b32_e32 v4, 0x60, v0
	v_or_b32_e32 v5, 0x80, v0
	;; [unrolled: 1-line block ×5, first 2 shown]
	v_mad_u32 v18, s16, v18, v0
	v_mad_u32 v19, s16, v19, v0
	;; [unrolled: 1-line block ×4, first 2 shown]
	v_mul_lo_u32 v25, s16, v25
	v_mul_lo_u32 v26, s16, v28
	;; [unrolled: 1-line block ×7, first 2 shown]
	v_cmp_gt_i32_e64 s10, s16, v3
	v_cmp_gt_i32_e64 s11, s16, v4
	;; [unrolled: 1-line block ×6, first 2 shown]
	s_ashr_i32 s19, s18, 31
	v_dual_cndmask_b32 v32, v9, v8 :: v_dual_cndmask_b32 v33, v2, v17
	s_lshl_b64 s[0:1], s[18:19], 2
	s_and_b32 s37, s2, s10
	s_and_b32 s38, s2, s11
	s_and_b32 s39, s2, s12
	s_and_b32 s40, s2, s13
	s_and_b32 s41, s2, s14
	s_and_b32 s2, s2, s15
	s_and_b32 s44, s3, s10
	s_and_b32 s45, s3, s11
	s_and_b32 s46, s3, s12
	s_and_b32 s47, s3, s13
	s_and_b32 s48, s3, s14
	s_and_b32 s3, s3, s15
	s_and_b32 s51, s5, s10
	s_and_b32 s52, s5, s11
	s_and_b32 s53, s5, s12
	s_and_b32 s54, s5, s13
	s_and_b32 s55, s5, s14
	s_and_b32 s5, s5, s15
	s_and_b32 s58, s6, s10
	s_and_b32 s59, s6, s11
	s_and_b32 s60, s6, s12
	s_and_b32 s61, s6, s13
	s_and_b32 s62, s6, s14
	s_and_b32 s6, s6, s15
	s_and_b32 s65, s7, s10
	s_and_b32 s66, s7, s11
	s_and_b32 s67, s7, s12
	s_and_b32 s68, s7, s13
	s_and_b32 s69, s7, s14
	s_and_b32 s7, s7, s15
	s_and_b32 s72, s8, s10
	s_and_b32 s73, s8, s11
	s_and_b32 s74, s8, s12
	s_and_b32 s75, s8, s13
	s_and_b32 s76, s8, s14
	s_and_b32 s8, s8, s15
	s_and_b32 s79, s9, s10
	s_and_b32 s80, s9, s11
	s_and_b32 s81, s9, s12
	s_and_b32 s82, s9, s13
	s_and_b32 s83, s9, s14
	s_and_b32 s9, s9, s15
	s_and_b32 s10, s4, s10
	s_and_b32 s11, s4, s11
	s_and_b32 s12, s4, s12
	s_and_b32 s13, s4, s13
	s_and_b32 s14, s4, s14
	s_and_b32 s4, s4, s15
	s_add_nc_u64 s[0:1], s[28:29], s[0:1]
	s_branch .LBB64_21
.LBB64_20:                              ;   in Loop: Header=BB64_21 Depth=1
	s_wait_xcnt 0x0
	s_or_b32 exec_lo, exec_lo, s15
	v_dual_add_nc_u32 v24, s16, v24 :: v_dual_add_nc_u32 v25, s16, v25
	v_dual_add_nc_u32 v26, s16, v26 :: v_dual_add_nc_u32 v27, s16, v27
	;; [unrolled: 1-line block ×4, first 2 shown]
	s_add_co_i32 s18, s18, 1
	s_add_co_i32 s34, s34, s33
	s_cmp_ge_i32 s18, s31
	s_add_nc_u64 s[0:1], s[0:1], 4
	s_cbranch_scc1 .LBB64_149
.LBB64_21:                              ; =>This Inner Loop Header: Depth=1
	s_load_b32 s15, s[0:1], 0x0
	s_wait_kmcnt 0x0
	s_sub_co_i32 s15, s15, s30
	s_delay_alu instid0(SALU_CYCLE_1) | instskip(NEXT) | instid1(SALU_CYCLE_1)
	s_mul_i32 s15, s15, s16
	s_add_co_i32 s15, s15, s17
	s_delay_alu instid0(SALU_CYCLE_1)
	v_add_nc_u32_e32 v35, s15, v0
	s_and_saveexec_b32 s19, s35
	s_cbranch_execnz .LBB64_85
; %bb.22:                               ;   in Loop: Header=BB64_21 Depth=1
	s_or_b32 exec_lo, exec_lo, s19
	v_add_nc_u32_e32 v34, s15, v1
	s_and_saveexec_b32 s19, s36
	s_cbranch_execnz .LBB64_86
.LBB64_23:                              ;   in Loop: Header=BB64_21 Depth=1
	s_or_b32 exec_lo, exec_lo, s19
	v_add_nc_u32_e32 v36, s15, v3
	s_and_saveexec_b32 s19, s37
	s_cbranch_execnz .LBB64_87
.LBB64_24:                              ;   in Loop: Header=BB64_21 Depth=1
	s_or_b32 exec_lo, exec_lo, s19
	v_add_nc_u32_e32 v37, s15, v4
	s_and_saveexec_b32 s19, s38
	s_cbranch_execnz .LBB64_88
.LBB64_25:                              ;   in Loop: Header=BB64_21 Depth=1
	s_or_b32 exec_lo, exec_lo, s19
	v_add_nc_u32_e32 v38, s15, v5
	s_and_saveexec_b32 s19, s39
	s_cbranch_execnz .LBB64_89
.LBB64_26:                              ;   in Loop: Header=BB64_21 Depth=1
	s_or_b32 exec_lo, exec_lo, s19
	v_add_nc_u32_e32 v39, s15, v6
	s_and_saveexec_b32 s19, s40
	s_cbranch_execnz .LBB64_90
.LBB64_27:                              ;   in Loop: Header=BB64_21 Depth=1
	s_or_b32 exec_lo, exec_lo, s19
	v_add_nc_u32_e32 v40, s15, v7
	s_and_saveexec_b32 s19, s41
	s_cbranch_execnz .LBB64_91
.LBB64_28:                              ;   in Loop: Header=BB64_21 Depth=1
	s_or_b32 exec_lo, exec_lo, s19
	v_add_nc_u32_e32 v41, s15, v10
	s_and_saveexec_b32 s15, s2
	s_cbranch_execnz .LBB64_92
.LBB64_29:                              ;   in Loop: Header=BB64_21 Depth=1
	s_or_b32 exec_lo, exec_lo, s15
	s_and_saveexec_b32 s15, s42
	s_cbranch_execnz .LBB64_93
.LBB64_30:                              ;   in Loop: Header=BB64_21 Depth=1
	s_or_b32 exec_lo, exec_lo, s15
	s_and_saveexec_b32 s15, s43
	s_cbranch_execnz .LBB64_94
.LBB64_31:                              ;   in Loop: Header=BB64_21 Depth=1
	s_or_b32 exec_lo, exec_lo, s15
	s_and_saveexec_b32 s15, s44
	s_cbranch_execnz .LBB64_95
.LBB64_32:                              ;   in Loop: Header=BB64_21 Depth=1
	s_or_b32 exec_lo, exec_lo, s15
	s_and_saveexec_b32 s15, s45
	s_cbranch_execnz .LBB64_96
.LBB64_33:                              ;   in Loop: Header=BB64_21 Depth=1
	s_or_b32 exec_lo, exec_lo, s15
	s_and_saveexec_b32 s15, s46
	s_cbranch_execnz .LBB64_97
.LBB64_34:                              ;   in Loop: Header=BB64_21 Depth=1
	s_or_b32 exec_lo, exec_lo, s15
	s_and_saveexec_b32 s15, s47
	s_cbranch_execnz .LBB64_98
.LBB64_35:                              ;   in Loop: Header=BB64_21 Depth=1
	s_or_b32 exec_lo, exec_lo, s15
	s_and_saveexec_b32 s15, s48
	s_cbranch_execnz .LBB64_99
.LBB64_36:                              ;   in Loop: Header=BB64_21 Depth=1
	s_or_b32 exec_lo, exec_lo, s15
	s_and_saveexec_b32 s15, s3
	s_cbranch_execnz .LBB64_100
.LBB64_37:                              ;   in Loop: Header=BB64_21 Depth=1
	s_or_b32 exec_lo, exec_lo, s15
	s_and_saveexec_b32 s15, s49
	s_cbranch_execnz .LBB64_101
.LBB64_38:                              ;   in Loop: Header=BB64_21 Depth=1
	s_or_b32 exec_lo, exec_lo, s15
	s_and_saveexec_b32 s15, s50
	s_cbranch_execnz .LBB64_102
.LBB64_39:                              ;   in Loop: Header=BB64_21 Depth=1
	s_or_b32 exec_lo, exec_lo, s15
	s_and_saveexec_b32 s15, s51
	s_cbranch_execnz .LBB64_103
.LBB64_40:                              ;   in Loop: Header=BB64_21 Depth=1
	s_or_b32 exec_lo, exec_lo, s15
	s_and_saveexec_b32 s15, s52
	s_cbranch_execnz .LBB64_104
.LBB64_41:                              ;   in Loop: Header=BB64_21 Depth=1
	s_or_b32 exec_lo, exec_lo, s15
	s_and_saveexec_b32 s15, s53
	s_cbranch_execnz .LBB64_105
.LBB64_42:                              ;   in Loop: Header=BB64_21 Depth=1
	s_or_b32 exec_lo, exec_lo, s15
	s_and_saveexec_b32 s15, s54
	s_cbranch_execnz .LBB64_106
.LBB64_43:                              ;   in Loop: Header=BB64_21 Depth=1
	s_or_b32 exec_lo, exec_lo, s15
	s_and_saveexec_b32 s15, s55
	s_cbranch_execnz .LBB64_107
.LBB64_44:                              ;   in Loop: Header=BB64_21 Depth=1
	s_or_b32 exec_lo, exec_lo, s15
	s_and_saveexec_b32 s15, s5
	s_cbranch_execnz .LBB64_108
.LBB64_45:                              ;   in Loop: Header=BB64_21 Depth=1
	s_or_b32 exec_lo, exec_lo, s15
	s_and_saveexec_b32 s15, s56
	s_cbranch_execnz .LBB64_109
.LBB64_46:                              ;   in Loop: Header=BB64_21 Depth=1
	s_or_b32 exec_lo, exec_lo, s15
	s_and_saveexec_b32 s15, s57
	s_cbranch_execnz .LBB64_110
.LBB64_47:                              ;   in Loop: Header=BB64_21 Depth=1
	s_or_b32 exec_lo, exec_lo, s15
	s_and_saveexec_b32 s15, s58
	s_cbranch_execnz .LBB64_111
.LBB64_48:                              ;   in Loop: Header=BB64_21 Depth=1
	s_or_b32 exec_lo, exec_lo, s15
	s_and_saveexec_b32 s15, s59
	s_cbranch_execnz .LBB64_112
.LBB64_49:                              ;   in Loop: Header=BB64_21 Depth=1
	s_or_b32 exec_lo, exec_lo, s15
	s_and_saveexec_b32 s15, s60
	s_cbranch_execnz .LBB64_113
.LBB64_50:                              ;   in Loop: Header=BB64_21 Depth=1
	s_or_b32 exec_lo, exec_lo, s15
	s_and_saveexec_b32 s15, s61
	s_cbranch_execnz .LBB64_114
.LBB64_51:                              ;   in Loop: Header=BB64_21 Depth=1
	s_or_b32 exec_lo, exec_lo, s15
	s_and_saveexec_b32 s15, s62
	s_cbranch_execnz .LBB64_115
.LBB64_52:                              ;   in Loop: Header=BB64_21 Depth=1
	s_or_b32 exec_lo, exec_lo, s15
	s_and_saveexec_b32 s15, s6
	s_cbranch_execnz .LBB64_116
.LBB64_53:                              ;   in Loop: Header=BB64_21 Depth=1
	s_or_b32 exec_lo, exec_lo, s15
	s_and_saveexec_b32 s15, s63
	s_cbranch_execnz .LBB64_117
.LBB64_54:                              ;   in Loop: Header=BB64_21 Depth=1
	s_or_b32 exec_lo, exec_lo, s15
	s_and_saveexec_b32 s15, s64
	s_cbranch_execnz .LBB64_118
.LBB64_55:                              ;   in Loop: Header=BB64_21 Depth=1
	s_or_b32 exec_lo, exec_lo, s15
	s_and_saveexec_b32 s15, s65
	s_cbranch_execnz .LBB64_119
.LBB64_56:                              ;   in Loop: Header=BB64_21 Depth=1
	s_or_b32 exec_lo, exec_lo, s15
	s_and_saveexec_b32 s15, s66
	s_cbranch_execnz .LBB64_120
.LBB64_57:                              ;   in Loop: Header=BB64_21 Depth=1
	s_or_b32 exec_lo, exec_lo, s15
	s_and_saveexec_b32 s15, s67
	s_cbranch_execnz .LBB64_121
.LBB64_58:                              ;   in Loop: Header=BB64_21 Depth=1
	s_or_b32 exec_lo, exec_lo, s15
	s_and_saveexec_b32 s15, s68
	s_cbranch_execnz .LBB64_122
.LBB64_59:                              ;   in Loop: Header=BB64_21 Depth=1
	s_or_b32 exec_lo, exec_lo, s15
	s_and_saveexec_b32 s15, s69
	s_cbranch_execnz .LBB64_123
.LBB64_60:                              ;   in Loop: Header=BB64_21 Depth=1
	s_or_b32 exec_lo, exec_lo, s15
	s_and_saveexec_b32 s15, s7
	s_cbranch_execnz .LBB64_124
.LBB64_61:                              ;   in Loop: Header=BB64_21 Depth=1
	s_or_b32 exec_lo, exec_lo, s15
	s_and_saveexec_b32 s15, s70
	s_cbranch_execnz .LBB64_125
.LBB64_62:                              ;   in Loop: Header=BB64_21 Depth=1
	s_or_b32 exec_lo, exec_lo, s15
	s_and_saveexec_b32 s15, s71
	s_cbranch_execnz .LBB64_126
.LBB64_63:                              ;   in Loop: Header=BB64_21 Depth=1
	s_or_b32 exec_lo, exec_lo, s15
	s_and_saveexec_b32 s15, s72
	s_cbranch_execnz .LBB64_127
.LBB64_64:                              ;   in Loop: Header=BB64_21 Depth=1
	s_or_b32 exec_lo, exec_lo, s15
	s_and_saveexec_b32 s15, s73
	s_cbranch_execnz .LBB64_128
.LBB64_65:                              ;   in Loop: Header=BB64_21 Depth=1
	s_or_b32 exec_lo, exec_lo, s15
	s_and_saveexec_b32 s15, s74
	s_cbranch_execnz .LBB64_129
.LBB64_66:                              ;   in Loop: Header=BB64_21 Depth=1
	s_or_b32 exec_lo, exec_lo, s15
	s_and_saveexec_b32 s15, s75
	s_cbranch_execnz .LBB64_130
.LBB64_67:                              ;   in Loop: Header=BB64_21 Depth=1
	s_or_b32 exec_lo, exec_lo, s15
	s_and_saveexec_b32 s15, s76
	s_cbranch_execnz .LBB64_131
.LBB64_68:                              ;   in Loop: Header=BB64_21 Depth=1
	s_or_b32 exec_lo, exec_lo, s15
	s_and_saveexec_b32 s15, s8
	s_cbranch_execnz .LBB64_132
.LBB64_69:                              ;   in Loop: Header=BB64_21 Depth=1
	s_or_b32 exec_lo, exec_lo, s15
	s_and_saveexec_b32 s15, s77
	s_cbranch_execnz .LBB64_133
.LBB64_70:                              ;   in Loop: Header=BB64_21 Depth=1
	s_or_b32 exec_lo, exec_lo, s15
	s_and_saveexec_b32 s15, s78
	s_cbranch_execnz .LBB64_134
.LBB64_71:                              ;   in Loop: Header=BB64_21 Depth=1
	s_or_b32 exec_lo, exec_lo, s15
	s_and_saveexec_b32 s15, s79
	s_cbranch_execnz .LBB64_135
.LBB64_72:                              ;   in Loop: Header=BB64_21 Depth=1
	s_or_b32 exec_lo, exec_lo, s15
	s_and_saveexec_b32 s15, s80
	s_cbranch_execnz .LBB64_136
.LBB64_73:                              ;   in Loop: Header=BB64_21 Depth=1
	s_or_b32 exec_lo, exec_lo, s15
	s_and_saveexec_b32 s15, s81
	s_cbranch_execnz .LBB64_137
.LBB64_74:                              ;   in Loop: Header=BB64_21 Depth=1
	s_or_b32 exec_lo, exec_lo, s15
	s_and_saveexec_b32 s15, s82
	s_cbranch_execnz .LBB64_138
.LBB64_75:                              ;   in Loop: Header=BB64_21 Depth=1
	s_or_b32 exec_lo, exec_lo, s15
	s_and_saveexec_b32 s15, s83
	s_cbranch_execnz .LBB64_139
.LBB64_76:                              ;   in Loop: Header=BB64_21 Depth=1
	s_or_b32 exec_lo, exec_lo, s15
	s_and_saveexec_b32 s15, s9
	s_cbranch_execnz .LBB64_140
.LBB64_77:                              ;   in Loop: Header=BB64_21 Depth=1
	s_or_b32 exec_lo, exec_lo, s15
	s_and_saveexec_b32 s15, s84
	s_cbranch_execnz .LBB64_141
.LBB64_78:                              ;   in Loop: Header=BB64_21 Depth=1
	s_or_b32 exec_lo, exec_lo, s15
	s_and_saveexec_b32 s15, s85
	s_cbranch_execnz .LBB64_142
.LBB64_79:                              ;   in Loop: Header=BB64_21 Depth=1
	s_or_b32 exec_lo, exec_lo, s15
	s_and_saveexec_b32 s15, s10
	s_cbranch_execnz .LBB64_143
.LBB64_80:                              ;   in Loop: Header=BB64_21 Depth=1
	s_or_b32 exec_lo, exec_lo, s15
	s_and_saveexec_b32 s15, s11
	s_cbranch_execnz .LBB64_144
.LBB64_81:                              ;   in Loop: Header=BB64_21 Depth=1
	s_or_b32 exec_lo, exec_lo, s15
	s_and_saveexec_b32 s15, s12
	s_cbranch_execnz .LBB64_145
.LBB64_82:                              ;   in Loop: Header=BB64_21 Depth=1
	s_or_b32 exec_lo, exec_lo, s15
	s_and_saveexec_b32 s15, s13
	s_cbranch_execnz .LBB64_146
.LBB64_83:                              ;   in Loop: Header=BB64_21 Depth=1
	s_or_b32 exec_lo, exec_lo, s15
	s_and_saveexec_b32 s15, s14
	s_cbranch_execnz .LBB64_147
.LBB64_84:                              ;   in Loop: Header=BB64_21 Depth=1
	s_or_b32 exec_lo, exec_lo, s15
	s_and_saveexec_b32 s15, s4
	s_cbranch_execz .LBB64_20
	s_branch .LBB64_148
.LBB64_85:                              ;   in Loop: Header=BB64_21 Depth=1
	v_add_nc_u32_e32 v34, s34, v32
	global_load_b64 v[36:37], v34, s[20:21] scale_offset
	s_wait_xcnt 0x0
	v_add_nc_u32_e32 v34, v0, v31
	global_store_b32 v34, v35, s[24:25] scale_offset
	s_wait_loadcnt 0x0
	global_store_b64 v34, v[36:37], s[22:23] scale_offset
	s_wait_xcnt 0x0
	s_or_b32 exec_lo, exec_lo, s19
	v_add_nc_u32_e32 v34, s15, v1
	s_and_saveexec_b32 s19, s36
	s_cbranch_execz .LBB64_23
.LBB64_86:                              ;   in Loop: Header=BB64_21 Depth=1
	v_add3_u32 v36, v8, s34, 32
	v_add_nc_u32_e32 v37, s34, v2
	v_add3_u32 v38, v0, v31, 32
	s_delay_alu instid0(VALU_DEP_2)
	v_cndmask_b32_e32 v36, v37, v36, vcc_lo
	global_load_b64 v[36:37], v36, s[20:21] scale_offset
	global_store_b32 v38, v34, s[24:25] scale_offset
	s_wait_loadcnt 0x0
	global_store_b64 v38, v[36:37], s[22:23] scale_offset
	s_wait_xcnt 0x0
	s_or_b32 exec_lo, exec_lo, s19
	v_add_nc_u32_e32 v36, s15, v3
	s_and_saveexec_b32 s19, s37
	s_cbranch_execz .LBB64_24
.LBB64_87:                              ;   in Loop: Header=BB64_21 Depth=1
	v_add3_u32 v37, v8, s34, 64
	v_add_nc_u32_e32 v38, s34, v16
	s_delay_alu instid0(VALU_DEP_1)
	v_cndmask_b32_e32 v37, v38, v37, vcc_lo
	global_load_b64 v[38:39], v37, s[20:21] scale_offset
	s_wait_xcnt 0x0
	v_add3_u32 v37, v0, v31, 64
	global_store_b32 v37, v36, s[24:25] scale_offset
	s_wait_loadcnt 0x0
	global_store_b64 v37, v[38:39], s[22:23] scale_offset
	s_wait_xcnt 0x0
	s_or_b32 exec_lo, exec_lo, s19
	v_add_nc_u32_e32 v37, s15, v4
	s_and_saveexec_b32 s19, s38
	s_cbranch_execz .LBB64_25
.LBB64_88:                              ;   in Loop: Header=BB64_21 Depth=1
	v_add3_u32 v38, v8, s34, 0x60
	v_add_nc_u32_e32 v39, s34, v15
	v_add3_u32 v40, v0, v31, 0x60
	s_delay_alu instid0(VALU_DEP_2)
	v_cndmask_b32_e32 v38, v39, v38, vcc_lo
	global_load_b64 v[38:39], v38, s[20:21] scale_offset
	global_store_b32 v40, v37, s[24:25] scale_offset
	s_wait_loadcnt 0x0
	global_store_b64 v40, v[38:39], s[22:23] scale_offset
	s_wait_xcnt 0x0
	s_or_b32 exec_lo, exec_lo, s19
	v_add_nc_u32_e32 v38, s15, v5
	s_and_saveexec_b32 s19, s39
	s_cbranch_execz .LBB64_26
.LBB64_89:                              ;   in Loop: Header=BB64_21 Depth=1
	v_add3_u32 v39, v8, s34, 0x80
	v_add_nc_u32_e32 v40, s34, v14
	s_delay_alu instid0(VALU_DEP_1)
	v_cndmask_b32_e32 v39, v40, v39, vcc_lo
	global_load_b64 v[40:41], v39, s[20:21] scale_offset
	s_wait_xcnt 0x0
	v_add3_u32 v39, v0, v31, 0x80
	global_store_b32 v39, v38, s[24:25] scale_offset
	s_wait_loadcnt 0x0
	global_store_b64 v39, v[40:41], s[22:23] scale_offset
	s_wait_xcnt 0x0
	s_or_b32 exec_lo, exec_lo, s19
	v_add_nc_u32_e32 v39, s15, v6
	s_and_saveexec_b32 s19, s40
	s_cbranch_execz .LBB64_27
.LBB64_90:                              ;   in Loop: Header=BB64_21 Depth=1
	v_add3_u32 v40, v8, s34, 0xa0
	v_add_nc_u32_e32 v41, s34, v13
	v_add3_u32 v42, v0, v31, 0xa0
	s_delay_alu instid0(VALU_DEP_2)
	v_cndmask_b32_e32 v40, v41, v40, vcc_lo
	global_load_b64 v[40:41], v40, s[20:21] scale_offset
	global_store_b32 v42, v39, s[24:25] scale_offset
	s_wait_loadcnt 0x0
	global_store_b64 v42, v[40:41], s[22:23] scale_offset
	s_wait_xcnt 0x0
	s_or_b32 exec_lo, exec_lo, s19
	v_add_nc_u32_e32 v40, s15, v7
	s_and_saveexec_b32 s19, s41
	s_cbranch_execz .LBB64_28
.LBB64_91:                              ;   in Loop: Header=BB64_21 Depth=1
	v_add3_u32 v41, v8, s34, 0xc0
	v_add_nc_u32_e32 v42, s34, v12
	s_delay_alu instid0(VALU_DEP_1)
	v_cndmask_b32_e32 v41, v42, v41, vcc_lo
	global_load_b64 v[42:43], v41, s[20:21] scale_offset
	s_wait_xcnt 0x0
	v_add3_u32 v41, v0, v31, 0xc0
	global_store_b32 v41, v40, s[24:25] scale_offset
	s_wait_loadcnt 0x0
	global_store_b64 v41, v[42:43], s[22:23] scale_offset
	s_wait_xcnt 0x0
	s_or_b32 exec_lo, exec_lo, s19
	v_add_nc_u32_e32 v41, s15, v10
	s_and_saveexec_b32 s15, s2
	s_cbranch_execz .LBB64_29
.LBB64_92:                              ;   in Loop: Header=BB64_21 Depth=1
	v_add3_u32 v42, v8, s34, 0xe0
	v_add_nc_u32_e32 v43, s34, v11
	v_add3_u32 v44, v0, v31, 0xe0
	s_delay_alu instid0(VALU_DEP_2)
	v_cndmask_b32_e32 v42, v43, v42, vcc_lo
	global_load_b64 v[42:43], v42, s[20:21] scale_offset
	global_store_b32 v44, v41, s[24:25] scale_offset
	s_wait_loadcnt 0x0
	global_store_b64 v44, v[42:43], s[22:23] scale_offset
	s_wait_xcnt 0x0
	s_or_b32 exec_lo, exec_lo, s15
	s_and_saveexec_b32 s15, s42
	s_cbranch_execz .LBB64_30
.LBB64_93:                              ;   in Loop: Header=BB64_21 Depth=1
	v_dual_add_nc_u32 v42, s34, v17 :: v_dual_add_nc_u32 v44, v0, v30
	v_add3_u32 v43, v9, s34, 32
	s_delay_alu instid0(VALU_DEP_1)
	v_cndmask_b32_e32 v42, v43, v42, vcc_lo
	global_load_b64 v[42:43], v42, s[20:21] scale_offset
	global_store_b32 v44, v35, s[24:25] scale_offset
	s_wait_loadcnt 0x0
	global_store_b64 v44, v[42:43], s[22:23] scale_offset
	s_wait_xcnt 0x0
	s_or_b32 exec_lo, exec_lo, s15
	s_and_saveexec_b32 s15, s43
	s_cbranch_execz .LBB64_31
.LBB64_94:                              ;   in Loop: Header=BB64_21 Depth=1
	v_add3_u32 v42, v33, s34, 32
	v_add3_u32 v44, v0, v30, 32
	global_load_b64 v[42:43], v42, s[20:21] scale_offset
	global_store_b32 v44, v34, s[24:25] scale_offset
	s_wait_loadcnt 0x0
	global_store_b64 v44, v[42:43], s[22:23] scale_offset
	s_wait_xcnt 0x0
	s_or_b32 exec_lo, exec_lo, s15
	s_and_saveexec_b32 s15, s44
	s_cbranch_execz .LBB64_32
.LBB64_95:                              ;   in Loop: Header=BB64_21 Depth=1
	v_add3_u32 v42, v17, s34, 64
	v_add3_u32 v43, v16, s34, 32
	;; [unrolled: 1-line block ×3, first 2 shown]
	s_delay_alu instid0(VALU_DEP_2)
	v_cndmask_b32_e32 v42, v43, v42, vcc_lo
	global_load_b64 v[42:43], v42, s[20:21] scale_offset
	global_store_b32 v44, v36, s[24:25] scale_offset
	s_wait_loadcnt 0x0
	global_store_b64 v44, v[42:43], s[22:23] scale_offset
	s_wait_xcnt 0x0
	s_or_b32 exec_lo, exec_lo, s15
	s_and_saveexec_b32 s15, s45
	s_cbranch_execz .LBB64_33
.LBB64_96:                              ;   in Loop: Header=BB64_21 Depth=1
	v_add3_u32 v42, v17, s34, 0x60
	v_add3_u32 v43, v15, s34, 32
	;; [unrolled: 1-line block ×3, first 2 shown]
	s_delay_alu instid0(VALU_DEP_2)
	v_cndmask_b32_e32 v42, v43, v42, vcc_lo
	global_load_b64 v[42:43], v42, s[20:21] scale_offset
	global_store_b32 v44, v37, s[24:25] scale_offset
	s_wait_loadcnt 0x0
	global_store_b64 v44, v[42:43], s[22:23] scale_offset
	s_wait_xcnt 0x0
	s_or_b32 exec_lo, exec_lo, s15
	s_and_saveexec_b32 s15, s46
	s_cbranch_execz .LBB64_34
.LBB64_97:                              ;   in Loop: Header=BB64_21 Depth=1
	v_add3_u32 v42, v17, s34, 0x80
	v_add3_u32 v43, v14, s34, 32
	;; [unrolled: 1-line block ×3, first 2 shown]
	s_delay_alu instid0(VALU_DEP_2)
	v_cndmask_b32_e32 v42, v43, v42, vcc_lo
	global_load_b64 v[42:43], v42, s[20:21] scale_offset
	global_store_b32 v44, v38, s[24:25] scale_offset
	s_wait_loadcnt 0x0
	global_store_b64 v44, v[42:43], s[22:23] scale_offset
	s_wait_xcnt 0x0
	s_or_b32 exec_lo, exec_lo, s15
	s_and_saveexec_b32 s15, s47
	s_cbranch_execz .LBB64_35
.LBB64_98:                              ;   in Loop: Header=BB64_21 Depth=1
	v_add3_u32 v42, v17, s34, 0xa0
	v_add3_u32 v43, v13, s34, 32
	;; [unrolled: 1-line block ×3, first 2 shown]
	s_delay_alu instid0(VALU_DEP_2)
	v_cndmask_b32_e32 v42, v43, v42, vcc_lo
	global_load_b64 v[42:43], v42, s[20:21] scale_offset
	global_store_b32 v44, v39, s[24:25] scale_offset
	s_wait_loadcnt 0x0
	global_store_b64 v44, v[42:43], s[22:23] scale_offset
	s_wait_xcnt 0x0
	s_or_b32 exec_lo, exec_lo, s15
	s_and_saveexec_b32 s15, s48
	s_cbranch_execz .LBB64_36
.LBB64_99:                              ;   in Loop: Header=BB64_21 Depth=1
	v_add3_u32 v42, v17, s34, 0xc0
	v_add3_u32 v43, v12, s34, 32
	v_add3_u32 v44, v0, v30, 0xc0
	s_delay_alu instid0(VALU_DEP_2)
	v_cndmask_b32_e32 v42, v43, v42, vcc_lo
	global_load_b64 v[42:43], v42, s[20:21] scale_offset
	global_store_b32 v44, v40, s[24:25] scale_offset
	s_wait_loadcnt 0x0
	global_store_b64 v44, v[42:43], s[22:23] scale_offset
	s_wait_xcnt 0x0
	s_or_b32 exec_lo, exec_lo, s15
	s_and_saveexec_b32 s15, s3
	s_cbranch_execz .LBB64_37
.LBB64_100:                             ;   in Loop: Header=BB64_21 Depth=1
	v_add3_u32 v42, v17, s34, 0xe0
	v_add3_u32 v43, v11, s34, 32
	;; [unrolled: 1-line block ×3, first 2 shown]
	s_delay_alu instid0(VALU_DEP_2)
	v_cndmask_b32_e32 v42, v43, v42, vcc_lo
	global_load_b64 v[42:43], v42, s[20:21] scale_offset
	global_store_b32 v44, v41, s[24:25] scale_offset
	s_wait_loadcnt 0x0
	global_store_b64 v44, v[42:43], s[22:23] scale_offset
	s_wait_xcnt 0x0
	s_or_b32 exec_lo, exec_lo, s15
	s_and_saveexec_b32 s15, s49
	s_cbranch_execz .LBB64_38
.LBB64_101:                             ;   in Loop: Header=BB64_21 Depth=1
	v_dual_add_nc_u32 v42, s34, v18 :: v_dual_add_nc_u32 v44, v0, v29
	v_add3_u32 v43, v9, s34, 64
	s_delay_alu instid0(VALU_DEP_1)
	v_cndmask_b32_e32 v42, v43, v42, vcc_lo
	global_load_b64 v[42:43], v42, s[20:21] scale_offset
	global_store_b32 v44, v35, s[24:25] scale_offset
	s_wait_loadcnt 0x0
	global_store_b64 v44, v[42:43], s[22:23] scale_offset
	s_wait_xcnt 0x0
	s_or_b32 exec_lo, exec_lo, s15
	s_and_saveexec_b32 s15, s50
	s_cbranch_execz .LBB64_39
.LBB64_102:                             ;   in Loop: Header=BB64_21 Depth=1
	v_add3_u32 v42, v18, s34, 32
	v_add3_u32 v43, v2, s34, 64
	v_add3_u32 v44, v0, v29, 32
	s_delay_alu instid0(VALU_DEP_2)
	v_cndmask_b32_e32 v42, v43, v42, vcc_lo
	global_load_b64 v[42:43], v42, s[20:21] scale_offset
	global_store_b32 v44, v34, s[24:25] scale_offset
	s_wait_loadcnt 0x0
	global_store_b64 v44, v[42:43], s[22:23] scale_offset
	s_wait_xcnt 0x0
	s_or_b32 exec_lo, exec_lo, s15
	s_and_saveexec_b32 s15, s51
	s_cbranch_execz .LBB64_40
.LBB64_103:                             ;   in Loop: Header=BB64_21 Depth=1
	v_cndmask_b32_e32 v42, v16, v18, vcc_lo
	v_add3_u32 v44, v0, v29, 64
	s_delay_alu instid0(VALU_DEP_2)
	v_add3_u32 v42, v42, s34, 64
	global_load_b64 v[42:43], v42, s[20:21] scale_offset
	global_store_b32 v44, v36, s[24:25] scale_offset
	s_wait_loadcnt 0x0
	global_store_b64 v44, v[42:43], s[22:23] scale_offset
	s_wait_xcnt 0x0
	s_or_b32 exec_lo, exec_lo, s15
	s_and_saveexec_b32 s15, s52
	s_cbranch_execz .LBB64_41
.LBB64_104:                             ;   in Loop: Header=BB64_21 Depth=1
	v_add3_u32 v42, v18, s34, 0x60
	v_add3_u32 v43, v15, s34, 64
	;; [unrolled: 1-line block ×3, first 2 shown]
	s_delay_alu instid0(VALU_DEP_2)
	v_cndmask_b32_e32 v42, v43, v42, vcc_lo
	global_load_b64 v[42:43], v42, s[20:21] scale_offset
	global_store_b32 v44, v37, s[24:25] scale_offset
	s_wait_loadcnt 0x0
	global_store_b64 v44, v[42:43], s[22:23] scale_offset
	s_wait_xcnt 0x0
	s_or_b32 exec_lo, exec_lo, s15
	s_and_saveexec_b32 s15, s53
	s_cbranch_execz .LBB64_42
.LBB64_105:                             ;   in Loop: Header=BB64_21 Depth=1
	v_add3_u32 v42, v18, s34, 0x80
	v_add3_u32 v43, v14, s34, 64
	;; [unrolled: 1-line block ×3, first 2 shown]
	s_delay_alu instid0(VALU_DEP_2)
	v_cndmask_b32_e32 v42, v43, v42, vcc_lo
	global_load_b64 v[42:43], v42, s[20:21] scale_offset
	global_store_b32 v44, v38, s[24:25] scale_offset
	s_wait_loadcnt 0x0
	global_store_b64 v44, v[42:43], s[22:23] scale_offset
	s_wait_xcnt 0x0
	s_or_b32 exec_lo, exec_lo, s15
	s_and_saveexec_b32 s15, s54
	s_cbranch_execz .LBB64_43
.LBB64_106:                             ;   in Loop: Header=BB64_21 Depth=1
	v_add3_u32 v42, v18, s34, 0xa0
	v_add3_u32 v43, v13, s34, 64
	;; [unrolled: 1-line block ×3, first 2 shown]
	s_delay_alu instid0(VALU_DEP_2)
	v_cndmask_b32_e32 v42, v43, v42, vcc_lo
	global_load_b64 v[42:43], v42, s[20:21] scale_offset
	global_store_b32 v44, v39, s[24:25] scale_offset
	s_wait_loadcnt 0x0
	global_store_b64 v44, v[42:43], s[22:23] scale_offset
	s_wait_xcnt 0x0
	s_or_b32 exec_lo, exec_lo, s15
	s_and_saveexec_b32 s15, s55
	s_cbranch_execz .LBB64_44
.LBB64_107:                             ;   in Loop: Header=BB64_21 Depth=1
	v_add3_u32 v42, v18, s34, 0xc0
	v_add3_u32 v43, v12, s34, 64
	;; [unrolled: 1-line block ×3, first 2 shown]
	s_delay_alu instid0(VALU_DEP_2)
	v_cndmask_b32_e32 v42, v43, v42, vcc_lo
	global_load_b64 v[42:43], v42, s[20:21] scale_offset
	global_store_b32 v44, v40, s[24:25] scale_offset
	s_wait_loadcnt 0x0
	global_store_b64 v44, v[42:43], s[22:23] scale_offset
	s_wait_xcnt 0x0
	s_or_b32 exec_lo, exec_lo, s15
	s_and_saveexec_b32 s15, s5
	s_cbranch_execz .LBB64_45
.LBB64_108:                             ;   in Loop: Header=BB64_21 Depth=1
	v_add3_u32 v42, v18, s34, 0xe0
	v_add3_u32 v43, v11, s34, 64
	;; [unrolled: 1-line block ×3, first 2 shown]
	s_delay_alu instid0(VALU_DEP_2)
	v_cndmask_b32_e32 v42, v43, v42, vcc_lo
	global_load_b64 v[42:43], v42, s[20:21] scale_offset
	global_store_b32 v44, v41, s[24:25] scale_offset
	s_wait_loadcnt 0x0
	global_store_b64 v44, v[42:43], s[22:23] scale_offset
	s_wait_xcnt 0x0
	s_or_b32 exec_lo, exec_lo, s15
	s_and_saveexec_b32 s15, s56
	s_cbranch_execz .LBB64_46
.LBB64_109:                             ;   in Loop: Header=BB64_21 Depth=1
	v_dual_add_nc_u32 v42, s34, v19 :: v_dual_add_nc_u32 v44, v0, v28
	v_add3_u32 v43, v9, s34, 0x60
	s_delay_alu instid0(VALU_DEP_1)
	v_cndmask_b32_e32 v42, v43, v42, vcc_lo
	global_load_b64 v[42:43], v42, s[20:21] scale_offset
	global_store_b32 v44, v35, s[24:25] scale_offset
	s_wait_loadcnt 0x0
	global_store_b64 v44, v[42:43], s[22:23] scale_offset
	s_wait_xcnt 0x0
	s_or_b32 exec_lo, exec_lo, s15
	s_and_saveexec_b32 s15, s57
	s_cbranch_execz .LBB64_47
.LBB64_110:                             ;   in Loop: Header=BB64_21 Depth=1
	v_add3_u32 v42, v19, s34, 32
	v_add3_u32 v43, v2, s34, 0x60
	;; [unrolled: 1-line block ×3, first 2 shown]
	s_delay_alu instid0(VALU_DEP_2)
	v_cndmask_b32_e32 v42, v43, v42, vcc_lo
	global_load_b64 v[42:43], v42, s[20:21] scale_offset
	global_store_b32 v44, v34, s[24:25] scale_offset
	s_wait_loadcnt 0x0
	global_store_b64 v44, v[42:43], s[22:23] scale_offset
	s_wait_xcnt 0x0
	s_or_b32 exec_lo, exec_lo, s15
	s_and_saveexec_b32 s15, s58
	s_cbranch_execz .LBB64_48
.LBB64_111:                             ;   in Loop: Header=BB64_21 Depth=1
	v_add3_u32 v42, v19, s34, 64
	v_add3_u32 v43, v16, s34, 0x60
	;; [unrolled: 1-line block ×3, first 2 shown]
	s_delay_alu instid0(VALU_DEP_2)
	v_cndmask_b32_e32 v42, v43, v42, vcc_lo
	global_load_b64 v[42:43], v42, s[20:21] scale_offset
	global_store_b32 v44, v36, s[24:25] scale_offset
	s_wait_loadcnt 0x0
	global_store_b64 v44, v[42:43], s[22:23] scale_offset
	s_wait_xcnt 0x0
	s_or_b32 exec_lo, exec_lo, s15
	s_and_saveexec_b32 s15, s59
	s_cbranch_execz .LBB64_49
.LBB64_112:                             ;   in Loop: Header=BB64_21 Depth=1
	v_cndmask_b32_e32 v42, v15, v19, vcc_lo
	v_add3_u32 v44, v0, v28, 0x60
	s_delay_alu instid0(VALU_DEP_2)
	v_add3_u32 v42, v42, s34, 0x60
	global_load_b64 v[42:43], v42, s[20:21] scale_offset
	global_store_b32 v44, v37, s[24:25] scale_offset
	s_wait_loadcnt 0x0
	global_store_b64 v44, v[42:43], s[22:23] scale_offset
	s_wait_xcnt 0x0
	s_or_b32 exec_lo, exec_lo, s15
	s_and_saveexec_b32 s15, s60
	s_cbranch_execz .LBB64_50
.LBB64_113:                             ;   in Loop: Header=BB64_21 Depth=1
	v_add3_u32 v42, v19, s34, 0x80
	v_add3_u32 v43, v14, s34, 0x60
	;; [unrolled: 1-line block ×3, first 2 shown]
	s_delay_alu instid0(VALU_DEP_2)
	v_cndmask_b32_e32 v42, v43, v42, vcc_lo
	global_load_b64 v[42:43], v42, s[20:21] scale_offset
	global_store_b32 v44, v38, s[24:25] scale_offset
	s_wait_loadcnt 0x0
	global_store_b64 v44, v[42:43], s[22:23] scale_offset
	s_wait_xcnt 0x0
	s_or_b32 exec_lo, exec_lo, s15
	s_and_saveexec_b32 s15, s61
	s_cbranch_execz .LBB64_51
.LBB64_114:                             ;   in Loop: Header=BB64_21 Depth=1
	v_add3_u32 v42, v19, s34, 0xa0
	v_add3_u32 v43, v13, s34, 0x60
	;; [unrolled: 1-line block ×3, first 2 shown]
	s_delay_alu instid0(VALU_DEP_2)
	v_cndmask_b32_e32 v42, v43, v42, vcc_lo
	global_load_b64 v[42:43], v42, s[20:21] scale_offset
	global_store_b32 v44, v39, s[24:25] scale_offset
	s_wait_loadcnt 0x0
	global_store_b64 v44, v[42:43], s[22:23] scale_offset
	s_wait_xcnt 0x0
	s_or_b32 exec_lo, exec_lo, s15
	s_and_saveexec_b32 s15, s62
	s_cbranch_execz .LBB64_52
.LBB64_115:                             ;   in Loop: Header=BB64_21 Depth=1
	v_add3_u32 v42, v19, s34, 0xc0
	v_add3_u32 v43, v12, s34, 0x60
	;; [unrolled: 1-line block ×3, first 2 shown]
	s_delay_alu instid0(VALU_DEP_2)
	v_cndmask_b32_e32 v42, v43, v42, vcc_lo
	global_load_b64 v[42:43], v42, s[20:21] scale_offset
	global_store_b32 v44, v40, s[24:25] scale_offset
	s_wait_loadcnt 0x0
	global_store_b64 v44, v[42:43], s[22:23] scale_offset
	s_wait_xcnt 0x0
	s_or_b32 exec_lo, exec_lo, s15
	s_and_saveexec_b32 s15, s6
	s_cbranch_execz .LBB64_53
.LBB64_116:                             ;   in Loop: Header=BB64_21 Depth=1
	v_add3_u32 v42, v19, s34, 0xe0
	v_add3_u32 v43, v11, s34, 0x60
	;; [unrolled: 1-line block ×3, first 2 shown]
	s_delay_alu instid0(VALU_DEP_2)
	v_cndmask_b32_e32 v42, v43, v42, vcc_lo
	global_load_b64 v[42:43], v42, s[20:21] scale_offset
	global_store_b32 v44, v41, s[24:25] scale_offset
	s_wait_loadcnt 0x0
	global_store_b64 v44, v[42:43], s[22:23] scale_offset
	s_wait_xcnt 0x0
	s_or_b32 exec_lo, exec_lo, s15
	s_and_saveexec_b32 s15, s63
	s_cbranch_execz .LBB64_54
.LBB64_117:                             ;   in Loop: Header=BB64_21 Depth=1
	v_dual_add_nc_u32 v42, s34, v20 :: v_dual_add_nc_u32 v44, v0, v27
	v_add3_u32 v43, v9, s34, 0x80
	s_delay_alu instid0(VALU_DEP_1)
	v_cndmask_b32_e32 v42, v43, v42, vcc_lo
	global_load_b64 v[42:43], v42, s[20:21] scale_offset
	global_store_b32 v44, v35, s[24:25] scale_offset
	s_wait_loadcnt 0x0
	global_store_b64 v44, v[42:43], s[22:23] scale_offset
	s_wait_xcnt 0x0
	s_or_b32 exec_lo, exec_lo, s15
	s_and_saveexec_b32 s15, s64
	s_cbranch_execz .LBB64_55
.LBB64_118:                             ;   in Loop: Header=BB64_21 Depth=1
	v_add3_u32 v42, v20, s34, 32
	v_add3_u32 v43, v2, s34, 0x80
	;; [unrolled: 1-line block ×3, first 2 shown]
	s_delay_alu instid0(VALU_DEP_2)
	v_cndmask_b32_e32 v42, v43, v42, vcc_lo
	global_load_b64 v[42:43], v42, s[20:21] scale_offset
	global_store_b32 v44, v34, s[24:25] scale_offset
	s_wait_loadcnt 0x0
	global_store_b64 v44, v[42:43], s[22:23] scale_offset
	s_wait_xcnt 0x0
	s_or_b32 exec_lo, exec_lo, s15
	s_and_saveexec_b32 s15, s65
	s_cbranch_execz .LBB64_56
.LBB64_119:                             ;   in Loop: Header=BB64_21 Depth=1
	v_add3_u32 v42, v20, s34, 64
	v_add3_u32 v43, v16, s34, 0x80
	;; [unrolled: 1-line block ×3, first 2 shown]
	s_delay_alu instid0(VALU_DEP_2)
	v_cndmask_b32_e32 v42, v43, v42, vcc_lo
	global_load_b64 v[42:43], v42, s[20:21] scale_offset
	global_store_b32 v44, v36, s[24:25] scale_offset
	s_wait_loadcnt 0x0
	global_store_b64 v44, v[42:43], s[22:23] scale_offset
	s_wait_xcnt 0x0
	s_or_b32 exec_lo, exec_lo, s15
	s_and_saveexec_b32 s15, s66
	s_cbranch_execz .LBB64_57
.LBB64_120:                             ;   in Loop: Header=BB64_21 Depth=1
	v_add3_u32 v42, v20, s34, 0x60
	v_add3_u32 v43, v15, s34, 0x80
	;; [unrolled: 1-line block ×3, first 2 shown]
	s_delay_alu instid0(VALU_DEP_2)
	v_cndmask_b32_e32 v42, v43, v42, vcc_lo
	global_load_b64 v[42:43], v42, s[20:21] scale_offset
	global_store_b32 v44, v37, s[24:25] scale_offset
	s_wait_loadcnt 0x0
	global_store_b64 v44, v[42:43], s[22:23] scale_offset
	s_wait_xcnt 0x0
	s_or_b32 exec_lo, exec_lo, s15
	s_and_saveexec_b32 s15, s67
	s_cbranch_execz .LBB64_58
.LBB64_121:                             ;   in Loop: Header=BB64_21 Depth=1
	v_cndmask_b32_e32 v42, v14, v20, vcc_lo
	v_add3_u32 v44, v0, v27, 0x80
	s_delay_alu instid0(VALU_DEP_2)
	v_add3_u32 v42, v42, s34, 0x80
	global_load_b64 v[42:43], v42, s[20:21] scale_offset
	global_store_b32 v44, v38, s[24:25] scale_offset
	s_wait_loadcnt 0x0
	global_store_b64 v44, v[42:43], s[22:23] scale_offset
	s_wait_xcnt 0x0
	s_or_b32 exec_lo, exec_lo, s15
	s_and_saveexec_b32 s15, s68
	s_cbranch_execz .LBB64_59
.LBB64_122:                             ;   in Loop: Header=BB64_21 Depth=1
	v_add3_u32 v42, v20, s34, 0xa0
	v_add3_u32 v43, v13, s34, 0x80
	;; [unrolled: 1-line block ×3, first 2 shown]
	s_delay_alu instid0(VALU_DEP_2)
	v_cndmask_b32_e32 v42, v43, v42, vcc_lo
	global_load_b64 v[42:43], v42, s[20:21] scale_offset
	global_store_b32 v44, v39, s[24:25] scale_offset
	s_wait_loadcnt 0x0
	global_store_b64 v44, v[42:43], s[22:23] scale_offset
	s_wait_xcnt 0x0
	s_or_b32 exec_lo, exec_lo, s15
	s_and_saveexec_b32 s15, s69
	s_cbranch_execz .LBB64_60
.LBB64_123:                             ;   in Loop: Header=BB64_21 Depth=1
	v_add3_u32 v42, v20, s34, 0xc0
	v_add3_u32 v43, v12, s34, 0x80
	;; [unrolled: 1-line block ×3, first 2 shown]
	s_delay_alu instid0(VALU_DEP_2)
	v_cndmask_b32_e32 v42, v43, v42, vcc_lo
	global_load_b64 v[42:43], v42, s[20:21] scale_offset
	global_store_b32 v44, v40, s[24:25] scale_offset
	s_wait_loadcnt 0x0
	global_store_b64 v44, v[42:43], s[22:23] scale_offset
	s_wait_xcnt 0x0
	s_or_b32 exec_lo, exec_lo, s15
	s_and_saveexec_b32 s15, s7
	s_cbranch_execz .LBB64_61
.LBB64_124:                             ;   in Loop: Header=BB64_21 Depth=1
	v_add3_u32 v42, v20, s34, 0xe0
	v_add3_u32 v43, v11, s34, 0x80
	;; [unrolled: 1-line block ×3, first 2 shown]
	s_delay_alu instid0(VALU_DEP_2)
	v_cndmask_b32_e32 v42, v43, v42, vcc_lo
	global_load_b64 v[42:43], v42, s[20:21] scale_offset
	global_store_b32 v44, v41, s[24:25] scale_offset
	s_wait_loadcnt 0x0
	global_store_b64 v44, v[42:43], s[22:23] scale_offset
	s_wait_xcnt 0x0
	s_or_b32 exec_lo, exec_lo, s15
	s_and_saveexec_b32 s15, s70
	s_cbranch_execz .LBB64_62
.LBB64_125:                             ;   in Loop: Header=BB64_21 Depth=1
	v_dual_add_nc_u32 v42, s34, v21 :: v_dual_add_nc_u32 v44, v0, v26
	v_add3_u32 v43, v9, s34, 0xa0
	s_delay_alu instid0(VALU_DEP_1)
	v_cndmask_b32_e32 v42, v43, v42, vcc_lo
	global_load_b64 v[42:43], v42, s[20:21] scale_offset
	global_store_b32 v44, v35, s[24:25] scale_offset
	s_wait_loadcnt 0x0
	global_store_b64 v44, v[42:43], s[22:23] scale_offset
	s_wait_xcnt 0x0
	s_or_b32 exec_lo, exec_lo, s15
	s_and_saveexec_b32 s15, s71
	s_cbranch_execz .LBB64_63
.LBB64_126:                             ;   in Loop: Header=BB64_21 Depth=1
	v_add3_u32 v42, v21, s34, 32
	v_add3_u32 v43, v2, s34, 0xa0
	v_add3_u32 v44, v0, v26, 32
	s_delay_alu instid0(VALU_DEP_2)
	v_cndmask_b32_e32 v42, v43, v42, vcc_lo
	global_load_b64 v[42:43], v42, s[20:21] scale_offset
	global_store_b32 v44, v34, s[24:25] scale_offset
	s_wait_loadcnt 0x0
	global_store_b64 v44, v[42:43], s[22:23] scale_offset
	s_wait_xcnt 0x0
	s_or_b32 exec_lo, exec_lo, s15
	s_and_saveexec_b32 s15, s72
	s_cbranch_execz .LBB64_64
.LBB64_127:                             ;   in Loop: Header=BB64_21 Depth=1
	v_add3_u32 v42, v21, s34, 64
	v_add3_u32 v43, v16, s34, 0xa0
	;; [unrolled: 1-line block ×3, first 2 shown]
	s_delay_alu instid0(VALU_DEP_2)
	v_cndmask_b32_e32 v42, v43, v42, vcc_lo
	global_load_b64 v[42:43], v42, s[20:21] scale_offset
	global_store_b32 v44, v36, s[24:25] scale_offset
	s_wait_loadcnt 0x0
	global_store_b64 v44, v[42:43], s[22:23] scale_offset
	s_wait_xcnt 0x0
	s_or_b32 exec_lo, exec_lo, s15
	s_and_saveexec_b32 s15, s73
	s_cbranch_execz .LBB64_65
.LBB64_128:                             ;   in Loop: Header=BB64_21 Depth=1
	v_add3_u32 v42, v21, s34, 0x60
	v_add3_u32 v43, v15, s34, 0xa0
	;; [unrolled: 1-line block ×3, first 2 shown]
	s_delay_alu instid0(VALU_DEP_2)
	v_cndmask_b32_e32 v42, v43, v42, vcc_lo
	global_load_b64 v[42:43], v42, s[20:21] scale_offset
	global_store_b32 v44, v37, s[24:25] scale_offset
	s_wait_loadcnt 0x0
	global_store_b64 v44, v[42:43], s[22:23] scale_offset
	s_wait_xcnt 0x0
	s_or_b32 exec_lo, exec_lo, s15
	s_and_saveexec_b32 s15, s74
	s_cbranch_execz .LBB64_66
.LBB64_129:                             ;   in Loop: Header=BB64_21 Depth=1
	v_add3_u32 v42, v21, s34, 0x80
	v_add3_u32 v43, v14, s34, 0xa0
	;; [unrolled: 1-line block ×3, first 2 shown]
	s_delay_alu instid0(VALU_DEP_2)
	v_cndmask_b32_e32 v42, v43, v42, vcc_lo
	global_load_b64 v[42:43], v42, s[20:21] scale_offset
	global_store_b32 v44, v38, s[24:25] scale_offset
	s_wait_loadcnt 0x0
	global_store_b64 v44, v[42:43], s[22:23] scale_offset
	s_wait_xcnt 0x0
	s_or_b32 exec_lo, exec_lo, s15
	s_and_saveexec_b32 s15, s75
	s_cbranch_execz .LBB64_67
.LBB64_130:                             ;   in Loop: Header=BB64_21 Depth=1
	v_cndmask_b32_e32 v42, v13, v21, vcc_lo
	v_add3_u32 v44, v0, v26, 0xa0
	s_delay_alu instid0(VALU_DEP_2)
	v_add3_u32 v42, v42, s34, 0xa0
	global_load_b64 v[42:43], v42, s[20:21] scale_offset
	global_store_b32 v44, v39, s[24:25] scale_offset
	s_wait_loadcnt 0x0
	global_store_b64 v44, v[42:43], s[22:23] scale_offset
	s_wait_xcnt 0x0
	s_or_b32 exec_lo, exec_lo, s15
	s_and_saveexec_b32 s15, s76
	s_cbranch_execz .LBB64_68
.LBB64_131:                             ;   in Loop: Header=BB64_21 Depth=1
	v_add3_u32 v42, v21, s34, 0xc0
	v_add3_u32 v43, v12, s34, 0xa0
	;; [unrolled: 1-line block ×3, first 2 shown]
	s_delay_alu instid0(VALU_DEP_2)
	v_cndmask_b32_e32 v42, v43, v42, vcc_lo
	global_load_b64 v[42:43], v42, s[20:21] scale_offset
	global_store_b32 v44, v40, s[24:25] scale_offset
	s_wait_loadcnt 0x0
	global_store_b64 v44, v[42:43], s[22:23] scale_offset
	s_wait_xcnt 0x0
	s_or_b32 exec_lo, exec_lo, s15
	s_and_saveexec_b32 s15, s8
	s_cbranch_execz .LBB64_69
.LBB64_132:                             ;   in Loop: Header=BB64_21 Depth=1
	v_add3_u32 v42, v21, s34, 0xe0
	v_add3_u32 v43, v11, s34, 0xa0
	;; [unrolled: 1-line block ×3, first 2 shown]
	s_delay_alu instid0(VALU_DEP_2)
	v_cndmask_b32_e32 v42, v43, v42, vcc_lo
	global_load_b64 v[42:43], v42, s[20:21] scale_offset
	global_store_b32 v44, v41, s[24:25] scale_offset
	s_wait_loadcnt 0x0
	global_store_b64 v44, v[42:43], s[22:23] scale_offset
	s_wait_xcnt 0x0
	s_or_b32 exec_lo, exec_lo, s15
	s_and_saveexec_b32 s15, s77
	s_cbranch_execz .LBB64_70
.LBB64_133:                             ;   in Loop: Header=BB64_21 Depth=1
	v_dual_add_nc_u32 v42, s34, v22 :: v_dual_add_nc_u32 v44, v0, v25
	v_add3_u32 v43, v9, s34, 0xc0
	s_delay_alu instid0(VALU_DEP_1)
	v_cndmask_b32_e32 v42, v43, v42, vcc_lo
	global_load_b64 v[42:43], v42, s[20:21] scale_offset
	global_store_b32 v44, v35, s[24:25] scale_offset
	s_wait_loadcnt 0x0
	global_store_b64 v44, v[42:43], s[22:23] scale_offset
	s_wait_xcnt 0x0
	s_or_b32 exec_lo, exec_lo, s15
	s_and_saveexec_b32 s15, s78
	s_cbranch_execz .LBB64_71
.LBB64_134:                             ;   in Loop: Header=BB64_21 Depth=1
	v_add3_u32 v42, v22, s34, 32
	v_add3_u32 v43, v2, s34, 0xc0
	;; [unrolled: 1-line block ×3, first 2 shown]
	s_delay_alu instid0(VALU_DEP_2)
	v_cndmask_b32_e32 v42, v43, v42, vcc_lo
	global_load_b64 v[42:43], v42, s[20:21] scale_offset
	global_store_b32 v44, v34, s[24:25] scale_offset
	s_wait_loadcnt 0x0
	global_store_b64 v44, v[42:43], s[22:23] scale_offset
	s_wait_xcnt 0x0
	s_or_b32 exec_lo, exec_lo, s15
	s_and_saveexec_b32 s15, s79
	s_cbranch_execz .LBB64_72
.LBB64_135:                             ;   in Loop: Header=BB64_21 Depth=1
	v_add3_u32 v42, v22, s34, 64
	v_add3_u32 v43, v16, s34, 0xc0
	;; [unrolled: 1-line block ×3, first 2 shown]
	s_delay_alu instid0(VALU_DEP_2)
	v_cndmask_b32_e32 v42, v43, v42, vcc_lo
	global_load_b64 v[42:43], v42, s[20:21] scale_offset
	global_store_b32 v44, v36, s[24:25] scale_offset
	s_wait_loadcnt 0x0
	global_store_b64 v44, v[42:43], s[22:23] scale_offset
	s_wait_xcnt 0x0
	s_or_b32 exec_lo, exec_lo, s15
	s_and_saveexec_b32 s15, s80
	s_cbranch_execz .LBB64_73
.LBB64_136:                             ;   in Loop: Header=BB64_21 Depth=1
	v_add3_u32 v42, v22, s34, 0x60
	v_add3_u32 v43, v15, s34, 0xc0
	;; [unrolled: 1-line block ×3, first 2 shown]
	s_delay_alu instid0(VALU_DEP_2)
	v_cndmask_b32_e32 v42, v43, v42, vcc_lo
	global_load_b64 v[42:43], v42, s[20:21] scale_offset
	global_store_b32 v44, v37, s[24:25] scale_offset
	s_wait_loadcnt 0x0
	global_store_b64 v44, v[42:43], s[22:23] scale_offset
	s_wait_xcnt 0x0
	s_or_b32 exec_lo, exec_lo, s15
	s_and_saveexec_b32 s15, s81
	s_cbranch_execz .LBB64_74
.LBB64_137:                             ;   in Loop: Header=BB64_21 Depth=1
	v_add3_u32 v42, v22, s34, 0x80
	v_add3_u32 v43, v14, s34, 0xc0
	;; [unrolled: 1-line block ×3, first 2 shown]
	s_delay_alu instid0(VALU_DEP_2)
	v_cndmask_b32_e32 v42, v43, v42, vcc_lo
	global_load_b64 v[42:43], v42, s[20:21] scale_offset
	global_store_b32 v44, v38, s[24:25] scale_offset
	s_wait_loadcnt 0x0
	global_store_b64 v44, v[42:43], s[22:23] scale_offset
	s_wait_xcnt 0x0
	s_or_b32 exec_lo, exec_lo, s15
	s_and_saveexec_b32 s15, s82
	s_cbranch_execz .LBB64_75
.LBB64_138:                             ;   in Loop: Header=BB64_21 Depth=1
	v_add3_u32 v42, v22, s34, 0xa0
	v_add3_u32 v43, v13, s34, 0xc0
	;; [unrolled: 1-line block ×3, first 2 shown]
	s_delay_alu instid0(VALU_DEP_2)
	v_cndmask_b32_e32 v42, v43, v42, vcc_lo
	global_load_b64 v[42:43], v42, s[20:21] scale_offset
	global_store_b32 v44, v39, s[24:25] scale_offset
	s_wait_loadcnt 0x0
	global_store_b64 v44, v[42:43], s[22:23] scale_offset
	s_wait_xcnt 0x0
	s_or_b32 exec_lo, exec_lo, s15
	s_and_saveexec_b32 s15, s83
	s_cbranch_execz .LBB64_76
.LBB64_139:                             ;   in Loop: Header=BB64_21 Depth=1
	v_cndmask_b32_e32 v42, v12, v22, vcc_lo
	v_add3_u32 v44, v0, v25, 0xc0
	s_delay_alu instid0(VALU_DEP_2)
	v_add3_u32 v42, v42, s34, 0xc0
	global_load_b64 v[42:43], v42, s[20:21] scale_offset
	global_store_b32 v44, v40, s[24:25] scale_offset
	s_wait_loadcnt 0x0
	global_store_b64 v44, v[42:43], s[22:23] scale_offset
	s_wait_xcnt 0x0
	s_or_b32 exec_lo, exec_lo, s15
	s_and_saveexec_b32 s15, s9
	s_cbranch_execz .LBB64_77
.LBB64_140:                             ;   in Loop: Header=BB64_21 Depth=1
	v_add3_u32 v42, v22, s34, 0xe0
	v_add3_u32 v43, v11, s34, 0xc0
	;; [unrolled: 1-line block ×3, first 2 shown]
	s_delay_alu instid0(VALU_DEP_2)
	v_cndmask_b32_e32 v42, v43, v42, vcc_lo
	global_load_b64 v[42:43], v42, s[20:21] scale_offset
	global_store_b32 v44, v41, s[24:25] scale_offset
	s_wait_loadcnt 0x0
	global_store_b64 v44, v[42:43], s[22:23] scale_offset
	s_wait_xcnt 0x0
	s_or_b32 exec_lo, exec_lo, s15
	s_and_saveexec_b32 s15, s84
	s_cbranch_execz .LBB64_78
.LBB64_141:                             ;   in Loop: Header=BB64_21 Depth=1
	v_dual_add_nc_u32 v42, s34, v23 :: v_dual_add_nc_u32 v44, v0, v24
	v_add3_u32 v43, v9, s34, 0xe0
	s_delay_alu instid0(VALU_DEP_1)
	v_cndmask_b32_e32 v42, v43, v42, vcc_lo
	global_load_b64 v[42:43], v42, s[20:21] scale_offset
	global_store_b32 v44, v35, s[24:25] scale_offset
	s_wait_loadcnt 0x0
	global_store_b64 v44, v[42:43], s[22:23] scale_offset
	s_wait_xcnt 0x0
	s_or_b32 exec_lo, exec_lo, s15
	s_and_saveexec_b32 s15, s85
	s_cbranch_execz .LBB64_79
.LBB64_142:                             ;   in Loop: Header=BB64_21 Depth=1
	v_add3_u32 v35, v23, s34, 32
	v_add3_u32 v42, v2, s34, 0xe0
	s_delay_alu instid0(VALU_DEP_1)
	v_cndmask_b32_e32 v35, v42, v35, vcc_lo
	global_load_b64 v[42:43], v35, s[20:21] scale_offset
	s_wait_xcnt 0x0
	v_add3_u32 v35, v0, v24, 32
	global_store_b32 v35, v34, s[24:25] scale_offset
	s_wait_loadcnt 0x0
	global_store_b64 v35, v[42:43], s[22:23] scale_offset
	s_wait_xcnt 0x0
	s_or_b32 exec_lo, exec_lo, s15
	s_and_saveexec_b32 s15, s10
	s_cbranch_execz .LBB64_80
.LBB64_143:                             ;   in Loop: Header=BB64_21 Depth=1
	v_add3_u32 v34, v23, s34, 64
	v_add3_u32 v35, v16, s34, 0xe0
	;; [unrolled: 1-line block ×3, first 2 shown]
	s_delay_alu instid0(VALU_DEP_2)
	v_cndmask_b32_e32 v34, v35, v34, vcc_lo
	global_load_b64 v[34:35], v34, s[20:21] scale_offset
	global_store_b32 v42, v36, s[24:25] scale_offset
	s_wait_loadcnt 0x0
	global_store_b64 v42, v[34:35], s[22:23] scale_offset
	s_wait_xcnt 0x0
	s_or_b32 exec_lo, exec_lo, s15
	s_and_saveexec_b32 s15, s11
	s_cbranch_execz .LBB64_81
.LBB64_144:                             ;   in Loop: Header=BB64_21 Depth=1
	v_add3_u32 v34, v23, s34, 0x60
	v_add3_u32 v35, v15, s34, 0xe0
	;; [unrolled: 1-line block ×3, first 2 shown]
	s_delay_alu instid0(VALU_DEP_2)
	v_cndmask_b32_e32 v34, v35, v34, vcc_lo
	global_load_b64 v[34:35], v34, s[20:21] scale_offset
	global_store_b32 v36, v37, s[24:25] scale_offset
	s_wait_loadcnt 0x0
	global_store_b64 v36, v[34:35], s[22:23] scale_offset
	s_wait_xcnt 0x0
	s_or_b32 exec_lo, exec_lo, s15
	s_and_saveexec_b32 s15, s12
	s_cbranch_execz .LBB64_82
.LBB64_145:                             ;   in Loop: Header=BB64_21 Depth=1
	v_add3_u32 v34, v23, s34, 0x80
	v_add3_u32 v35, v14, s34, 0xe0
	;; [unrolled: 1-line block ×3, first 2 shown]
	s_delay_alu instid0(VALU_DEP_2)
	v_cndmask_b32_e32 v34, v35, v34, vcc_lo
	global_load_b64 v[34:35], v34, s[20:21] scale_offset
	global_store_b32 v36, v38, s[24:25] scale_offset
	s_wait_loadcnt 0x0
	global_store_b64 v36, v[34:35], s[22:23] scale_offset
	s_wait_xcnt 0x0
	s_or_b32 exec_lo, exec_lo, s15
	s_and_saveexec_b32 s15, s13
	s_cbranch_execz .LBB64_83
.LBB64_146:                             ;   in Loop: Header=BB64_21 Depth=1
	v_add3_u32 v34, v23, s34, 0xa0
	v_add3_u32 v35, v13, s34, 0xe0
	;; [unrolled: 1-line block ×3, first 2 shown]
	s_delay_alu instid0(VALU_DEP_2)
	v_cndmask_b32_e32 v34, v35, v34, vcc_lo
	global_load_b64 v[34:35], v34, s[20:21] scale_offset
	global_store_b32 v36, v39, s[24:25] scale_offset
	s_wait_loadcnt 0x0
	global_store_b64 v36, v[34:35], s[22:23] scale_offset
	s_wait_xcnt 0x0
	s_or_b32 exec_lo, exec_lo, s15
	s_and_saveexec_b32 s15, s14
	s_cbranch_execz .LBB64_84
.LBB64_147:                             ;   in Loop: Header=BB64_21 Depth=1
	v_add3_u32 v34, v23, s34, 0xc0
	v_add3_u32 v35, v12, s34, 0xe0
	;; [unrolled: 1-line block ×3, first 2 shown]
	s_delay_alu instid0(VALU_DEP_2)
	v_cndmask_b32_e32 v34, v35, v34, vcc_lo
	global_load_b64 v[34:35], v34, s[20:21] scale_offset
	global_store_b32 v36, v40, s[24:25] scale_offset
	s_wait_loadcnt 0x0
	global_store_b64 v36, v[34:35], s[22:23] scale_offset
	s_wait_xcnt 0x0
	s_or_b32 exec_lo, exec_lo, s15
	s_and_saveexec_b32 s15, s4
	s_cbranch_execz .LBB64_20
.LBB64_148:                             ;   in Loop: Header=BB64_21 Depth=1
	v_cndmask_b32_e32 v34, v11, v23, vcc_lo
	v_add3_u32 v36, v0, v24, 0xe0
	s_delay_alu instid0(VALU_DEP_2)
	v_add3_u32 v34, v34, s34, 0xe0
	global_load_b64 v[34:35], v34, s[20:21] scale_offset
	global_store_b32 v36, v41, s[24:25] scale_offset
	s_wait_loadcnt 0x0
	global_store_b64 v36, v[34:35], s[22:23] scale_offset
	s_branch .LBB64_20
.LBB64_149:
	s_endpgm
	.section	.rodata,"a",@progbits
	.p2align	6, 0x0
	.amdhsa_kernel _ZN9rocsparseL35bsr2csr_block_per_row_33_256_kernelILj1024ELj256ELj32EliiEEv20rocsparse_direction_T4_S2_21rocsparse_index_base_PKT2_PKT3_PKS2_S2_S3_PS4_PS7_PS2_
		.amdhsa_group_segment_fixed_size 0
		.amdhsa_private_segment_fixed_size 0
		.amdhsa_kernarg_size 72
		.amdhsa_user_sgpr_count 2
		.amdhsa_user_sgpr_dispatch_ptr 0
		.amdhsa_user_sgpr_queue_ptr 0
		.amdhsa_user_sgpr_kernarg_segment_ptr 1
		.amdhsa_user_sgpr_dispatch_id 0
		.amdhsa_user_sgpr_kernarg_preload_length 0
		.amdhsa_user_sgpr_kernarg_preload_offset 0
		.amdhsa_user_sgpr_private_segment_size 0
		.amdhsa_wavefront_size32 1
		.amdhsa_uses_dynamic_stack 0
		.amdhsa_enable_private_segment 0
		.amdhsa_system_sgpr_workgroup_id_x 1
		.amdhsa_system_sgpr_workgroup_id_y 0
		.amdhsa_system_sgpr_workgroup_id_z 0
		.amdhsa_system_sgpr_workgroup_info 0
		.amdhsa_system_vgpr_workitem_id 0
		.amdhsa_next_free_vgpr 45
		.amdhsa_next_free_sgpr 87
		.amdhsa_named_barrier_count 0
		.amdhsa_reserve_vcc 1
		.amdhsa_float_round_mode_32 0
		.amdhsa_float_round_mode_16_64 0
		.amdhsa_float_denorm_mode_32 3
		.amdhsa_float_denorm_mode_16_64 3
		.amdhsa_fp16_overflow 0
		.amdhsa_memory_ordered 1
		.amdhsa_forward_progress 1
		.amdhsa_inst_pref_size 68
		.amdhsa_round_robin_scheduling 0
		.amdhsa_exception_fp_ieee_invalid_op 0
		.amdhsa_exception_fp_denorm_src 0
		.amdhsa_exception_fp_ieee_div_zero 0
		.amdhsa_exception_fp_ieee_overflow 0
		.amdhsa_exception_fp_ieee_underflow 0
		.amdhsa_exception_fp_ieee_inexact 0
		.amdhsa_exception_int_div_zero 0
	.end_amdhsa_kernel
	.section	.text._ZN9rocsparseL35bsr2csr_block_per_row_33_256_kernelILj1024ELj256ELj32EliiEEv20rocsparse_direction_T4_S2_21rocsparse_index_base_PKT2_PKT3_PKS2_S2_S3_PS4_PS7_PS2_,"axG",@progbits,_ZN9rocsparseL35bsr2csr_block_per_row_33_256_kernelILj1024ELj256ELj32EliiEEv20rocsparse_direction_T4_S2_21rocsparse_index_base_PKT2_PKT3_PKS2_S2_S3_PS4_PS7_PS2_,comdat
.Lfunc_end64:
	.size	_ZN9rocsparseL35bsr2csr_block_per_row_33_256_kernelILj1024ELj256ELj32EliiEEv20rocsparse_direction_T4_S2_21rocsparse_index_base_PKT2_PKT3_PKS2_S2_S3_PS4_PS7_PS2_, .Lfunc_end64-_ZN9rocsparseL35bsr2csr_block_per_row_33_256_kernelILj1024ELj256ELj32EliiEEv20rocsparse_direction_T4_S2_21rocsparse_index_base_PKT2_PKT3_PKS2_S2_S3_PS4_PS7_PS2_
                                        ; -- End function
	.set _ZN9rocsparseL35bsr2csr_block_per_row_33_256_kernelILj1024ELj256ELj32EliiEEv20rocsparse_direction_T4_S2_21rocsparse_index_base_PKT2_PKT3_PKS2_S2_S3_PS4_PS7_PS2_.num_vgpr, 45
	.set _ZN9rocsparseL35bsr2csr_block_per_row_33_256_kernelILj1024ELj256ELj32EliiEEv20rocsparse_direction_T4_S2_21rocsparse_index_base_PKT2_PKT3_PKS2_S2_S3_PS4_PS7_PS2_.num_agpr, 0
	.set _ZN9rocsparseL35bsr2csr_block_per_row_33_256_kernelILj1024ELj256ELj32EliiEEv20rocsparse_direction_T4_S2_21rocsparse_index_base_PKT2_PKT3_PKS2_S2_S3_PS4_PS7_PS2_.numbered_sgpr, 87
	.set _ZN9rocsparseL35bsr2csr_block_per_row_33_256_kernelILj1024ELj256ELj32EliiEEv20rocsparse_direction_T4_S2_21rocsparse_index_base_PKT2_PKT3_PKS2_S2_S3_PS4_PS7_PS2_.num_named_barrier, 0
	.set _ZN9rocsparseL35bsr2csr_block_per_row_33_256_kernelILj1024ELj256ELj32EliiEEv20rocsparse_direction_T4_S2_21rocsparse_index_base_PKT2_PKT3_PKS2_S2_S3_PS4_PS7_PS2_.private_seg_size, 0
	.set _ZN9rocsparseL35bsr2csr_block_per_row_33_256_kernelILj1024ELj256ELj32EliiEEv20rocsparse_direction_T4_S2_21rocsparse_index_base_PKT2_PKT3_PKS2_S2_S3_PS4_PS7_PS2_.uses_vcc, 1
	.set _ZN9rocsparseL35bsr2csr_block_per_row_33_256_kernelILj1024ELj256ELj32EliiEEv20rocsparse_direction_T4_S2_21rocsparse_index_base_PKT2_PKT3_PKS2_S2_S3_PS4_PS7_PS2_.uses_flat_scratch, 0
	.set _ZN9rocsparseL35bsr2csr_block_per_row_33_256_kernelILj1024ELj256ELj32EliiEEv20rocsparse_direction_T4_S2_21rocsparse_index_base_PKT2_PKT3_PKS2_S2_S3_PS4_PS7_PS2_.has_dyn_sized_stack, 0
	.set _ZN9rocsparseL35bsr2csr_block_per_row_33_256_kernelILj1024ELj256ELj32EliiEEv20rocsparse_direction_T4_S2_21rocsparse_index_base_PKT2_PKT3_PKS2_S2_S3_PS4_PS7_PS2_.has_recursion, 0
	.set _ZN9rocsparseL35bsr2csr_block_per_row_33_256_kernelILj1024ELj256ELj32EliiEEv20rocsparse_direction_T4_S2_21rocsparse_index_base_PKT2_PKT3_PKS2_S2_S3_PS4_PS7_PS2_.has_indirect_call, 0
	.section	.AMDGPU.csdata,"",@progbits
; Kernel info:
; codeLenInByte = 8628
; TotalNumSgprs: 89
; NumVgprs: 45
; ScratchSize: 0
; MemoryBound: 0
; FloatMode: 240
; IeeeMode: 1
; LDSByteSize: 0 bytes/workgroup (compile time only)
; SGPRBlocks: 0
; VGPRBlocks: 2
; NumSGPRsForWavesPerEU: 89
; NumVGPRsForWavesPerEU: 45
; NamedBarCnt: 0
; Occupancy: 16
; WaveLimiterHint : 1
; COMPUTE_PGM_RSRC2:SCRATCH_EN: 0
; COMPUTE_PGM_RSRC2:USER_SGPR: 2
; COMPUTE_PGM_RSRC2:TRAP_HANDLER: 0
; COMPUTE_PGM_RSRC2:TGID_X_EN: 1
; COMPUTE_PGM_RSRC2:TGID_Y_EN: 0
; COMPUTE_PGM_RSRC2:TGID_Z_EN: 0
; COMPUTE_PGM_RSRC2:TIDIG_COMP_CNT: 0
	.section	.text._ZN9rocsparseL35bsr2csr_block_dim_equals_one_kernelILj1024ElliEEvT2_S1_21rocsparse_index_base_PKT0_PKT1_PKS1_S2_PS3_PS6_PS1_,"axG",@progbits,_ZN9rocsparseL35bsr2csr_block_dim_equals_one_kernelILj1024ElliEEvT2_S1_21rocsparse_index_base_PKT0_PKT1_PKS1_S2_PS3_PS6_PS1_,comdat
	.globl	_ZN9rocsparseL35bsr2csr_block_dim_equals_one_kernelILj1024ElliEEvT2_S1_21rocsparse_index_base_PKT0_PKT1_PKS1_S2_PS3_PS6_PS1_ ; -- Begin function _ZN9rocsparseL35bsr2csr_block_dim_equals_one_kernelILj1024ElliEEvT2_S1_21rocsparse_index_base_PKT0_PKT1_PKS1_S2_PS3_PS6_PS1_
	.p2align	8
	.type	_ZN9rocsparseL35bsr2csr_block_dim_equals_one_kernelILj1024ElliEEvT2_S1_21rocsparse_index_base_PKT0_PKT1_PKS1_S2_PS3_PS6_PS1_,@function
_ZN9rocsparseL35bsr2csr_block_dim_equals_one_kernelILj1024ElliEEvT2_S1_21rocsparse_index_base_PKT0_PKT1_PKS1_S2_PS3_PS6_PS1_: ; @_ZN9rocsparseL35bsr2csr_block_dim_equals_one_kernelILj1024ElliEEvT2_S1_21rocsparse_index_base_PKT0_PKT1_PKS1_S2_PS3_PS6_PS1_
; %bb.0:
	s_bfe_u32 s3, ttmp6, 0x4000c
	s_clause 0x1
	s_load_b32 s2, s[0:1], 0x0
	s_load_b64 s[4:5], s[0:1], 0x18
	s_add_co_i32 s3, s3, 1
	s_and_b32 s6, ttmp6, 15
	s_mul_i32 s3, ttmp9, s3
	s_getreg_b32 s7, hwreg(HW_REG_IB_STS2, 6, 4)
	s_add_co_i32 s6, s6, s3
	s_cmp_eq_u32 s7, 0
	s_cselect_b32 s3, ttmp9, s6
	s_delay_alu instid0(SALU_CYCLE_1) | instskip(SKIP_2) | instid1(VALU_DEP_1)
	s_lshl_b32 s18, s3, 10
	s_mov_b32 s3, exec_lo
	v_or_b32_e32 v2, s18, v0
	v_ashrrev_i32_e32 v3, 31, v2
	s_wait_kmcnt 0x0
	v_cmpx_le_i32_e64 s2, v2
	s_xor_b32 s3, exec_lo, s3
	s_delay_alu instid0(SALU_CYCLE_1)
	s_or_saveexec_b32 s3, s3
	s_clause 0x1
	s_load_b32 s6, s[0:1], 0x8
	s_load_b32 s8, s[0:1], 0x28
	s_xor_b32 exec_lo, exec_lo, s3
	s_cbranch_execz .LBB65_6
; %bb.1:
	s_load_b64 s[10:11], s[0:1], 0x38
	s_mov_b32 s7, 0
                                        ; implicit-def: $sgpr12_sgpr13
	s_mov_b32 s9, exec_lo
	v_cmpx_ne_u32_e32 0, v2
	s_xor_b32 s14, exec_lo, s9
	s_cbranch_execz .LBB65_3
; %bb.2:
	s_mov_b32 s9, s7
	s_wait_kmcnt 0x0
	s_sub_nc_u64 s[12:13], s[8:9], s[6:7]
.LBB65_3:
	s_or_saveexec_b32 s14, s14
	v_mov_b64_e32 v[4:5], s[12:13]
	s_xor_b32 exec_lo, exec_lo, s14
	s_cbranch_execz .LBB65_5
; %bb.4:
	s_load_b64 s[12:13], s[4:5], 0x0
	s_mov_b32 s9, 0
	v_mov_b32_e32 v1, 0
	s_mov_b32 s7, s9
	s_wait_kmcnt 0x0
	s_sub_nc_u64 s[16:17], s[8:9], s[6:7]
	s_delay_alu instid0(SALU_CYCLE_1) | instskip(SKIP_1) | instid1(SALU_CYCLE_1)
	v_mov_b64_e32 v[4:5], s[16:17]
	s_add_nc_u64 s[12:13], s[16:17], s[12:13]
	v_mov_b64_e32 v[6:7], s[12:13]
	global_store_b64 v1, v[6:7], s[10:11]
.LBB65_5:
	s_wait_xcnt 0x0
	s_or_b32 exec_lo, exec_lo, s14
	global_load_b64 v[6:7], v2, s[4:5] offset:8 scale_offset
	s_wait_loadcnt 0x0
	v_add_nc_u64_e32 v[4:5], v[4:5], v[6:7]
	s_wait_kmcnt 0x0
	global_store_b64 v2, v[4:5], s[10:11] offset:8 scale_offset
.LBB65_6:
	s_wait_xcnt 0x0
	s_or_b32 exec_lo, exec_lo, s3
	s_ashr_i32 s3, s2, 31
	s_clause 0x3
	s_load_b64 s[10:11], s[0:1], 0x40
	s_load_b64 s[12:13], s[0:1], 0x10
	;; [unrolled: 1-line block ×4, first 2 shown]
	s_lshl_b64 s[2:3], s[2:3], 3
	s_delay_alu instid0(SALU_CYCLE_1)
	s_add_nc_u64 s[2:3], s[4:5], s[2:3]
	s_clause 0x1
	s_load_b64 s[20:21], s[2:3], 0x0
	s_load_b64 s[22:23], s[4:5], 0x0
	s_wait_xcnt 0x0
	s_mov_b32 s4, exec_lo
	s_wait_kmcnt 0x0
	s_sub_nc_u64 s[2:3], s[20:21], s[22:23]
	s_delay_alu instid0(SALU_CYCLE_1)
	v_cmpx_gt_i64_e64 s[2:3], v[2:3]
	s_cbranch_execz .LBB65_9
; %bb.7:
	s_load_b32 s0, s[0:1], 0x48
	s_wait_xcnt 0x0
	s_sub_co_i32 s1, s8, s6
	s_mov_b32 s4, 0
	s_wait_kmcnt 0x0
	s_lshl_b32 s0, s0, 10
	s_delay_alu instid0(SALU_CYCLE_1)
	v_add3_u32 v0, s0, s18, v0
.LBB65_8:                               ; =>This Inner Loop Header: Depth=1
	v_lshlrev_b64_e32 v[4:5], 2, v[2:3]
	v_lshlrev_b64_e32 v[2:3], 3, v[2:3]
	s_delay_alu instid0(VALU_DEP_3) | instskip(NEXT) | instid1(VALU_DEP_1)
	v_ashrrev_i32_e32 v1, 31, v0
	v_cmp_le_i64_e32 vcc_lo, s[2:3], v[0:1]
	s_delay_alu instid0(VALU_DEP_4) | instskip(NEXT) | instid1(VALU_DEP_4)
	v_add_nc_u64_e32 v[6:7], s[14:15], v[4:5]
	v_add_nc_u64_e32 v[8:9], s[12:13], v[2:3]
	v_add_nc_u64_e32 v[4:5], s[10:11], v[4:5]
	global_load_b32 v12, v[6:7], off
	global_load_b64 v[10:11], v[8:9], off
	s_wait_xcnt 0x1
	v_add_nc_u64_e32 v[6:7], s[16:17], v[2:3]
	v_mov_b64_e32 v[2:3], v[0:1]
	v_add_nc_u32_e32 v0, s0, v0
	s_or_b32 s4, vcc_lo, s4
	s_wait_loadcnt 0x1
	v_add_nc_u32_e32 v1, s1, v12
	s_wait_loadcnt 0x0
	global_store_b64 v[6:7], v[10:11], off
	global_store_b32 v[4:5], v1, off
	s_wait_xcnt 0x0
	s_and_not1_b32 exec_lo, exec_lo, s4
	s_cbranch_execnz .LBB65_8
.LBB65_9:
	s_endpgm
	.section	.rodata,"a",@progbits
	.p2align	6, 0x0
	.amdhsa_kernel _ZN9rocsparseL35bsr2csr_block_dim_equals_one_kernelILj1024ElliEEvT2_S1_21rocsparse_index_base_PKT0_PKT1_PKS1_S2_PS3_PS6_PS1_
		.amdhsa_group_segment_fixed_size 0
		.amdhsa_private_segment_fixed_size 0
		.amdhsa_kernarg_size 328
		.amdhsa_user_sgpr_count 2
		.amdhsa_user_sgpr_dispatch_ptr 0
		.amdhsa_user_sgpr_queue_ptr 0
		.amdhsa_user_sgpr_kernarg_segment_ptr 1
		.amdhsa_user_sgpr_dispatch_id 0
		.amdhsa_user_sgpr_kernarg_preload_length 0
		.amdhsa_user_sgpr_kernarg_preload_offset 0
		.amdhsa_user_sgpr_private_segment_size 0
		.amdhsa_wavefront_size32 1
		.amdhsa_uses_dynamic_stack 0
		.amdhsa_enable_private_segment 0
		.amdhsa_system_sgpr_workgroup_id_x 1
		.amdhsa_system_sgpr_workgroup_id_y 0
		.amdhsa_system_sgpr_workgroup_id_z 0
		.amdhsa_system_sgpr_workgroup_info 0
		.amdhsa_system_vgpr_workitem_id 0
		.amdhsa_next_free_vgpr 13
		.amdhsa_next_free_sgpr 24
		.amdhsa_named_barrier_count 0
		.amdhsa_reserve_vcc 1
		.amdhsa_float_round_mode_32 0
		.amdhsa_float_round_mode_16_64 0
		.amdhsa_float_denorm_mode_32 3
		.amdhsa_float_denorm_mode_16_64 3
		.amdhsa_fp16_overflow 0
		.amdhsa_memory_ordered 1
		.amdhsa_forward_progress 1
		.amdhsa_inst_pref_size 5
		.amdhsa_round_robin_scheduling 0
		.amdhsa_exception_fp_ieee_invalid_op 0
		.amdhsa_exception_fp_denorm_src 0
		.amdhsa_exception_fp_ieee_div_zero 0
		.amdhsa_exception_fp_ieee_overflow 0
		.amdhsa_exception_fp_ieee_underflow 0
		.amdhsa_exception_fp_ieee_inexact 0
		.amdhsa_exception_int_div_zero 0
	.end_amdhsa_kernel
	.section	.text._ZN9rocsparseL35bsr2csr_block_dim_equals_one_kernelILj1024ElliEEvT2_S1_21rocsparse_index_base_PKT0_PKT1_PKS1_S2_PS3_PS6_PS1_,"axG",@progbits,_ZN9rocsparseL35bsr2csr_block_dim_equals_one_kernelILj1024ElliEEvT2_S1_21rocsparse_index_base_PKT0_PKT1_PKS1_S2_PS3_PS6_PS1_,comdat
.Lfunc_end65:
	.size	_ZN9rocsparseL35bsr2csr_block_dim_equals_one_kernelILj1024ElliEEvT2_S1_21rocsparse_index_base_PKT0_PKT1_PKS1_S2_PS3_PS6_PS1_, .Lfunc_end65-_ZN9rocsparseL35bsr2csr_block_dim_equals_one_kernelILj1024ElliEEvT2_S1_21rocsparse_index_base_PKT0_PKT1_PKS1_S2_PS3_PS6_PS1_
                                        ; -- End function
	.set _ZN9rocsparseL35bsr2csr_block_dim_equals_one_kernelILj1024ElliEEvT2_S1_21rocsparse_index_base_PKT0_PKT1_PKS1_S2_PS3_PS6_PS1_.num_vgpr, 13
	.set _ZN9rocsparseL35bsr2csr_block_dim_equals_one_kernelILj1024ElliEEvT2_S1_21rocsparse_index_base_PKT0_PKT1_PKS1_S2_PS3_PS6_PS1_.num_agpr, 0
	.set _ZN9rocsparseL35bsr2csr_block_dim_equals_one_kernelILj1024ElliEEvT2_S1_21rocsparse_index_base_PKT0_PKT1_PKS1_S2_PS3_PS6_PS1_.numbered_sgpr, 24
	.set _ZN9rocsparseL35bsr2csr_block_dim_equals_one_kernelILj1024ElliEEvT2_S1_21rocsparse_index_base_PKT0_PKT1_PKS1_S2_PS3_PS6_PS1_.num_named_barrier, 0
	.set _ZN9rocsparseL35bsr2csr_block_dim_equals_one_kernelILj1024ElliEEvT2_S1_21rocsparse_index_base_PKT0_PKT1_PKS1_S2_PS3_PS6_PS1_.private_seg_size, 0
	.set _ZN9rocsparseL35bsr2csr_block_dim_equals_one_kernelILj1024ElliEEvT2_S1_21rocsparse_index_base_PKT0_PKT1_PKS1_S2_PS3_PS6_PS1_.uses_vcc, 1
	.set _ZN9rocsparseL35bsr2csr_block_dim_equals_one_kernelILj1024ElliEEvT2_S1_21rocsparse_index_base_PKT0_PKT1_PKS1_S2_PS3_PS6_PS1_.uses_flat_scratch, 0
	.set _ZN9rocsparseL35bsr2csr_block_dim_equals_one_kernelILj1024ElliEEvT2_S1_21rocsparse_index_base_PKT0_PKT1_PKS1_S2_PS3_PS6_PS1_.has_dyn_sized_stack, 0
	.set _ZN9rocsparseL35bsr2csr_block_dim_equals_one_kernelILj1024ElliEEvT2_S1_21rocsparse_index_base_PKT0_PKT1_PKS1_S2_PS3_PS6_PS1_.has_recursion, 0
	.set _ZN9rocsparseL35bsr2csr_block_dim_equals_one_kernelILj1024ElliEEvT2_S1_21rocsparse_index_base_PKT0_PKT1_PKS1_S2_PS3_PS6_PS1_.has_indirect_call, 0
	.section	.AMDGPU.csdata,"",@progbits
; Kernel info:
; codeLenInByte = 568
; TotalNumSgprs: 26
; NumVgprs: 13
; ScratchSize: 0
; MemoryBound: 0
; FloatMode: 240
; IeeeMode: 1
; LDSByteSize: 0 bytes/workgroup (compile time only)
; SGPRBlocks: 0
; VGPRBlocks: 0
; NumSGPRsForWavesPerEU: 26
; NumVGPRsForWavesPerEU: 13
; NamedBarCnt: 0
; Occupancy: 16
; WaveLimiterHint : 0
; COMPUTE_PGM_RSRC2:SCRATCH_EN: 0
; COMPUTE_PGM_RSRC2:USER_SGPR: 2
; COMPUTE_PGM_RSRC2:TRAP_HANDLER: 0
; COMPUTE_PGM_RSRC2:TGID_X_EN: 1
; COMPUTE_PGM_RSRC2:TGID_Y_EN: 0
; COMPUTE_PGM_RSRC2:TGID_Z_EN: 0
; COMPUTE_PGM_RSRC2:TIDIG_COMP_CNT: 0
	.section	.text._ZN9rocsparseL32bsr2csr_block_per_row_2_7_kernelILj256ELj2ElliEEv20rocsparse_direction_T3_S2_21rocsparse_index_base_PKT1_PKT2_PKS2_S2_S3_PS4_PS7_PS2_,"axG",@progbits,_ZN9rocsparseL32bsr2csr_block_per_row_2_7_kernelILj256ELj2ElliEEv20rocsparse_direction_T3_S2_21rocsparse_index_base_PKT1_PKT2_PKS2_S2_S3_PS4_PS7_PS2_,comdat
	.globl	_ZN9rocsparseL32bsr2csr_block_per_row_2_7_kernelILj256ELj2ElliEEv20rocsparse_direction_T3_S2_21rocsparse_index_base_PKT1_PKT2_PKS2_S2_S3_PS4_PS7_PS2_ ; -- Begin function _ZN9rocsparseL32bsr2csr_block_per_row_2_7_kernelILj256ELj2ElliEEv20rocsparse_direction_T3_S2_21rocsparse_index_base_PKT1_PKT2_PKS2_S2_S3_PS4_PS7_PS2_
	.p2align	8
	.type	_ZN9rocsparseL32bsr2csr_block_per_row_2_7_kernelILj256ELj2ElliEEv20rocsparse_direction_T3_S2_21rocsparse_index_base_PKT1_PKT2_PKS2_S2_S3_PS4_PS7_PS2_,@function
_ZN9rocsparseL32bsr2csr_block_per_row_2_7_kernelILj256ELj2ElliEEv20rocsparse_direction_T3_S2_21rocsparse_index_base_PKT1_PKT2_PKS2_S2_S3_PS4_PS7_PS2_: ; @_ZN9rocsparseL32bsr2csr_block_per_row_2_7_kernelILj256ELj2ElliEEv20rocsparse_direction_T3_S2_21rocsparse_index_base_PKT1_PKT2_PKS2_S2_S3_PS4_PS7_PS2_
; %bb.0:
	s_load_b64 s[4:5], s[0:1], 0x18
	s_bfe_u32 s2, ttmp6, 0x4000c
	s_and_b32 s3, ttmp6, 15
	s_add_co_i32 s2, s2, 1
	s_getreg_b32 s6, hwreg(HW_REG_IB_STS2, 6, 4)
	s_mul_i32 s2, ttmp9, s2
	s_delay_alu instid0(SALU_CYCLE_1)
	s_add_co_i32 s3, s3, s2
	s_cmp_eq_u32 s6, 0
	s_clause 0x1
	s_load_b32 s2, s[0:1], 0x2c
	s_load_b64 s[12:13], s[0:1], 0x38
	s_cselect_b32 s10, ttmp9, s3
	s_delay_alu instid0(SALU_CYCLE_1)
	s_ashr_i32 s11, s10, 31
	v_or_b32_e32 v1, s10, v0
	s_lshl_b64 s[6:7], s[10:11], 3
	s_wait_kmcnt 0x0
	s_add_nc_u64 s[8:9], s[4:5], s[6:7]
	s_load_b128 s[4:7], s[8:9], 0x0
	s_wait_xcnt 0x0
	s_mov_b32 s9, 0
	s_mov_b32 s8, exec_lo
	s_mov_b32 s3, s9
	v_cmpx_eq_u32_e32 0, v1
	s_cbranch_execz .LBB66_2
; %bb.1:
	v_mov_b64_e32 v[2:3], s[2:3]
	v_mov_b32_e32 v1, 0
	global_store_b64 v1, v[2:3], s[12:13]
.LBB66_2:
	s_wait_xcnt 0x0
	s_or_b32 exec_lo, exec_lo, s8
	s_load_b32 s8, s[0:1], 0xc
	v_dual_mov_b32 v3, 0 :: v_dual_bitop2_b32 v2, 1, v0 bitop3:0x40
	s_delay_alu instid0(VALU_DEP_1) | instskip(SKIP_3) | instid1(VALU_DEP_1)
	v_dual_mov_b32 v7, v3 :: v_dual_lshrrev_b32 v6, 1, v0
	s_wait_kmcnt 0x0
	s_sub_nc_u64 s[14:15], s[4:5], s[8:9]
	s_sub_nc_u64 s[6:7], s[6:7], s[8:9]
	v_add_nc_u64_e32 v[0:1], s[14:15], v[6:7]
	s_sub_nc_u64 s[16:17], s[6:7], s[14:15]
	s_lshl_b64 s[14:15], s[14:15], 2
	s_lshl_b64 s[16:17], s[16:17], 1
	v_lshl_or_b32 v7, s10, 1, v2
	v_mul_u64_e32 v[4:5], s[16:17], v[2:3]
	s_add_nc_u64 s[16:17], s[16:17], s[2:3]
	s_mov_b32 s3, exec_lo
	s_add_nc_u64 s[10:11], s[16:17], s[14:15]
	v_add_nc_u32_e32 v7, 1, v7
	s_delay_alu instid0(VALU_DEP_2)
	v_add_nc_u64_e32 v[8:9], s[10:11], v[4:5]
	global_store_b64 v7, v[8:9], s[12:13] scale_offset
	s_wait_xcnt 0x0
	v_cmpx_gt_i64_e64 s[6:7], v[0:1]
	s_cbranch_execz .LBB66_5
; %bb.3:
	s_clause 0x3
	s_load_b64 s[10:11], s[0:1], 0x20
	s_load_b64 s[12:13], s[0:1], 0x30
	s_load_b32 s3, s[0:1], 0x0
	s_load_b64 s[14:15], s[0:1], 0x40
	v_lshl_add_u64 v[4:5], s[4:5], 2, v[4:5]
	v_dual_mov_b32 v7, v3 :: v_dual_lshlrev_b32 v6, 1, v6
	s_wait_xcnt 0x0
	s_load_b64 s[0:1], s[0:1], 0x10
	v_lshlrev_b64_e32 v[8:9], 5, v[0:1]
	s_delay_alu instid0(VALU_DEP_2)
	v_add_nc_u64_e32 v[4:5], v[4:5], v[6:7]
	s_wait_kmcnt 0x0
	v_lshl_add_u64 v[6:7], v[0:1], 2, s[10:11]
	s_cmp_eq_u32 s3, 0
	s_cselect_b32 vcc_lo, -1, 0
	s_lshl_b64 s[4:5], s[8:9], 2
	s_delay_alu instid0(VALU_DEP_2) | instid1(SALU_CYCLE_1)
	v_sub_nc_u64_e64 v[4:5], v[4:5], s[4:5]
	v_add_nc_u64_e32 v[8:9], s[0:1], v[8:9]
	s_mov_b32 s1, 0
	s_delay_alu instid0(VALU_DEP_2) | instskip(SKIP_3) | instid1(VALU_DEP_4)
	v_lshl_add_u64 v[10:11], v[4:5], 3, s[12:13]
	v_lshl_add_u64 v[12:13], v[4:5], 2, s[14:15]
	v_dual_mov_b32 v5, v3 :: v_dual_lshlrev_b32 v4, 3, v2
	v_lshlrev_b32_e32 v2, 4, v2
	v_add_nc_u64_e32 v[10:11], 8, v[10:11]
	s_delay_alu instid0(VALU_DEP_4)
	v_add_nc_u64_e32 v[12:13], 4, v[12:13]
.LBB66_4:                               ; =>This Inner Loop Header: Depth=1
	s_delay_alu instid0(VALU_DEP_3)
	v_add_nc_u64_e32 v[14:15], v[8:9], v[2:3]
	v_add_nc_u64_e32 v[16:17], v[8:9], v[4:5]
	global_load_b32 v24, v[6:7], off
	v_add_nc_u64_e32 v[0:1], 0x80, v[0:1]
	s_wait_xcnt 0x0
	v_add_nc_u64_e32 v[6:7], 0x200, v[6:7]
	v_add_nc_u64_e32 v[8:9], 0x1000, v[8:9]
	;; [unrolled: 1-line block ×4, first 2 shown]
	v_dual_cndmask_b32 v23, v17, v15 :: v_dual_cndmask_b32 v22, v16, v14
	v_cmp_le_i64_e64 s0, s[6:7], v[0:1]
	s_delay_alu instid0(VALU_DEP_3)
	v_dual_cndmask_b32 v19, v21, v19 :: v_dual_cndmask_b32 v18, v20, v18
	global_load_b64 v[14:15], v[22:23], off
	global_load_b64 v[16:17], v[18:19], off
	s_or_b32 s1, s0, s1
	s_wait_loadcnt 0x2
	s_wait_xcnt 0x0
	v_subrev_nc_u32_e32 v18, s8, v24
	s_delay_alu instid0(VALU_DEP_1) | instskip(NEXT) | instid1(VALU_DEP_1)
	v_lshl_add_u32 v18, v18, 1, s2
	v_add_nc_u32_e32 v19, 1, v18
	global_store_b64 v[12:13], v[18:19], off offset:-4
	s_wait_xcnt 0x0
	v_add_nc_u64_e32 v[12:13], 0x400, v[12:13]
	s_wait_loadcnt 0x0
	global_store_b128 v[10:11], v[14:17], off offset:-8
	s_wait_xcnt 0x0
	v_add_nc_u64_e32 v[10:11], 0x800, v[10:11]
	s_and_not1_b32 exec_lo, exec_lo, s1
	s_cbranch_execnz .LBB66_4
.LBB66_5:
	s_endpgm
	.section	.rodata,"a",@progbits
	.p2align	6, 0x0
	.amdhsa_kernel _ZN9rocsparseL32bsr2csr_block_per_row_2_7_kernelILj256ELj2ElliEEv20rocsparse_direction_T3_S2_21rocsparse_index_base_PKT1_PKT2_PKS2_S2_S3_PS4_PS7_PS2_
		.amdhsa_group_segment_fixed_size 0
		.amdhsa_private_segment_fixed_size 0
		.amdhsa_kernarg_size 72
		.amdhsa_user_sgpr_count 2
		.amdhsa_user_sgpr_dispatch_ptr 0
		.amdhsa_user_sgpr_queue_ptr 0
		.amdhsa_user_sgpr_kernarg_segment_ptr 1
		.amdhsa_user_sgpr_dispatch_id 0
		.amdhsa_user_sgpr_kernarg_preload_length 0
		.amdhsa_user_sgpr_kernarg_preload_offset 0
		.amdhsa_user_sgpr_private_segment_size 0
		.amdhsa_wavefront_size32 1
		.amdhsa_uses_dynamic_stack 0
		.amdhsa_enable_private_segment 0
		.amdhsa_system_sgpr_workgroup_id_x 1
		.amdhsa_system_sgpr_workgroup_id_y 0
		.amdhsa_system_sgpr_workgroup_id_z 0
		.amdhsa_system_sgpr_workgroup_info 0
		.amdhsa_system_vgpr_workitem_id 0
		.amdhsa_next_free_vgpr 25
		.amdhsa_next_free_sgpr 18
		.amdhsa_named_barrier_count 0
		.amdhsa_reserve_vcc 1
		.amdhsa_float_round_mode_32 0
		.amdhsa_float_round_mode_16_64 0
		.amdhsa_float_denorm_mode_32 3
		.amdhsa_float_denorm_mode_16_64 3
		.amdhsa_fp16_overflow 0
		.amdhsa_memory_ordered 1
		.amdhsa_forward_progress 1
		.amdhsa_inst_pref_size 6
		.amdhsa_round_robin_scheduling 0
		.amdhsa_exception_fp_ieee_invalid_op 0
		.amdhsa_exception_fp_denorm_src 0
		.amdhsa_exception_fp_ieee_div_zero 0
		.amdhsa_exception_fp_ieee_overflow 0
		.amdhsa_exception_fp_ieee_underflow 0
		.amdhsa_exception_fp_ieee_inexact 0
		.amdhsa_exception_int_div_zero 0
	.end_amdhsa_kernel
	.section	.text._ZN9rocsparseL32bsr2csr_block_per_row_2_7_kernelILj256ELj2ElliEEv20rocsparse_direction_T3_S2_21rocsparse_index_base_PKT1_PKT2_PKS2_S2_S3_PS4_PS7_PS2_,"axG",@progbits,_ZN9rocsparseL32bsr2csr_block_per_row_2_7_kernelILj256ELj2ElliEEv20rocsparse_direction_T3_S2_21rocsparse_index_base_PKT1_PKT2_PKS2_S2_S3_PS4_PS7_PS2_,comdat
.Lfunc_end66:
	.size	_ZN9rocsparseL32bsr2csr_block_per_row_2_7_kernelILj256ELj2ElliEEv20rocsparse_direction_T3_S2_21rocsparse_index_base_PKT1_PKT2_PKS2_S2_S3_PS4_PS7_PS2_, .Lfunc_end66-_ZN9rocsparseL32bsr2csr_block_per_row_2_7_kernelILj256ELj2ElliEEv20rocsparse_direction_T3_S2_21rocsparse_index_base_PKT1_PKT2_PKS2_S2_S3_PS4_PS7_PS2_
                                        ; -- End function
	.set _ZN9rocsparseL32bsr2csr_block_per_row_2_7_kernelILj256ELj2ElliEEv20rocsparse_direction_T3_S2_21rocsparse_index_base_PKT1_PKT2_PKS2_S2_S3_PS4_PS7_PS2_.num_vgpr, 25
	.set _ZN9rocsparseL32bsr2csr_block_per_row_2_7_kernelILj256ELj2ElliEEv20rocsparse_direction_T3_S2_21rocsparse_index_base_PKT1_PKT2_PKS2_S2_S3_PS4_PS7_PS2_.num_agpr, 0
	.set _ZN9rocsparseL32bsr2csr_block_per_row_2_7_kernelILj256ELj2ElliEEv20rocsparse_direction_T3_S2_21rocsparse_index_base_PKT1_PKT2_PKS2_S2_S3_PS4_PS7_PS2_.numbered_sgpr, 18
	.set _ZN9rocsparseL32bsr2csr_block_per_row_2_7_kernelILj256ELj2ElliEEv20rocsparse_direction_T3_S2_21rocsparse_index_base_PKT1_PKT2_PKS2_S2_S3_PS4_PS7_PS2_.num_named_barrier, 0
	.set _ZN9rocsparseL32bsr2csr_block_per_row_2_7_kernelILj256ELj2ElliEEv20rocsparse_direction_T3_S2_21rocsparse_index_base_PKT1_PKT2_PKS2_S2_S3_PS4_PS7_PS2_.private_seg_size, 0
	.set _ZN9rocsparseL32bsr2csr_block_per_row_2_7_kernelILj256ELj2ElliEEv20rocsparse_direction_T3_S2_21rocsparse_index_base_PKT1_PKT2_PKS2_S2_S3_PS4_PS7_PS2_.uses_vcc, 1
	.set _ZN9rocsparseL32bsr2csr_block_per_row_2_7_kernelILj256ELj2ElliEEv20rocsparse_direction_T3_S2_21rocsparse_index_base_PKT1_PKT2_PKS2_S2_S3_PS4_PS7_PS2_.uses_flat_scratch, 0
	.set _ZN9rocsparseL32bsr2csr_block_per_row_2_7_kernelILj256ELj2ElliEEv20rocsparse_direction_T3_S2_21rocsparse_index_base_PKT1_PKT2_PKS2_S2_S3_PS4_PS7_PS2_.has_dyn_sized_stack, 0
	.set _ZN9rocsparseL32bsr2csr_block_per_row_2_7_kernelILj256ELj2ElliEEv20rocsparse_direction_T3_S2_21rocsparse_index_base_PKT1_PKT2_PKS2_S2_S3_PS4_PS7_PS2_.has_recursion, 0
	.set _ZN9rocsparseL32bsr2csr_block_per_row_2_7_kernelILj256ELj2ElliEEv20rocsparse_direction_T3_S2_21rocsparse_index_base_PKT1_PKT2_PKS2_S2_S3_PS4_PS7_PS2_.has_indirect_call, 0
	.section	.AMDGPU.csdata,"",@progbits
; Kernel info:
; codeLenInByte = 648
; TotalNumSgprs: 20
; NumVgprs: 25
; ScratchSize: 0
; MemoryBound: 0
; FloatMode: 240
; IeeeMode: 1
; LDSByteSize: 0 bytes/workgroup (compile time only)
; SGPRBlocks: 0
; VGPRBlocks: 1
; NumSGPRsForWavesPerEU: 20
; NumVGPRsForWavesPerEU: 25
; NamedBarCnt: 0
; Occupancy: 16
; WaveLimiterHint : 0
; COMPUTE_PGM_RSRC2:SCRATCH_EN: 0
; COMPUTE_PGM_RSRC2:USER_SGPR: 2
; COMPUTE_PGM_RSRC2:TRAP_HANDLER: 0
; COMPUTE_PGM_RSRC2:TGID_X_EN: 1
; COMPUTE_PGM_RSRC2:TGID_Y_EN: 0
; COMPUTE_PGM_RSRC2:TGID_Z_EN: 0
; COMPUTE_PGM_RSRC2:TIDIG_COMP_CNT: 0
	.section	.text._ZN9rocsparseL32bsr2csr_block_per_row_2_7_kernelILj256ELj3ElliEEv20rocsparse_direction_T3_S2_21rocsparse_index_base_PKT1_PKT2_PKS2_S2_S3_PS4_PS7_PS2_,"axG",@progbits,_ZN9rocsparseL32bsr2csr_block_per_row_2_7_kernelILj256ELj3ElliEEv20rocsparse_direction_T3_S2_21rocsparse_index_base_PKT1_PKT2_PKS2_S2_S3_PS4_PS7_PS2_,comdat
	.globl	_ZN9rocsparseL32bsr2csr_block_per_row_2_7_kernelILj256ELj3ElliEEv20rocsparse_direction_T3_S2_21rocsparse_index_base_PKT1_PKT2_PKS2_S2_S3_PS4_PS7_PS2_ ; -- Begin function _ZN9rocsparseL32bsr2csr_block_per_row_2_7_kernelILj256ELj3ElliEEv20rocsparse_direction_T3_S2_21rocsparse_index_base_PKT1_PKT2_PKS2_S2_S3_PS4_PS7_PS2_
	.p2align	8
	.type	_ZN9rocsparseL32bsr2csr_block_per_row_2_7_kernelILj256ELj3ElliEEv20rocsparse_direction_T3_S2_21rocsparse_index_base_PKT1_PKT2_PKS2_S2_S3_PS4_PS7_PS2_,@function
_ZN9rocsparseL32bsr2csr_block_per_row_2_7_kernelILj256ELj3ElliEEv20rocsparse_direction_T3_S2_21rocsparse_index_base_PKT1_PKT2_PKS2_S2_S3_PS4_PS7_PS2_: ; @_ZN9rocsparseL32bsr2csr_block_per_row_2_7_kernelILj256ELj3ElliEEv20rocsparse_direction_T3_S2_21rocsparse_index_base_PKT1_PKT2_PKS2_S2_S3_PS4_PS7_PS2_
; %bb.0:
	s_clause 0x1
	s_load_b32 s2, s[0:1], 0x2c
	s_load_b64 s[10:11], s[0:1], 0x38
	s_bfe_u32 s3, ttmp6, 0x4000c
	s_and_b32 s4, ttmp6, 15
	s_add_co_i32 s3, s3, 1
	s_getreg_b32 s5, hwreg(HW_REG_IB_STS2, 6, 4)
	s_mul_i32 s3, ttmp9, s3
	s_delay_alu instid0(SALU_CYCLE_1) | instskip(SKIP_3) | instid1(SALU_CYCLE_1)
	s_add_co_i32 s4, s4, s3
	s_cmp_eq_u32 s5, 0
	s_mov_b32 s3, exec_lo
	s_cselect_b32 s12, ttmp9, s4
	v_or_b32_e32 v1, s12, v0
	s_delay_alu instid0(VALU_DEP_1)
	v_cmpx_eq_u32_e32 0, v1
	s_cbranch_execz .LBB67_2
; %bb.1:
	s_wait_kmcnt 0x0
	v_dual_mov_b32 v2, s2 :: v_dual_mov_b32 v3, 0
	global_store_b64 v3, v[2:3], s[10:11]
.LBB67_2:
	s_wait_xcnt 0x0
	s_or_b32 exec_lo, exec_lo, s3
	v_and_b32_e32 v2, 3, v0
	s_mov_b32 s3, exec_lo
	s_delay_alu instid0(VALU_DEP_1)
	v_cmpx_ne_u32_e32 3, v2
	s_cbranch_execz .LBB67_6
; %bb.3:
	s_clause 0x1
	s_load_b64 s[4:5], s[0:1], 0x18
	s_load_b32 s8, s[0:1], 0xc
	s_ashr_i32 s13, s12, 31
	s_mov_b32 s9, 0
	s_lshl_b64 s[6:7], s[12:13], 3
	v_dual_mov_b32 v3, 0 :: v_dual_lshrrev_b32 v4, 2, v0
	s_mov_b32 s3, s9
	s_delay_alu instid0(VALU_DEP_1)
	v_mov_b32_e32 v5, v3
	s_wait_kmcnt 0x0
	s_add_nc_u64 s[14:15], s[4:5], s[6:7]
	s_load_b128 s[4:7], s[14:15], 0x0
	s_wait_kmcnt 0x0
	s_sub_nc_u64 s[14:15], s[4:5], s[8:9]
	s_sub_nc_u64 s[6:7], s[6:7], s[8:9]
	v_add_nc_u64_e32 v[0:1], s[14:15], v[4:5]
	s_sub_nc_u64 s[16:17], s[6:7], s[14:15]
	s_mul_u64 s[18:19], s[14:15], 9
	s_mul_u64 s[16:17], s[16:17], 3
	s_delay_alu instid0(SALU_CYCLE_1)
	v_mul_u64_e32 v[6:7], s[16:17], v[2:3]
	s_add_nc_u64 s[14:15], s[16:17], s[2:3]
	s_mul_i32 s3, s12, 3
	s_add_nc_u64 s[14:15], s[14:15], s[18:19]
	v_cmp_gt_i64_e32 vcc_lo, s[6:7], v[0:1]
	v_add3_u32 v5, v2, s3, 1
	s_delay_alu instid0(VALU_DEP_3)
	v_add_nc_u64_e32 v[8:9], s[14:15], v[6:7]
	global_store_b64 v5, v[8:9], s[10:11] scale_offset
	s_wait_xcnt 0x0
	s_and_b32 exec_lo, exec_lo, vcc_lo
	s_cbranch_execz .LBB67_6
; %bb.4:
	v_mad_nc_u64_u32 v[6:7], s4, 9, v[6:7]
	s_load_b64 s[10:11], s[0:1], 0x10
	v_mul_u32_u24_e32 v12, 3, v2
	v_dual_mov_b32 v13, v3 :: v_dual_lshlrev_b32 v2, 3, v2
	s_delay_alu instid0(VALU_DEP_2) | instskip(NEXT) | instid1(VALU_DEP_4)
	v_lshlrev_b32_e32 v12, 3, v12
	v_mad_u32 v7, s5, 9, v7
	s_clause 0x3
	s_load_b64 s[4:5], s[0:1], 0x30
	s_load_b64 s[12:13], s[0:1], 0x40
	;; [unrolled: 1-line block ×3, first 2 shown]
	s_load_b32 s3, s[0:1], 0x0
	s_wait_xcnt 0x0
	s_mul_u64 s[0:1], s[8:9], 9
	s_delay_alu instid0(VALU_DEP_1) | instskip(SKIP_3) | instid1(VALU_DEP_2)
	v_mad_nc_u64_u32 v[6:7], v4, 3, v[6:7]
	s_wait_kmcnt 0x0
	v_mad_nc_u64_u32 v[4:5], 0x48, v0, s[10:11]
	s_cmp_eq_u32 s3, 0
	v_sub_nc_u64_e64 v[6:7], v[6:7], s[0:1]
	s_delay_alu instid0(VALU_DEP_2) | instskip(SKIP_1) | instid1(VALU_DEP_2)
	v_mad_u32 v5, 0x48, v1, v5
	s_cselect_b32 vcc_lo, -1, 0
	v_lshl_add_u64 v[8:9], v[6:7], 3, s[4:5]
	v_lshl_add_u64 v[10:11], v[6:7], 2, s[12:13]
	;; [unrolled: 1-line block ×3, first 2 shown]
	s_delay_alu instid0(VALU_DEP_3) | instskip(NEXT) | instid1(VALU_DEP_3)
	v_add_nc_u64_e32 v[8:9], 8, v[8:9]
	v_add_nc_u64_e32 v[10:11], 4, v[10:11]
.LBB67_5:                               ; =>This Inner Loop Header: Depth=1
	global_load_b32 v26, v[6:7], off
	v_add_nc_u64_e32 v[14:15], v[4:5], v[2:3]
	v_add_nc_u64_e32 v[16:17], v[4:5], v[12:13]
	;; [unrolled: 1-line block ×3, first 2 shown]
	s_wait_xcnt 0x0
	v_add_nc_u64_e32 v[6:7], 0x100, v[6:7]
	v_add_nc_u64_e32 v[4:5], 0x1200, v[4:5]
	;; [unrolled: 1-line block ×4, first 2 shown]
	v_dual_cndmask_b32 v19, v15, v17 :: v_dual_cndmask_b32 v18, v14, v16
	v_add_nc_u64_e32 v[16:17], 16, v[16:17]
	v_add_nc_u64_e32 v[24:25], 48, v[14:15]
	v_cmp_le_i64_e64 s0, s[6:7], v[0:1]
	global_load_b64 v[14:15], v[18:19], off
	s_wait_xcnt 0x0
	v_dual_cndmask_b32 v19, v23, v21 :: v_dual_cndmask_b32 v18, v22, v20
	v_dual_cndmask_b32 v21, v25, v17 :: v_dual_cndmask_b32 v20, v24, v16
	global_load_b64 v[16:17], v[18:19], off
	global_load_b64 v[22:23], v[20:21], off
	s_or_b32 s9, s0, s9
	s_wait_loadcnt 0x1
	global_store_b128 v[8:9], v[14:17], off offset:-8
	s_wait_loadcnt 0x0
	global_store_b64 v[8:9], v[22:23], off offset:8
	s_wait_xcnt 0x3
	v_subrev_nc_u32_e32 v18, s8, v26
	s_wait_xcnt 0x0
	v_add_nc_u64_e32 v[8:9], 0x600, v[8:9]
	s_delay_alu instid0(VALU_DEP_2) | instskip(NEXT) | instid1(VALU_DEP_1)
	v_mad_u32 v18, v18, 3, s2
	v_dual_add_nc_u32 v20, 2, v18 :: v_dual_add_nc_u32 v19, 1, v18
	global_store_b96 v[10:11], v[18:20], off offset:-4
	s_wait_xcnt 0x0
	v_add_nc_u64_e32 v[10:11], 0x300, v[10:11]
	s_and_not1_b32 exec_lo, exec_lo, s9
	s_cbranch_execnz .LBB67_5
.LBB67_6:
	s_endpgm
	.section	.rodata,"a",@progbits
	.p2align	6, 0x0
	.amdhsa_kernel _ZN9rocsparseL32bsr2csr_block_per_row_2_7_kernelILj256ELj3ElliEEv20rocsparse_direction_T3_S2_21rocsparse_index_base_PKT1_PKT2_PKS2_S2_S3_PS4_PS7_PS2_
		.amdhsa_group_segment_fixed_size 0
		.amdhsa_private_segment_fixed_size 0
		.amdhsa_kernarg_size 72
		.amdhsa_user_sgpr_count 2
		.amdhsa_user_sgpr_dispatch_ptr 0
		.amdhsa_user_sgpr_queue_ptr 0
		.amdhsa_user_sgpr_kernarg_segment_ptr 1
		.amdhsa_user_sgpr_dispatch_id 0
		.amdhsa_user_sgpr_kernarg_preload_length 0
		.amdhsa_user_sgpr_kernarg_preload_offset 0
		.amdhsa_user_sgpr_private_segment_size 0
		.amdhsa_wavefront_size32 1
		.amdhsa_uses_dynamic_stack 0
		.amdhsa_enable_private_segment 0
		.amdhsa_system_sgpr_workgroup_id_x 1
		.amdhsa_system_sgpr_workgroup_id_y 0
		.amdhsa_system_sgpr_workgroup_id_z 0
		.amdhsa_system_sgpr_workgroup_info 0
		.amdhsa_system_vgpr_workitem_id 0
		.amdhsa_next_free_vgpr 27
		.amdhsa_next_free_sgpr 20
		.amdhsa_named_barrier_count 0
		.amdhsa_reserve_vcc 1
		.amdhsa_float_round_mode_32 0
		.amdhsa_float_round_mode_16_64 0
		.amdhsa_float_denorm_mode_32 3
		.amdhsa_float_denorm_mode_16_64 3
		.amdhsa_fp16_overflow 0
		.amdhsa_memory_ordered 1
		.amdhsa_forward_progress 1
		.amdhsa_inst_pref_size 6
		.amdhsa_round_robin_scheduling 0
		.amdhsa_exception_fp_ieee_invalid_op 0
		.amdhsa_exception_fp_denorm_src 0
		.amdhsa_exception_fp_ieee_div_zero 0
		.amdhsa_exception_fp_ieee_overflow 0
		.amdhsa_exception_fp_ieee_underflow 0
		.amdhsa_exception_fp_ieee_inexact 0
		.amdhsa_exception_int_div_zero 0
	.end_amdhsa_kernel
	.section	.text._ZN9rocsparseL32bsr2csr_block_per_row_2_7_kernelILj256ELj3ElliEEv20rocsparse_direction_T3_S2_21rocsparse_index_base_PKT1_PKT2_PKS2_S2_S3_PS4_PS7_PS2_,"axG",@progbits,_ZN9rocsparseL32bsr2csr_block_per_row_2_7_kernelILj256ELj3ElliEEv20rocsparse_direction_T3_S2_21rocsparse_index_base_PKT1_PKT2_PKS2_S2_S3_PS4_PS7_PS2_,comdat
.Lfunc_end67:
	.size	_ZN9rocsparseL32bsr2csr_block_per_row_2_7_kernelILj256ELj3ElliEEv20rocsparse_direction_T3_S2_21rocsparse_index_base_PKT1_PKT2_PKS2_S2_S3_PS4_PS7_PS2_, .Lfunc_end67-_ZN9rocsparseL32bsr2csr_block_per_row_2_7_kernelILj256ELj3ElliEEv20rocsparse_direction_T3_S2_21rocsparse_index_base_PKT1_PKT2_PKS2_S2_S3_PS4_PS7_PS2_
                                        ; -- End function
	.set _ZN9rocsparseL32bsr2csr_block_per_row_2_7_kernelILj256ELj3ElliEEv20rocsparse_direction_T3_S2_21rocsparse_index_base_PKT1_PKT2_PKS2_S2_S3_PS4_PS7_PS2_.num_vgpr, 27
	.set _ZN9rocsparseL32bsr2csr_block_per_row_2_7_kernelILj256ELj3ElliEEv20rocsparse_direction_T3_S2_21rocsparse_index_base_PKT1_PKT2_PKS2_S2_S3_PS4_PS7_PS2_.num_agpr, 0
	.set _ZN9rocsparseL32bsr2csr_block_per_row_2_7_kernelILj256ELj3ElliEEv20rocsparse_direction_T3_S2_21rocsparse_index_base_PKT1_PKT2_PKS2_S2_S3_PS4_PS7_PS2_.numbered_sgpr, 20
	.set _ZN9rocsparseL32bsr2csr_block_per_row_2_7_kernelILj256ELj3ElliEEv20rocsparse_direction_T3_S2_21rocsparse_index_base_PKT1_PKT2_PKS2_S2_S3_PS4_PS7_PS2_.num_named_barrier, 0
	.set _ZN9rocsparseL32bsr2csr_block_per_row_2_7_kernelILj256ELj3ElliEEv20rocsparse_direction_T3_S2_21rocsparse_index_base_PKT1_PKT2_PKS2_S2_S3_PS4_PS7_PS2_.private_seg_size, 0
	.set _ZN9rocsparseL32bsr2csr_block_per_row_2_7_kernelILj256ELj3ElliEEv20rocsparse_direction_T3_S2_21rocsparse_index_base_PKT1_PKT2_PKS2_S2_S3_PS4_PS7_PS2_.uses_vcc, 1
	.set _ZN9rocsparseL32bsr2csr_block_per_row_2_7_kernelILj256ELj3ElliEEv20rocsparse_direction_T3_S2_21rocsparse_index_base_PKT1_PKT2_PKS2_S2_S3_PS4_PS7_PS2_.uses_flat_scratch, 0
	.set _ZN9rocsparseL32bsr2csr_block_per_row_2_7_kernelILj256ELj3ElliEEv20rocsparse_direction_T3_S2_21rocsparse_index_base_PKT1_PKT2_PKS2_S2_S3_PS4_PS7_PS2_.has_dyn_sized_stack, 0
	.set _ZN9rocsparseL32bsr2csr_block_per_row_2_7_kernelILj256ELj3ElliEEv20rocsparse_direction_T3_S2_21rocsparse_index_base_PKT1_PKT2_PKS2_S2_S3_PS4_PS7_PS2_.has_recursion, 0
	.set _ZN9rocsparseL32bsr2csr_block_per_row_2_7_kernelILj256ELj3ElliEEv20rocsparse_direction_T3_S2_21rocsparse_index_base_PKT1_PKT2_PKS2_S2_S3_PS4_PS7_PS2_.has_indirect_call, 0
	.section	.AMDGPU.csdata,"",@progbits
; Kernel info:
; codeLenInByte = 724
; TotalNumSgprs: 22
; NumVgprs: 27
; ScratchSize: 0
; MemoryBound: 0
; FloatMode: 240
; IeeeMode: 1
; LDSByteSize: 0 bytes/workgroup (compile time only)
; SGPRBlocks: 0
; VGPRBlocks: 1
; NumSGPRsForWavesPerEU: 22
; NumVGPRsForWavesPerEU: 27
; NamedBarCnt: 0
; Occupancy: 16
; WaveLimiterHint : 0
; COMPUTE_PGM_RSRC2:SCRATCH_EN: 0
; COMPUTE_PGM_RSRC2:USER_SGPR: 2
; COMPUTE_PGM_RSRC2:TRAP_HANDLER: 0
; COMPUTE_PGM_RSRC2:TGID_X_EN: 1
; COMPUTE_PGM_RSRC2:TGID_Y_EN: 0
; COMPUTE_PGM_RSRC2:TGID_Z_EN: 0
; COMPUTE_PGM_RSRC2:TIDIG_COMP_CNT: 0
	.section	.text._ZN9rocsparseL32bsr2csr_block_per_row_2_7_kernelILj256ELj4ElliEEv20rocsparse_direction_T3_S2_21rocsparse_index_base_PKT1_PKT2_PKS2_S2_S3_PS4_PS7_PS2_,"axG",@progbits,_ZN9rocsparseL32bsr2csr_block_per_row_2_7_kernelILj256ELj4ElliEEv20rocsparse_direction_T3_S2_21rocsparse_index_base_PKT1_PKT2_PKS2_S2_S3_PS4_PS7_PS2_,comdat
	.globl	_ZN9rocsparseL32bsr2csr_block_per_row_2_7_kernelILj256ELj4ElliEEv20rocsparse_direction_T3_S2_21rocsparse_index_base_PKT1_PKT2_PKS2_S2_S3_PS4_PS7_PS2_ ; -- Begin function _ZN9rocsparseL32bsr2csr_block_per_row_2_7_kernelILj256ELj4ElliEEv20rocsparse_direction_T3_S2_21rocsparse_index_base_PKT1_PKT2_PKS2_S2_S3_PS4_PS7_PS2_
	.p2align	8
	.type	_ZN9rocsparseL32bsr2csr_block_per_row_2_7_kernelILj256ELj4ElliEEv20rocsparse_direction_T3_S2_21rocsparse_index_base_PKT1_PKT2_PKS2_S2_S3_PS4_PS7_PS2_,@function
_ZN9rocsparseL32bsr2csr_block_per_row_2_7_kernelILj256ELj4ElliEEv20rocsparse_direction_T3_S2_21rocsparse_index_base_PKT1_PKT2_PKS2_S2_S3_PS4_PS7_PS2_: ; @_ZN9rocsparseL32bsr2csr_block_per_row_2_7_kernelILj256ELj4ElliEEv20rocsparse_direction_T3_S2_21rocsparse_index_base_PKT1_PKT2_PKS2_S2_S3_PS4_PS7_PS2_
; %bb.0:
	s_load_b64 s[4:5], s[0:1], 0x18
	s_bfe_u32 s2, ttmp6, 0x4000c
	s_and_b32 s3, ttmp6, 15
	s_add_co_i32 s2, s2, 1
	s_getreg_b32 s6, hwreg(HW_REG_IB_STS2, 6, 4)
	s_mul_i32 s2, ttmp9, s2
	s_delay_alu instid0(SALU_CYCLE_1)
	s_add_co_i32 s3, s3, s2
	s_cmp_eq_u32 s6, 0
	s_clause 0x1
	s_load_b32 s2, s[0:1], 0x2c
	s_load_b64 s[12:13], s[0:1], 0x38
	s_cselect_b32 s10, ttmp9, s3
	s_delay_alu instid0(SALU_CYCLE_1)
	s_ashr_i32 s11, s10, 31
	v_or_b32_e32 v1, s10, v0
	s_lshl_b64 s[6:7], s[10:11], 3
	s_wait_kmcnt 0x0
	s_add_nc_u64 s[8:9], s[4:5], s[6:7]
	s_load_b128 s[4:7], s[8:9], 0x0
	s_wait_xcnt 0x0
	s_mov_b32 s9, 0
	s_mov_b32 s8, exec_lo
	s_mov_b32 s3, s9
	v_cmpx_eq_u32_e32 0, v1
	s_cbranch_execz .LBB68_2
; %bb.1:
	v_mov_b64_e32 v[2:3], s[2:3]
	v_mov_b32_e32 v1, 0
	global_store_b64 v1, v[2:3], s[12:13]
.LBB68_2:
	s_wait_xcnt 0x0
	s_or_b32 exec_lo, exec_lo, s8
	s_load_b32 s8, s[0:1], 0xc
	v_dual_mov_b32 v3, 0 :: v_dual_bitop2_b32 v2, 3, v0 bitop3:0x40
	s_delay_alu instid0(VALU_DEP_1) | instskip(SKIP_3) | instid1(VALU_DEP_1)
	v_dual_mov_b32 v7, v3 :: v_dual_lshrrev_b32 v6, 2, v0
	s_wait_kmcnt 0x0
	s_sub_nc_u64 s[14:15], s[4:5], s[8:9]
	s_sub_nc_u64 s[6:7], s[6:7], s[8:9]
	v_add_nc_u64_e32 v[0:1], s[14:15], v[6:7]
	s_sub_nc_u64 s[16:17], s[6:7], s[14:15]
	s_lshl_b64 s[14:15], s[14:15], 4
	s_lshl_b64 s[16:17], s[16:17], 2
	v_lshl_or_b32 v7, s10, 2, v2
	v_mul_u64_e32 v[4:5], s[16:17], v[2:3]
	s_add_nc_u64 s[16:17], s[16:17], s[2:3]
	s_mov_b32 s3, exec_lo
	s_add_nc_u64 s[10:11], s[16:17], s[14:15]
	v_add_nc_u32_e32 v7, 1, v7
	s_delay_alu instid0(VALU_DEP_2)
	v_add_nc_u64_e32 v[8:9], s[10:11], v[4:5]
	global_store_b64 v7, v[8:9], s[12:13] scale_offset
	s_wait_xcnt 0x0
	v_cmpx_gt_i64_e64 s[6:7], v[0:1]
	s_cbranch_execz .LBB68_5
; %bb.3:
	s_clause 0x2
	s_load_b64 s[10:11], s[0:1], 0x20
	s_load_b64 s[12:13], s[0:1], 0x30
	s_load_b32 s3, s[0:1], 0x0
	v_lshl_add_u64 v[4:5], s[4:5], 4, v[4:5]
	v_dual_mov_b32 v7, v3 :: v_dual_lshlrev_b32 v6, 2, v6
	s_load_b64 s[4:5], s[0:1], 0x10
	v_lshlrev_b64_e32 v[8:9], 7, v[0:1]
	s_wait_xcnt 0x0
	s_load_b64 s[0:1], s[0:1], 0x40
	v_add_nc_u64_e32 v[4:5], v[4:5], v[6:7]
	v_dual_lshlrev_b32 v6, 3, v2 :: v_dual_lshlrev_b32 v2, 5, v2
	s_wait_kmcnt 0x0
	s_cmp_eq_u32 s3, 0
	s_cselect_b32 vcc_lo, -1, 0
	s_lshl_b64 s[14:15], s[8:9], 4
	v_add_nc_u64_e32 v[8:9], s[4:5], v[8:9]
	v_sub_nc_u64_e64 v[12:13], v[4:5], s[14:15]
	v_lshl_add_u64 v[4:5], v[0:1], 2, s[10:11]
	s_delay_alu instid0(VALU_DEP_2) | instskip(SKIP_2) | instid1(VALU_DEP_2)
	v_lshl_add_u64 v[10:11], v[12:13], 3, s[12:13]
	v_lshl_add_u64 v[12:13], v[12:13], 2, s[0:1]
	s_mov_b32 s1, 0
	v_add_nc_u64_e32 v[10:11], 16, v[10:11]
.LBB68_4:                               ; =>This Inner Loop Header: Depth=1
	v_add_nc_u64_e32 v[14:15], v[8:9], v[2:3]
	v_add_nc_u64_e32 v[16:17], v[8:9], v[6:7]
	global_load_b32 v34, v[4:5], off
	v_add_nc_u64_e32 v[0:1], 64, v[0:1]
	s_wait_xcnt 0x0
	v_add_nc_u64_e32 v[4:5], 0x100, v[4:5]
	v_add_nc_u64_e32 v[8:9], 0x2000, v[8:9]
	;; [unrolled: 1-line block ×8, first 2 shown]
	v_dual_cndmask_b32 v31, v17, v15 :: v_dual_cndmask_b32 v30, v16, v14
	v_dual_cndmask_b32 v33, v21, v19 :: v_dual_cndmask_b32 v32, v20, v18
	;; [unrolled: 1-line block ×3, first 2 shown]
	s_delay_alu instid0(VALU_DEP_4)
	v_dual_cndmask_b32 v25, v29, v27 :: v_dual_cndmask_b32 v24, v28, v26
	global_load_b64 v[14:15], v[30:31], off
	global_load_b64 v[16:17], v[32:33], off
	;; [unrolled: 1-line block ×4, first 2 shown]
	v_cmp_le_i64_e64 s0, s[6:7], v[0:1]
	s_or_b32 s1, s0, s1
	s_wait_loadcnt 0x4
	s_wait_xcnt 0x1
	v_subrev_nc_u32_e32 v22, s8, v34
	s_delay_alu instid0(VALU_DEP_1) | instskip(SKIP_1) | instid1(VALU_DEP_1)
	v_lshl_add_u32 v22, v22, 2, s2
	s_wait_xcnt 0x0
	v_dual_add_nc_u32 v24, 2, v22 :: v_dual_add_nc_u32 v23, 1, v22
	v_add_nc_u32_e32 v25, 3, v22
	global_store_b128 v[12:13], v[22:25], off
	s_wait_xcnt 0x0
	v_add_nc_u64_e32 v[12:13], 0x400, v[12:13]
	s_wait_loadcnt 0x2
	global_store_b128 v[10:11], v[14:17], off offset:-16
	s_wait_loadcnt 0x0
	global_store_b128 v[10:11], v[18:21], off
	s_wait_xcnt 0x0
	v_add_nc_u64_e32 v[10:11], 0x800, v[10:11]
	s_and_not1_b32 exec_lo, exec_lo, s1
	s_cbranch_execnz .LBB68_4
.LBB68_5:
	s_endpgm
	.section	.rodata,"a",@progbits
	.p2align	6, 0x0
	.amdhsa_kernel _ZN9rocsparseL32bsr2csr_block_per_row_2_7_kernelILj256ELj4ElliEEv20rocsparse_direction_T3_S2_21rocsparse_index_base_PKT1_PKT2_PKS2_S2_S3_PS4_PS7_PS2_
		.amdhsa_group_segment_fixed_size 0
		.amdhsa_private_segment_fixed_size 0
		.amdhsa_kernarg_size 72
		.amdhsa_user_sgpr_count 2
		.amdhsa_user_sgpr_dispatch_ptr 0
		.amdhsa_user_sgpr_queue_ptr 0
		.amdhsa_user_sgpr_kernarg_segment_ptr 1
		.amdhsa_user_sgpr_dispatch_id 0
		.amdhsa_user_sgpr_kernarg_preload_length 0
		.amdhsa_user_sgpr_kernarg_preload_offset 0
		.amdhsa_user_sgpr_private_segment_size 0
		.amdhsa_wavefront_size32 1
		.amdhsa_uses_dynamic_stack 0
		.amdhsa_enable_private_segment 0
		.amdhsa_system_sgpr_workgroup_id_x 1
		.amdhsa_system_sgpr_workgroup_id_y 0
		.amdhsa_system_sgpr_workgroup_id_z 0
		.amdhsa_system_sgpr_workgroup_info 0
		.amdhsa_system_vgpr_workitem_id 0
		.amdhsa_next_free_vgpr 35
		.amdhsa_next_free_sgpr 18
		.amdhsa_named_barrier_count 0
		.amdhsa_reserve_vcc 1
		.amdhsa_float_round_mode_32 0
		.amdhsa_float_round_mode_16_64 0
		.amdhsa_float_denorm_mode_32 3
		.amdhsa_float_denorm_mode_16_64 3
		.amdhsa_fp16_overflow 0
		.amdhsa_memory_ordered 1
		.amdhsa_forward_progress 1
		.amdhsa_inst_pref_size 6
		.amdhsa_round_robin_scheduling 0
		.amdhsa_exception_fp_ieee_invalid_op 0
		.amdhsa_exception_fp_denorm_src 0
		.amdhsa_exception_fp_ieee_div_zero 0
		.amdhsa_exception_fp_ieee_overflow 0
		.amdhsa_exception_fp_ieee_underflow 0
		.amdhsa_exception_fp_ieee_inexact 0
		.amdhsa_exception_int_div_zero 0
	.end_amdhsa_kernel
	.section	.text._ZN9rocsparseL32bsr2csr_block_per_row_2_7_kernelILj256ELj4ElliEEv20rocsparse_direction_T3_S2_21rocsparse_index_base_PKT1_PKT2_PKS2_S2_S3_PS4_PS7_PS2_,"axG",@progbits,_ZN9rocsparseL32bsr2csr_block_per_row_2_7_kernelILj256ELj4ElliEEv20rocsparse_direction_T3_S2_21rocsparse_index_base_PKT1_PKT2_PKS2_S2_S3_PS4_PS7_PS2_,comdat
.Lfunc_end68:
	.size	_ZN9rocsparseL32bsr2csr_block_per_row_2_7_kernelILj256ELj4ElliEEv20rocsparse_direction_T3_S2_21rocsparse_index_base_PKT1_PKT2_PKS2_S2_S3_PS4_PS7_PS2_, .Lfunc_end68-_ZN9rocsparseL32bsr2csr_block_per_row_2_7_kernelILj256ELj4ElliEEv20rocsparse_direction_T3_S2_21rocsparse_index_base_PKT1_PKT2_PKS2_S2_S3_PS4_PS7_PS2_
                                        ; -- End function
	.set _ZN9rocsparseL32bsr2csr_block_per_row_2_7_kernelILj256ELj4ElliEEv20rocsparse_direction_T3_S2_21rocsparse_index_base_PKT1_PKT2_PKS2_S2_S3_PS4_PS7_PS2_.num_vgpr, 35
	.set _ZN9rocsparseL32bsr2csr_block_per_row_2_7_kernelILj256ELj4ElliEEv20rocsparse_direction_T3_S2_21rocsparse_index_base_PKT1_PKT2_PKS2_S2_S3_PS4_PS7_PS2_.num_agpr, 0
	.set _ZN9rocsparseL32bsr2csr_block_per_row_2_7_kernelILj256ELj4ElliEEv20rocsparse_direction_T3_S2_21rocsparse_index_base_PKT1_PKT2_PKS2_S2_S3_PS4_PS7_PS2_.numbered_sgpr, 18
	.set _ZN9rocsparseL32bsr2csr_block_per_row_2_7_kernelILj256ELj4ElliEEv20rocsparse_direction_T3_S2_21rocsparse_index_base_PKT1_PKT2_PKS2_S2_S3_PS4_PS7_PS2_.num_named_barrier, 0
	.set _ZN9rocsparseL32bsr2csr_block_per_row_2_7_kernelILj256ELj4ElliEEv20rocsparse_direction_T3_S2_21rocsparse_index_base_PKT1_PKT2_PKS2_S2_S3_PS4_PS7_PS2_.private_seg_size, 0
	.set _ZN9rocsparseL32bsr2csr_block_per_row_2_7_kernelILj256ELj4ElliEEv20rocsparse_direction_T3_S2_21rocsparse_index_base_PKT1_PKT2_PKS2_S2_S3_PS4_PS7_PS2_.uses_vcc, 1
	.set _ZN9rocsparseL32bsr2csr_block_per_row_2_7_kernelILj256ELj4ElliEEv20rocsparse_direction_T3_S2_21rocsparse_index_base_PKT1_PKT2_PKS2_S2_S3_PS4_PS7_PS2_.uses_flat_scratch, 0
	.set _ZN9rocsparseL32bsr2csr_block_per_row_2_7_kernelILj256ELj4ElliEEv20rocsparse_direction_T3_S2_21rocsparse_index_base_PKT1_PKT2_PKS2_S2_S3_PS4_PS7_PS2_.has_dyn_sized_stack, 0
	.set _ZN9rocsparseL32bsr2csr_block_per_row_2_7_kernelILj256ELj4ElliEEv20rocsparse_direction_T3_S2_21rocsparse_index_base_PKT1_PKT2_PKS2_S2_S3_PS4_PS7_PS2_.has_recursion, 0
	.set _ZN9rocsparseL32bsr2csr_block_per_row_2_7_kernelILj256ELj4ElliEEv20rocsparse_direction_T3_S2_21rocsparse_index_base_PKT1_PKT2_PKS2_S2_S3_PS4_PS7_PS2_.has_indirect_call, 0
	.section	.AMDGPU.csdata,"",@progbits
; Kernel info:
; codeLenInByte = 716
; TotalNumSgprs: 20
; NumVgprs: 35
; ScratchSize: 0
; MemoryBound: 0
; FloatMode: 240
; IeeeMode: 1
; LDSByteSize: 0 bytes/workgroup (compile time only)
; SGPRBlocks: 0
; VGPRBlocks: 2
; NumSGPRsForWavesPerEU: 20
; NumVGPRsForWavesPerEU: 35
; NamedBarCnt: 0
; Occupancy: 16
; WaveLimiterHint : 0
; COMPUTE_PGM_RSRC2:SCRATCH_EN: 0
; COMPUTE_PGM_RSRC2:USER_SGPR: 2
; COMPUTE_PGM_RSRC2:TRAP_HANDLER: 0
; COMPUTE_PGM_RSRC2:TGID_X_EN: 1
; COMPUTE_PGM_RSRC2:TGID_Y_EN: 0
; COMPUTE_PGM_RSRC2:TGID_Z_EN: 0
; COMPUTE_PGM_RSRC2:TIDIG_COMP_CNT: 0
	.section	.text._ZN9rocsparseL32bsr2csr_block_per_row_2_7_kernelILj256ELj5ElliEEv20rocsparse_direction_T3_S2_21rocsparse_index_base_PKT1_PKT2_PKS2_S2_S3_PS4_PS7_PS2_,"axG",@progbits,_ZN9rocsparseL32bsr2csr_block_per_row_2_7_kernelILj256ELj5ElliEEv20rocsparse_direction_T3_S2_21rocsparse_index_base_PKT1_PKT2_PKS2_S2_S3_PS4_PS7_PS2_,comdat
	.globl	_ZN9rocsparseL32bsr2csr_block_per_row_2_7_kernelILj256ELj5ElliEEv20rocsparse_direction_T3_S2_21rocsparse_index_base_PKT1_PKT2_PKS2_S2_S3_PS4_PS7_PS2_ ; -- Begin function _ZN9rocsparseL32bsr2csr_block_per_row_2_7_kernelILj256ELj5ElliEEv20rocsparse_direction_T3_S2_21rocsparse_index_base_PKT1_PKT2_PKS2_S2_S3_PS4_PS7_PS2_
	.p2align	8
	.type	_ZN9rocsparseL32bsr2csr_block_per_row_2_7_kernelILj256ELj5ElliEEv20rocsparse_direction_T3_S2_21rocsparse_index_base_PKT1_PKT2_PKS2_S2_S3_PS4_PS7_PS2_,@function
_ZN9rocsparseL32bsr2csr_block_per_row_2_7_kernelILj256ELj5ElliEEv20rocsparse_direction_T3_S2_21rocsparse_index_base_PKT1_PKT2_PKS2_S2_S3_PS4_PS7_PS2_: ; @_ZN9rocsparseL32bsr2csr_block_per_row_2_7_kernelILj256ELj5ElliEEv20rocsparse_direction_T3_S2_21rocsparse_index_base_PKT1_PKT2_PKS2_S2_S3_PS4_PS7_PS2_
; %bb.0:
	s_clause 0x1
	s_load_b32 s2, s[0:1], 0x2c
	s_load_b64 s[10:11], s[0:1], 0x38
	s_bfe_u32 s3, ttmp6, 0x4000c
	s_and_b32 s4, ttmp6, 15
	s_add_co_i32 s3, s3, 1
	s_getreg_b32 s5, hwreg(HW_REG_IB_STS2, 6, 4)
	s_mul_i32 s3, ttmp9, s3
	s_delay_alu instid0(SALU_CYCLE_1) | instskip(SKIP_3) | instid1(SALU_CYCLE_1)
	s_add_co_i32 s4, s4, s3
	s_cmp_eq_u32 s5, 0
	s_mov_b32 s3, exec_lo
	s_cselect_b32 s12, ttmp9, s4
	v_or_b32_e32 v1, s12, v0
	s_delay_alu instid0(VALU_DEP_1)
	v_cmpx_eq_u32_e32 0, v1
	s_cbranch_execz .LBB69_2
; %bb.1:
	s_wait_kmcnt 0x0
	v_dual_mov_b32 v2, s2 :: v_dual_mov_b32 v3, 0
	global_store_b64 v3, v[2:3], s[10:11]
.LBB69_2:
	s_wait_xcnt 0x0
	s_or_b32 exec_lo, exec_lo, s3
	v_and_b32_e32 v2, 7, v0
	s_mov_b32 s3, exec_lo
	s_delay_alu instid0(VALU_DEP_1)
	v_cmpx_gt_u32_e32 5, v2
	s_cbranch_execz .LBB69_6
; %bb.3:
	s_clause 0x1
	s_load_b64 s[4:5], s[0:1], 0x18
	s_load_b32 s8, s[0:1], 0xc
	s_ashr_i32 s13, s12, 31
	s_mov_b32 s9, 0
	s_lshl_b64 s[6:7], s[12:13], 3
	v_dual_mov_b32 v3, 0 :: v_dual_lshrrev_b32 v4, 3, v0
	s_mov_b32 s3, s9
	s_delay_alu instid0(VALU_DEP_1)
	v_mov_b32_e32 v5, v3
	s_wait_kmcnt 0x0
	s_add_nc_u64 s[14:15], s[4:5], s[6:7]
	s_load_b128 s[4:7], s[14:15], 0x0
	s_wait_kmcnt 0x0
	s_sub_nc_u64 s[14:15], s[4:5], s[8:9]
	s_sub_nc_u64 s[6:7], s[6:7], s[8:9]
	v_add_nc_u64_e32 v[0:1], s[14:15], v[4:5]
	s_sub_nc_u64 s[16:17], s[6:7], s[14:15]
	s_mul_u64 s[18:19], s[14:15], 25
	s_mul_u64 s[16:17], s[16:17], 5
	s_delay_alu instid0(SALU_CYCLE_1)
	v_mul_u64_e32 v[6:7], s[16:17], v[2:3]
	s_add_nc_u64 s[14:15], s[16:17], s[2:3]
	s_mul_i32 s3, s12, 5
	s_add_nc_u64 s[14:15], s[14:15], s[18:19]
	v_cmp_gt_i64_e32 vcc_lo, s[6:7], v[0:1]
	v_add3_u32 v5, v2, s3, 1
	s_delay_alu instid0(VALU_DEP_3)
	v_add_nc_u64_e32 v[8:9], s[14:15], v[6:7]
	global_store_b64 v5, v[8:9], s[10:11] scale_offset
	s_wait_xcnt 0x0
	s_and_b32 exec_lo, exec_lo, vcc_lo
	s_cbranch_execz .LBB69_6
; %bb.4:
	v_mad_nc_u64_u32 v[6:7], s4, 25, v[6:7]
	s_load_b64 s[10:11], s[0:1], 0x10
	v_mul_u32_u24_e32 v12, 5, v2
	v_dual_mov_b32 v13, v3 :: v_dual_lshlrev_b32 v2, 3, v2
	s_delay_alu instid0(VALU_DEP_2) | instskip(NEXT) | instid1(VALU_DEP_4)
	v_lshlrev_b32_e32 v12, 3, v12
	v_mad_u32 v7, s5, 25, v7
	s_clause 0x3
	s_load_b64 s[4:5], s[0:1], 0x30
	s_load_b64 s[12:13], s[0:1], 0x40
	;; [unrolled: 1-line block ×3, first 2 shown]
	s_load_b32 s3, s[0:1], 0x0
	s_wait_xcnt 0x0
	s_mul_u64 s[0:1], s[8:9], 25
	s_delay_alu instid0(VALU_DEP_1) | instskip(SKIP_3) | instid1(VALU_DEP_2)
	v_mad_nc_u64_u32 v[6:7], v4, 5, v[6:7]
	s_wait_kmcnt 0x0
	v_mad_nc_u64_u32 v[4:5], 0xc8, v0, s[10:11]
	s_cmp_eq_u32 s3, 0
	v_sub_nc_u64_e64 v[6:7], v[6:7], s[0:1]
	s_delay_alu instid0(VALU_DEP_2) | instskip(SKIP_1) | instid1(VALU_DEP_2)
	v_mad_u32 v5, 0xc8, v1, v5
	s_cselect_b32 vcc_lo, -1, 0
	v_lshl_add_u64 v[8:9], v[6:7], 3, s[4:5]
	v_lshl_add_u64 v[10:11], v[6:7], 2, s[12:13]
	;; [unrolled: 1-line block ×3, first 2 shown]
	s_delay_alu instid0(VALU_DEP_3) | instskip(NEXT) | instid1(VALU_DEP_3)
	v_add_nc_u64_e32 v[8:9], 16, v[8:9]
	v_add_nc_u64_e32 v[10:11], 12, v[10:11]
.LBB69_5:                               ; =>This Inner Loop Header: Depth=1
	global_load_b32 v34, v[6:7], off
	v_add_nc_u64_e32 v[14:15], v[4:5], v[2:3]
	v_add_nc_u64_e32 v[16:17], v[4:5], v[12:13]
	;; [unrolled: 1-line block ×3, first 2 shown]
	s_wait_xcnt 0x0
	v_add_nc_u64_e32 v[6:7], 0x80, v[6:7]
	v_add_nc_u64_e32 v[4:5], 0x1900, v[4:5]
	v_add_nc_u64_e32 v[22:23], 40, v[14:15]
	v_add_nc_u64_e32 v[20:21], 8, v[16:17]
	v_add_nc_u64_e32 v[24:25], 16, v[16:17]
	v_add_nc_u64_e32 v[26:27], 0x50, v[14:15]
	v_add_nc_u64_e32 v[28:29], 24, v[16:17]
	v_add_nc_u64_e32 v[30:31], 0x78, v[14:15]
	v_dual_cndmask_b32 v19, v15, v17 :: v_dual_cndmask_b32 v18, v14, v16
	v_add_nc_u64_e32 v[16:17], 32, v[16:17]
	v_add_nc_u64_e32 v[32:33], 0xa0, v[14:15]
	v_dual_cndmask_b32 v23, v23, v21 :: v_dual_cndmask_b32 v22, v22, v20
	v_dual_cndmask_b32 v25, v27, v25 :: v_dual_cndmask_b32 v24, v26, v24
	;; [unrolled: 1-line block ×3, first 2 shown]
	s_delay_alu instid0(VALU_DEP_4)
	v_dual_cndmask_b32 v29, v33, v17 :: v_dual_cndmask_b32 v28, v32, v16
	global_load_b64 v[14:15], v[18:19], off
	global_load_b64 v[16:17], v[22:23], off
	;; [unrolled: 1-line block ×5, first 2 shown]
	v_cmp_le_i64_e64 s0, s[6:7], v[0:1]
	s_wait_loadcnt 0x3
	global_store_b128 v[8:9], v[14:17], off offset:-16
	s_wait_loadcnt 0x1
	global_store_b128 v[8:9], v[18:21], off
	s_wait_loadcnt 0x0
	global_store_b64 v[8:9], v[30:31], off offset:16
	s_wait_xcnt 0x6
	v_subrev_nc_u32_e32 v22, s8, v34
	s_wait_xcnt 0x0
	v_add_nc_u64_e32 v[8:9], 0x500, v[8:9]
	s_or_b32 s9, s0, s9
	s_delay_alu instid0(VALU_DEP_2) | instskip(NEXT) | instid1(VALU_DEP_1)
	v_mad_u32 v22, v22, 5, s2
	v_dual_add_nc_u32 v24, 2, v22 :: v_dual_add_nc_u32 v23, 1, v22
	v_dual_add_nc_u32 v27, 4, v22 :: v_dual_add_nc_u32 v26, 3, v22
	s_clause 0x1
	global_store_b96 v[10:11], v[22:24], off offset:-12
	global_store_b64 v[10:11], v[26:27], off
	s_wait_xcnt 0x0
	v_add_nc_u64_e32 v[10:11], 0x280, v[10:11]
	s_and_not1_b32 exec_lo, exec_lo, s9
	s_cbranch_execnz .LBB69_5
.LBB69_6:
	s_endpgm
	.section	.rodata,"a",@progbits
	.p2align	6, 0x0
	.amdhsa_kernel _ZN9rocsparseL32bsr2csr_block_per_row_2_7_kernelILj256ELj5ElliEEv20rocsparse_direction_T3_S2_21rocsparse_index_base_PKT1_PKT2_PKS2_S2_S3_PS4_PS7_PS2_
		.amdhsa_group_segment_fixed_size 0
		.amdhsa_private_segment_fixed_size 0
		.amdhsa_kernarg_size 72
		.amdhsa_user_sgpr_count 2
		.amdhsa_user_sgpr_dispatch_ptr 0
		.amdhsa_user_sgpr_queue_ptr 0
		.amdhsa_user_sgpr_kernarg_segment_ptr 1
		.amdhsa_user_sgpr_dispatch_id 0
		.amdhsa_user_sgpr_kernarg_preload_length 0
		.amdhsa_user_sgpr_kernarg_preload_offset 0
		.amdhsa_user_sgpr_private_segment_size 0
		.amdhsa_wavefront_size32 1
		.amdhsa_uses_dynamic_stack 0
		.amdhsa_enable_private_segment 0
		.amdhsa_system_sgpr_workgroup_id_x 1
		.amdhsa_system_sgpr_workgroup_id_y 0
		.amdhsa_system_sgpr_workgroup_id_z 0
		.amdhsa_system_sgpr_workgroup_info 0
		.amdhsa_system_vgpr_workitem_id 0
		.amdhsa_next_free_vgpr 35
		.amdhsa_next_free_sgpr 20
		.amdhsa_named_barrier_count 0
		.amdhsa_reserve_vcc 1
		.amdhsa_float_round_mode_32 0
		.amdhsa_float_round_mode_16_64 0
		.amdhsa_float_denorm_mode_32 3
		.amdhsa_float_denorm_mode_16_64 3
		.amdhsa_fp16_overflow 0
		.amdhsa_memory_ordered 1
		.amdhsa_forward_progress 1
		.amdhsa_inst_pref_size 7
		.amdhsa_round_robin_scheduling 0
		.amdhsa_exception_fp_ieee_invalid_op 0
		.amdhsa_exception_fp_denorm_src 0
		.amdhsa_exception_fp_ieee_div_zero 0
		.amdhsa_exception_fp_ieee_overflow 0
		.amdhsa_exception_fp_ieee_underflow 0
		.amdhsa_exception_fp_ieee_inexact 0
		.amdhsa_exception_int_div_zero 0
	.end_amdhsa_kernel
	.section	.text._ZN9rocsparseL32bsr2csr_block_per_row_2_7_kernelILj256ELj5ElliEEv20rocsparse_direction_T3_S2_21rocsparse_index_base_PKT1_PKT2_PKS2_S2_S3_PS4_PS7_PS2_,"axG",@progbits,_ZN9rocsparseL32bsr2csr_block_per_row_2_7_kernelILj256ELj5ElliEEv20rocsparse_direction_T3_S2_21rocsparse_index_base_PKT1_PKT2_PKS2_S2_S3_PS4_PS7_PS2_,comdat
.Lfunc_end69:
	.size	_ZN9rocsparseL32bsr2csr_block_per_row_2_7_kernelILj256ELj5ElliEEv20rocsparse_direction_T3_S2_21rocsparse_index_base_PKT1_PKT2_PKS2_S2_S3_PS4_PS7_PS2_, .Lfunc_end69-_ZN9rocsparseL32bsr2csr_block_per_row_2_7_kernelILj256ELj5ElliEEv20rocsparse_direction_T3_S2_21rocsparse_index_base_PKT1_PKT2_PKS2_S2_S3_PS4_PS7_PS2_
                                        ; -- End function
	.set _ZN9rocsparseL32bsr2csr_block_per_row_2_7_kernelILj256ELj5ElliEEv20rocsparse_direction_T3_S2_21rocsparse_index_base_PKT1_PKT2_PKS2_S2_S3_PS4_PS7_PS2_.num_vgpr, 35
	.set _ZN9rocsparseL32bsr2csr_block_per_row_2_7_kernelILj256ELj5ElliEEv20rocsparse_direction_T3_S2_21rocsparse_index_base_PKT1_PKT2_PKS2_S2_S3_PS4_PS7_PS2_.num_agpr, 0
	.set _ZN9rocsparseL32bsr2csr_block_per_row_2_7_kernelILj256ELj5ElliEEv20rocsparse_direction_T3_S2_21rocsparse_index_base_PKT1_PKT2_PKS2_S2_S3_PS4_PS7_PS2_.numbered_sgpr, 20
	.set _ZN9rocsparseL32bsr2csr_block_per_row_2_7_kernelILj256ELj5ElliEEv20rocsparse_direction_T3_S2_21rocsparse_index_base_PKT1_PKT2_PKS2_S2_S3_PS4_PS7_PS2_.num_named_barrier, 0
	.set _ZN9rocsparseL32bsr2csr_block_per_row_2_7_kernelILj256ELj5ElliEEv20rocsparse_direction_T3_S2_21rocsparse_index_base_PKT1_PKT2_PKS2_S2_S3_PS4_PS7_PS2_.private_seg_size, 0
	.set _ZN9rocsparseL32bsr2csr_block_per_row_2_7_kernelILj256ELj5ElliEEv20rocsparse_direction_T3_S2_21rocsparse_index_base_PKT1_PKT2_PKS2_S2_S3_PS4_PS7_PS2_.uses_vcc, 1
	.set _ZN9rocsparseL32bsr2csr_block_per_row_2_7_kernelILj256ELj5ElliEEv20rocsparse_direction_T3_S2_21rocsparse_index_base_PKT1_PKT2_PKS2_S2_S3_PS4_PS7_PS2_.uses_flat_scratch, 0
	.set _ZN9rocsparseL32bsr2csr_block_per_row_2_7_kernelILj256ELj5ElliEEv20rocsparse_direction_T3_S2_21rocsparse_index_base_PKT1_PKT2_PKS2_S2_S3_PS4_PS7_PS2_.has_dyn_sized_stack, 0
	.set _ZN9rocsparseL32bsr2csr_block_per_row_2_7_kernelILj256ELj5ElliEEv20rocsparse_direction_T3_S2_21rocsparse_index_base_PKT1_PKT2_PKS2_S2_S3_PS4_PS7_PS2_.has_recursion, 0
	.set _ZN9rocsparseL32bsr2csr_block_per_row_2_7_kernelILj256ELj5ElliEEv20rocsparse_direction_T3_S2_21rocsparse_index_base_PKT1_PKT2_PKS2_S2_S3_PS4_PS7_PS2_.has_indirect_call, 0
	.section	.AMDGPU.csdata,"",@progbits
; Kernel info:
; codeLenInByte = 836
; TotalNumSgprs: 22
; NumVgprs: 35
; ScratchSize: 0
; MemoryBound: 0
; FloatMode: 240
; IeeeMode: 1
; LDSByteSize: 0 bytes/workgroup (compile time only)
; SGPRBlocks: 0
; VGPRBlocks: 2
; NumSGPRsForWavesPerEU: 22
; NumVGPRsForWavesPerEU: 35
; NamedBarCnt: 0
; Occupancy: 16
; WaveLimiterHint : 0
; COMPUTE_PGM_RSRC2:SCRATCH_EN: 0
; COMPUTE_PGM_RSRC2:USER_SGPR: 2
; COMPUTE_PGM_RSRC2:TRAP_HANDLER: 0
; COMPUTE_PGM_RSRC2:TGID_X_EN: 1
; COMPUTE_PGM_RSRC2:TGID_Y_EN: 0
; COMPUTE_PGM_RSRC2:TGID_Z_EN: 0
; COMPUTE_PGM_RSRC2:TIDIG_COMP_CNT: 0
	.section	.text._ZN9rocsparseL32bsr2csr_block_per_row_2_7_kernelILj256ELj6ElliEEv20rocsparse_direction_T3_S2_21rocsparse_index_base_PKT1_PKT2_PKS2_S2_S3_PS4_PS7_PS2_,"axG",@progbits,_ZN9rocsparseL32bsr2csr_block_per_row_2_7_kernelILj256ELj6ElliEEv20rocsparse_direction_T3_S2_21rocsparse_index_base_PKT1_PKT2_PKS2_S2_S3_PS4_PS7_PS2_,comdat
	.globl	_ZN9rocsparseL32bsr2csr_block_per_row_2_7_kernelILj256ELj6ElliEEv20rocsparse_direction_T3_S2_21rocsparse_index_base_PKT1_PKT2_PKS2_S2_S3_PS4_PS7_PS2_ ; -- Begin function _ZN9rocsparseL32bsr2csr_block_per_row_2_7_kernelILj256ELj6ElliEEv20rocsparse_direction_T3_S2_21rocsparse_index_base_PKT1_PKT2_PKS2_S2_S3_PS4_PS7_PS2_
	.p2align	8
	.type	_ZN9rocsparseL32bsr2csr_block_per_row_2_7_kernelILj256ELj6ElliEEv20rocsparse_direction_T3_S2_21rocsparse_index_base_PKT1_PKT2_PKS2_S2_S3_PS4_PS7_PS2_,@function
_ZN9rocsparseL32bsr2csr_block_per_row_2_7_kernelILj256ELj6ElliEEv20rocsparse_direction_T3_S2_21rocsparse_index_base_PKT1_PKT2_PKS2_S2_S3_PS4_PS7_PS2_: ; @_ZN9rocsparseL32bsr2csr_block_per_row_2_7_kernelILj256ELj6ElliEEv20rocsparse_direction_T3_S2_21rocsparse_index_base_PKT1_PKT2_PKS2_S2_S3_PS4_PS7_PS2_
; %bb.0:
	s_clause 0x1
	s_load_b32 s2, s[0:1], 0x2c
	s_load_b64 s[10:11], s[0:1], 0x38
	s_bfe_u32 s3, ttmp6, 0x4000c
	s_and_b32 s4, ttmp6, 15
	s_add_co_i32 s3, s3, 1
	s_getreg_b32 s5, hwreg(HW_REG_IB_STS2, 6, 4)
	s_mul_i32 s3, ttmp9, s3
	s_delay_alu instid0(SALU_CYCLE_1) | instskip(SKIP_3) | instid1(SALU_CYCLE_1)
	s_add_co_i32 s4, s4, s3
	s_cmp_eq_u32 s5, 0
	s_mov_b32 s3, exec_lo
	s_cselect_b32 s12, ttmp9, s4
	v_or_b32_e32 v1, s12, v0
	s_delay_alu instid0(VALU_DEP_1)
	v_cmpx_eq_u32_e32 0, v1
	s_cbranch_execz .LBB70_2
; %bb.1:
	s_wait_kmcnt 0x0
	v_dual_mov_b32 v2, s2 :: v_dual_mov_b32 v3, 0
	global_store_b64 v3, v[2:3], s[10:11]
.LBB70_2:
	s_wait_xcnt 0x0
	s_or_b32 exec_lo, exec_lo, s3
	v_and_b32_e32 v2, 7, v0
	s_mov_b32 s3, exec_lo
	s_delay_alu instid0(VALU_DEP_1)
	v_cmpx_gt_u32_e32 6, v2
	s_cbranch_execz .LBB70_6
; %bb.3:
	s_clause 0x1
	s_load_b64 s[4:5], s[0:1], 0x18
	s_load_b32 s8, s[0:1], 0xc
	s_ashr_i32 s13, s12, 31
	s_mov_b32 s9, 0
	s_lshl_b64 s[6:7], s[12:13], 3
	v_dual_mov_b32 v3, 0 :: v_dual_lshrrev_b32 v4, 3, v0
	s_mov_b32 s3, s9
	s_delay_alu instid0(VALU_DEP_1)
	v_mov_b32_e32 v5, v3
	s_wait_kmcnt 0x0
	s_add_nc_u64 s[14:15], s[4:5], s[6:7]
	s_load_b128 s[4:7], s[14:15], 0x0
	s_wait_kmcnt 0x0
	s_sub_nc_u64 s[14:15], s[4:5], s[8:9]
	s_sub_nc_u64 s[6:7], s[6:7], s[8:9]
	v_add_nc_u64_e32 v[0:1], s[14:15], v[4:5]
	s_sub_nc_u64 s[16:17], s[6:7], s[14:15]
	s_mul_u64 s[18:19], s[14:15], 36
	s_mul_u64 s[16:17], s[16:17], 6
	s_delay_alu instid0(SALU_CYCLE_1)
	v_mul_u64_e32 v[6:7], s[16:17], v[2:3]
	s_add_nc_u64 s[14:15], s[16:17], s[2:3]
	s_mul_i32 s3, s12, 6
	s_add_nc_u64 s[14:15], s[14:15], s[18:19]
	v_cmp_gt_i64_e32 vcc_lo, s[6:7], v[0:1]
	v_add3_u32 v5, v2, s3, 1
	s_delay_alu instid0(VALU_DEP_3)
	v_add_nc_u64_e32 v[8:9], s[14:15], v[6:7]
	global_store_b64 v5, v[8:9], s[10:11] scale_offset
	s_wait_xcnt 0x0
	s_and_b32 exec_lo, exec_lo, vcc_lo
	s_cbranch_execz .LBB70_6
; %bb.4:
	v_mad_nc_u64_u32 v[6:7], s4, 36, v[6:7]
	s_load_b64 s[10:11], s[0:1], 0x10
	v_mul_u32_u24_e32 v12, 6, v2
	v_dual_mov_b32 v13, v3 :: v_dual_lshlrev_b32 v2, 3, v2
	s_delay_alu instid0(VALU_DEP_2) | instskip(NEXT) | instid1(VALU_DEP_4)
	v_lshlrev_b32_e32 v12, 3, v12
	v_mad_u32 v7, s5, 36, v7
	s_clause 0x3
	s_load_b64 s[4:5], s[0:1], 0x30
	s_load_b64 s[12:13], s[0:1], 0x40
	;; [unrolled: 1-line block ×3, first 2 shown]
	s_load_b32 s3, s[0:1], 0x0
	s_wait_xcnt 0x0
	s_mul_u64 s[0:1], s[8:9], 36
	s_delay_alu instid0(VALU_DEP_1) | instskip(SKIP_3) | instid1(VALU_DEP_2)
	v_mad_nc_u64_u32 v[6:7], v4, 6, v[6:7]
	s_wait_kmcnt 0x0
	v_mad_nc_u64_u32 v[4:5], 0x120, v0, s[10:11]
	s_cmp_eq_u32 s3, 0
	v_sub_nc_u64_e64 v[6:7], v[6:7], s[0:1]
	s_delay_alu instid0(VALU_DEP_2) | instskip(SKIP_1) | instid1(VALU_DEP_2)
	v_mad_u32 v5, 0x120, v1, v5
	s_cselect_b32 vcc_lo, -1, 0
	v_lshl_add_u64 v[8:9], v[6:7], 3, s[4:5]
	v_lshl_add_u64 v[10:11], v[6:7], 2, s[12:13]
	;; [unrolled: 1-line block ×3, first 2 shown]
	s_delay_alu instid0(VALU_DEP_3) | instskip(NEXT) | instid1(VALU_DEP_3)
	v_add_nc_u64_e32 v[8:9], 24, v[8:9]
	v_add_nc_u64_e32 v[10:11], 12, v[10:11]
.LBB70_5:                               ; =>This Inner Loop Header: Depth=1
	global_load_b32 v40, v[6:7], off
	v_add_nc_u64_e32 v[14:15], v[4:5], v[2:3]
	v_add_nc_u64_e32 v[16:17], v[4:5], v[12:13]
	;; [unrolled: 1-line block ×3, first 2 shown]
	s_wait_xcnt 0x0
	v_add_nc_u64_e32 v[6:7], 0x80, v[6:7]
	v_add_nc_u64_e32 v[4:5], 0x2400, v[4:5]
	;; [unrolled: 1-line block ×10, first 2 shown]
	v_dual_cndmask_b32 v19, v15, v17 :: v_dual_cndmask_b32 v18, v14, v16
	v_add_nc_u64_e32 v[16:17], 40, v[16:17]
	v_add_nc_u64_e32 v[36:37], 0xf0, v[14:15]
	v_dual_cndmask_b32 v39, v23, v21 :: v_dual_cndmask_b32 v38, v22, v20
	v_dual_cndmask_b32 v27, v27, v25 :: v_dual_cndmask_b32 v26, v26, v24
	;; [unrolled: 1-line block ×5, first 2 shown]
	global_load_b64 v[14:15], v[18:19], off
	global_load_b64 v[16:17], v[38:39], off
	;; [unrolled: 1-line block ×6, first 2 shown]
	v_cmp_le_i64_e64 s0, s[6:7], v[0:1]
	s_wait_loadcnt 0x4
	global_store_b128 v[8:9], v[14:17], off offset:-24
	s_wait_loadcnt 0x2
	global_store_b128 v[8:9], v[18:21], off offset:-8
	s_wait_loadcnt 0x0
	global_store_b128 v[8:9], v[22:25], off offset:8
	s_wait_xcnt 0x6
	v_subrev_nc_u32_e32 v26, s8, v40
	s_wait_xcnt 0x0
	v_add_nc_u64_e32 v[8:9], 0x600, v[8:9]
	s_or_b32 s9, s0, s9
	s_delay_alu instid0(VALU_DEP_2) | instskip(NEXT) | instid1(VALU_DEP_1)
	v_mad_u32 v26, v26, 6, s2
	v_dual_add_nc_u32 v28, 2, v26 :: v_dual_add_nc_u32 v27, 1, v26
	v_dual_add_nc_u32 v31, 4, v26 :: v_dual_add_nc_u32 v30, 3, v26
	v_add_nc_u32_e32 v32, 5, v26
	s_clause 0x1
	global_store_b96 v[10:11], v[26:28], off offset:-12
	global_store_b96 v[10:11], v[30:32], off
	s_wait_xcnt 0x0
	v_add_nc_u64_e32 v[10:11], 0x300, v[10:11]
	s_and_not1_b32 exec_lo, exec_lo, s9
	s_cbranch_execnz .LBB70_5
.LBB70_6:
	s_endpgm
	.section	.rodata,"a",@progbits
	.p2align	6, 0x0
	.amdhsa_kernel _ZN9rocsparseL32bsr2csr_block_per_row_2_7_kernelILj256ELj6ElliEEv20rocsparse_direction_T3_S2_21rocsparse_index_base_PKT1_PKT2_PKS2_S2_S3_PS4_PS7_PS2_
		.amdhsa_group_segment_fixed_size 0
		.amdhsa_private_segment_fixed_size 0
		.amdhsa_kernarg_size 72
		.amdhsa_user_sgpr_count 2
		.amdhsa_user_sgpr_dispatch_ptr 0
		.amdhsa_user_sgpr_queue_ptr 0
		.amdhsa_user_sgpr_kernarg_segment_ptr 1
		.amdhsa_user_sgpr_dispatch_id 0
		.amdhsa_user_sgpr_kernarg_preload_length 0
		.amdhsa_user_sgpr_kernarg_preload_offset 0
		.amdhsa_user_sgpr_private_segment_size 0
		.amdhsa_wavefront_size32 1
		.amdhsa_uses_dynamic_stack 0
		.amdhsa_enable_private_segment 0
		.amdhsa_system_sgpr_workgroup_id_x 1
		.amdhsa_system_sgpr_workgroup_id_y 0
		.amdhsa_system_sgpr_workgroup_id_z 0
		.amdhsa_system_sgpr_workgroup_info 0
		.amdhsa_system_vgpr_workitem_id 0
		.amdhsa_next_free_vgpr 41
		.amdhsa_next_free_sgpr 20
		.amdhsa_named_barrier_count 0
		.amdhsa_reserve_vcc 1
		.amdhsa_float_round_mode_32 0
		.amdhsa_float_round_mode_16_64 0
		.amdhsa_float_denorm_mode_32 3
		.amdhsa_float_denorm_mode_16_64 3
		.amdhsa_fp16_overflow 0
		.amdhsa_memory_ordered 1
		.amdhsa_forward_progress 1
		.amdhsa_inst_pref_size 7
		.amdhsa_round_robin_scheduling 0
		.amdhsa_exception_fp_ieee_invalid_op 0
		.amdhsa_exception_fp_denorm_src 0
		.amdhsa_exception_fp_ieee_div_zero 0
		.amdhsa_exception_fp_ieee_overflow 0
		.amdhsa_exception_fp_ieee_underflow 0
		.amdhsa_exception_fp_ieee_inexact 0
		.amdhsa_exception_int_div_zero 0
	.end_amdhsa_kernel
	.section	.text._ZN9rocsparseL32bsr2csr_block_per_row_2_7_kernelILj256ELj6ElliEEv20rocsparse_direction_T3_S2_21rocsparse_index_base_PKT1_PKT2_PKS2_S2_S3_PS4_PS7_PS2_,"axG",@progbits,_ZN9rocsparseL32bsr2csr_block_per_row_2_7_kernelILj256ELj6ElliEEv20rocsparse_direction_T3_S2_21rocsparse_index_base_PKT1_PKT2_PKS2_S2_S3_PS4_PS7_PS2_,comdat
.Lfunc_end70:
	.size	_ZN9rocsparseL32bsr2csr_block_per_row_2_7_kernelILj256ELj6ElliEEv20rocsparse_direction_T3_S2_21rocsparse_index_base_PKT1_PKT2_PKS2_S2_S3_PS4_PS7_PS2_, .Lfunc_end70-_ZN9rocsparseL32bsr2csr_block_per_row_2_7_kernelILj256ELj6ElliEEv20rocsparse_direction_T3_S2_21rocsparse_index_base_PKT1_PKT2_PKS2_S2_S3_PS4_PS7_PS2_
                                        ; -- End function
	.set _ZN9rocsparseL32bsr2csr_block_per_row_2_7_kernelILj256ELj6ElliEEv20rocsparse_direction_T3_S2_21rocsparse_index_base_PKT1_PKT2_PKS2_S2_S3_PS4_PS7_PS2_.num_vgpr, 41
	.set _ZN9rocsparseL32bsr2csr_block_per_row_2_7_kernelILj256ELj6ElliEEv20rocsparse_direction_T3_S2_21rocsparse_index_base_PKT1_PKT2_PKS2_S2_S3_PS4_PS7_PS2_.num_agpr, 0
	.set _ZN9rocsparseL32bsr2csr_block_per_row_2_7_kernelILj256ELj6ElliEEv20rocsparse_direction_T3_S2_21rocsparse_index_base_PKT1_PKT2_PKS2_S2_S3_PS4_PS7_PS2_.numbered_sgpr, 20
	.set _ZN9rocsparseL32bsr2csr_block_per_row_2_7_kernelILj256ELj6ElliEEv20rocsparse_direction_T3_S2_21rocsparse_index_base_PKT1_PKT2_PKS2_S2_S3_PS4_PS7_PS2_.num_named_barrier, 0
	.set _ZN9rocsparseL32bsr2csr_block_per_row_2_7_kernelILj256ELj6ElliEEv20rocsparse_direction_T3_S2_21rocsparse_index_base_PKT1_PKT2_PKS2_S2_S3_PS4_PS7_PS2_.private_seg_size, 0
	.set _ZN9rocsparseL32bsr2csr_block_per_row_2_7_kernelILj256ELj6ElliEEv20rocsparse_direction_T3_S2_21rocsparse_index_base_PKT1_PKT2_PKS2_S2_S3_PS4_PS7_PS2_.uses_vcc, 1
	.set _ZN9rocsparseL32bsr2csr_block_per_row_2_7_kernelILj256ELj6ElliEEv20rocsparse_direction_T3_S2_21rocsparse_index_base_PKT1_PKT2_PKS2_S2_S3_PS4_PS7_PS2_.uses_flat_scratch, 0
	.set _ZN9rocsparseL32bsr2csr_block_per_row_2_7_kernelILj256ELj6ElliEEv20rocsparse_direction_T3_S2_21rocsparse_index_base_PKT1_PKT2_PKS2_S2_S3_PS4_PS7_PS2_.has_dyn_sized_stack, 0
	.set _ZN9rocsparseL32bsr2csr_block_per_row_2_7_kernelILj256ELj6ElliEEv20rocsparse_direction_T3_S2_21rocsparse_index_base_PKT1_PKT2_PKS2_S2_S3_PS4_PS7_PS2_.has_recursion, 0
	.set _ZN9rocsparseL32bsr2csr_block_per_row_2_7_kernelILj256ELj6ElliEEv20rocsparse_direction_T3_S2_21rocsparse_index_base_PKT1_PKT2_PKS2_S2_S3_PS4_PS7_PS2_.has_indirect_call, 0
	.section	.AMDGPU.csdata,"",@progbits
; Kernel info:
; codeLenInByte = 868
; TotalNumSgprs: 22
; NumVgprs: 41
; ScratchSize: 0
; MemoryBound: 0
; FloatMode: 240
; IeeeMode: 1
; LDSByteSize: 0 bytes/workgroup (compile time only)
; SGPRBlocks: 0
; VGPRBlocks: 2
; NumSGPRsForWavesPerEU: 22
; NumVGPRsForWavesPerEU: 41
; NamedBarCnt: 0
; Occupancy: 16
; WaveLimiterHint : 0
; COMPUTE_PGM_RSRC2:SCRATCH_EN: 0
; COMPUTE_PGM_RSRC2:USER_SGPR: 2
; COMPUTE_PGM_RSRC2:TRAP_HANDLER: 0
; COMPUTE_PGM_RSRC2:TGID_X_EN: 1
; COMPUTE_PGM_RSRC2:TGID_Y_EN: 0
; COMPUTE_PGM_RSRC2:TGID_Z_EN: 0
; COMPUTE_PGM_RSRC2:TIDIG_COMP_CNT: 0
	.section	.text._ZN9rocsparseL32bsr2csr_block_per_row_2_7_kernelILj256ELj7ElliEEv20rocsparse_direction_T3_S2_21rocsparse_index_base_PKT1_PKT2_PKS2_S2_S3_PS4_PS7_PS2_,"axG",@progbits,_ZN9rocsparseL32bsr2csr_block_per_row_2_7_kernelILj256ELj7ElliEEv20rocsparse_direction_T3_S2_21rocsparse_index_base_PKT1_PKT2_PKS2_S2_S3_PS4_PS7_PS2_,comdat
	.globl	_ZN9rocsparseL32bsr2csr_block_per_row_2_7_kernelILj256ELj7ElliEEv20rocsparse_direction_T3_S2_21rocsparse_index_base_PKT1_PKT2_PKS2_S2_S3_PS4_PS7_PS2_ ; -- Begin function _ZN9rocsparseL32bsr2csr_block_per_row_2_7_kernelILj256ELj7ElliEEv20rocsparse_direction_T3_S2_21rocsparse_index_base_PKT1_PKT2_PKS2_S2_S3_PS4_PS7_PS2_
	.p2align	8
	.type	_ZN9rocsparseL32bsr2csr_block_per_row_2_7_kernelILj256ELj7ElliEEv20rocsparse_direction_T3_S2_21rocsparse_index_base_PKT1_PKT2_PKS2_S2_S3_PS4_PS7_PS2_,@function
_ZN9rocsparseL32bsr2csr_block_per_row_2_7_kernelILj256ELj7ElliEEv20rocsparse_direction_T3_S2_21rocsparse_index_base_PKT1_PKT2_PKS2_S2_S3_PS4_PS7_PS2_: ; @_ZN9rocsparseL32bsr2csr_block_per_row_2_7_kernelILj256ELj7ElliEEv20rocsparse_direction_T3_S2_21rocsparse_index_base_PKT1_PKT2_PKS2_S2_S3_PS4_PS7_PS2_
; %bb.0:
	s_clause 0x1
	s_load_b32 s2, s[0:1], 0x2c
	s_load_b64 s[10:11], s[0:1], 0x38
	s_bfe_u32 s3, ttmp6, 0x4000c
	s_and_b32 s4, ttmp6, 15
	s_add_co_i32 s3, s3, 1
	s_getreg_b32 s5, hwreg(HW_REG_IB_STS2, 6, 4)
	s_mul_i32 s3, ttmp9, s3
	s_delay_alu instid0(SALU_CYCLE_1) | instskip(SKIP_3) | instid1(SALU_CYCLE_1)
	s_add_co_i32 s4, s4, s3
	s_cmp_eq_u32 s5, 0
	s_mov_b32 s3, exec_lo
	s_cselect_b32 s12, ttmp9, s4
	v_or_b32_e32 v1, s12, v0
	s_delay_alu instid0(VALU_DEP_1)
	v_cmpx_eq_u32_e32 0, v1
	s_cbranch_execz .LBB71_2
; %bb.1:
	s_wait_kmcnt 0x0
	v_dual_mov_b32 v2, s2 :: v_dual_mov_b32 v3, 0
	global_store_b64 v3, v[2:3], s[10:11]
.LBB71_2:
	s_wait_xcnt 0x0
	s_or_b32 exec_lo, exec_lo, s3
	v_and_b32_e32 v2, 7, v0
	s_mov_b32 s3, exec_lo
	s_delay_alu instid0(VALU_DEP_1)
	v_cmpx_ne_u32_e32 7, v2
	s_cbranch_execz .LBB71_6
; %bb.3:
	s_clause 0x1
	s_load_b64 s[4:5], s[0:1], 0x18
	s_load_b32 s8, s[0:1], 0xc
	s_ashr_i32 s13, s12, 31
	s_mov_b32 s9, 0
	s_lshl_b64 s[6:7], s[12:13], 3
	v_dual_mov_b32 v3, 0 :: v_dual_lshrrev_b32 v4, 3, v0
	s_mov_b32 s3, s9
	s_delay_alu instid0(VALU_DEP_1)
	v_mov_b32_e32 v5, v3
	s_wait_kmcnt 0x0
	s_add_nc_u64 s[14:15], s[4:5], s[6:7]
	s_load_b128 s[4:7], s[14:15], 0x0
	s_wait_kmcnt 0x0
	s_sub_nc_u64 s[14:15], s[4:5], s[8:9]
	s_sub_nc_u64 s[6:7], s[6:7], s[8:9]
	v_add_nc_u64_e32 v[0:1], s[14:15], v[4:5]
	s_sub_nc_u64 s[16:17], s[6:7], s[14:15]
	s_mul_u64 s[18:19], s[14:15], 49
	s_mul_u64 s[16:17], s[16:17], 7
	s_delay_alu instid0(SALU_CYCLE_1)
	v_mul_u64_e32 v[6:7], s[16:17], v[2:3]
	s_add_nc_u64 s[14:15], s[16:17], s[2:3]
	s_mul_i32 s3, s12, 7
	s_add_nc_u64 s[14:15], s[14:15], s[18:19]
	v_cmp_gt_i64_e32 vcc_lo, s[6:7], v[0:1]
	v_add3_u32 v5, v2, s3, 1
	s_delay_alu instid0(VALU_DEP_3)
	v_add_nc_u64_e32 v[8:9], s[14:15], v[6:7]
	global_store_b64 v5, v[8:9], s[10:11] scale_offset
	s_wait_xcnt 0x0
	s_and_b32 exec_lo, exec_lo, vcc_lo
	s_cbranch_execz .LBB71_6
; %bb.4:
	v_mad_nc_u64_u32 v[6:7], s4, 49, v[6:7]
	s_load_b64 s[10:11], s[0:1], 0x10
	v_mul_u32_u24_e32 v12, 7, v2
	v_dual_mov_b32 v13, v3 :: v_dual_lshlrev_b32 v2, 3, v2
	s_delay_alu instid0(VALU_DEP_2) | instskip(NEXT) | instid1(VALU_DEP_4)
	v_lshlrev_b32_e32 v12, 3, v12
	v_mad_u32 v7, s5, 49, v7
	s_clause 0x3
	s_load_b64 s[4:5], s[0:1], 0x30
	s_load_b64 s[12:13], s[0:1], 0x40
	;; [unrolled: 1-line block ×3, first 2 shown]
	s_load_b32 s3, s[0:1], 0x0
	s_wait_xcnt 0x0
	s_mul_u64 s[0:1], s[8:9], 49
	s_delay_alu instid0(VALU_DEP_1) | instskip(SKIP_3) | instid1(VALU_DEP_2)
	v_mad_nc_u64_u32 v[6:7], v4, 7, v[6:7]
	s_wait_kmcnt 0x0
	v_mad_nc_u64_u32 v[4:5], 0x188, v0, s[10:11]
	s_cmp_eq_u32 s3, 0
	v_sub_nc_u64_e64 v[6:7], v[6:7], s[0:1]
	s_delay_alu instid0(VALU_DEP_2) | instskip(SKIP_1) | instid1(VALU_DEP_2)
	v_mad_u32 v5, 0x188, v1, v5
	s_cselect_b32 vcc_lo, -1, 0
	v_lshl_add_u64 v[8:9], v[6:7], 3, s[4:5]
	v_lshl_add_u64 v[10:11], v[6:7], 2, s[12:13]
	;; [unrolled: 1-line block ×3, first 2 shown]
	s_delay_alu instid0(VALU_DEP_3) | instskip(NEXT) | instid1(VALU_DEP_3)
	v_add_nc_u64_e32 v[8:9], 24, v[8:9]
	v_add_nc_u64_e32 v[10:11], 20, v[10:11]
.LBB71_5:                               ; =>This Inner Loop Header: Depth=1
	global_load_b32 v44, v[6:7], off
	v_add_nc_u64_e32 v[14:15], v[4:5], v[2:3]
	v_add_nc_u64_e32 v[16:17], v[4:5], v[12:13]
	;; [unrolled: 1-line block ×3, first 2 shown]
	s_wait_xcnt 0x0
	v_add_nc_u64_e32 v[6:7], 0x80, v[6:7]
	v_add_nc_u64_e32 v[4:5], 0x3100, v[4:5]
	;; [unrolled: 1-line block ×12, first 2 shown]
	v_dual_cndmask_b32 v19, v15, v17 :: v_dual_cndmask_b32 v18, v14, v16
	v_add_nc_u64_e32 v[16:17], 48, v[16:17]
	v_add_nc_u64_e32 v[40:41], 0x150, v[14:15]
	v_dual_cndmask_b32 v43, v23, v21 :: v_dual_cndmask_b32 v42, v22, v20
	v_dual_cndmask_b32 v27, v27, v25 :: v_dual_cndmask_b32 v26, v26, v24
	;; [unrolled: 1-line block ×5, first 2 shown]
	global_load_b64 v[14:15], v[18:19], off
	v_dual_cndmask_b32 v35, v41, v17 :: v_dual_cndmask_b32 v34, v40, v16
	global_load_b64 v[16:17], v[42:43], off
	global_load_b64 v[18:19], v[26:27], off
	;; [unrolled: 1-line block ×6, first 2 shown]
	v_cmp_le_i64_e64 s0, s[6:7], v[0:1]
	s_wait_loadcnt 0x5
	global_store_b128 v[8:9], v[14:17], off offset:-24
	s_wait_loadcnt 0x3
	global_store_b128 v[8:9], v[18:21], off offset:-8
	s_wait_loadcnt 0x1
	global_store_b128 v[8:9], v[22:25], off offset:8
	s_wait_loadcnt 0x0
	global_store_b64 v[8:9], v[36:37], off offset:24
	s_wait_xcnt 0x8
	v_subrev_nc_u32_e32 v26, s8, v44
	s_wait_xcnt 0x0
	v_add_nc_u64_e32 v[8:9], 0x700, v[8:9]
	s_or_b32 s9, s0, s9
	s_delay_alu instid0(VALU_DEP_2) | instskip(NEXT) | instid1(VALU_DEP_1)
	v_mad_u32 v30, v26, 7, s2
	v_dual_add_nc_u32 v32, 2, v30 :: v_dual_add_nc_u32 v31, 1, v30
	v_dual_add_nc_u32 v27, 4, v30 :: v_dual_add_nc_u32 v26, 3, v30
	;; [unrolled: 1-line block ×3, first 2 shown]
	s_clause 0x1
	global_store_b96 v[10:11], v[30:32], off offset:-20
	global_store_b128 v[10:11], v[26:29], off offset:-8
	s_wait_xcnt 0x0
	v_add_nc_u64_e32 v[10:11], 0x380, v[10:11]
	s_and_not1_b32 exec_lo, exec_lo, s9
	s_cbranch_execnz .LBB71_5
.LBB71_6:
	s_endpgm
	.section	.rodata,"a",@progbits
	.p2align	6, 0x0
	.amdhsa_kernel _ZN9rocsparseL32bsr2csr_block_per_row_2_7_kernelILj256ELj7ElliEEv20rocsparse_direction_T3_S2_21rocsparse_index_base_PKT1_PKT2_PKS2_S2_S3_PS4_PS7_PS2_
		.amdhsa_group_segment_fixed_size 0
		.amdhsa_private_segment_fixed_size 0
		.amdhsa_kernarg_size 72
		.amdhsa_user_sgpr_count 2
		.amdhsa_user_sgpr_dispatch_ptr 0
		.amdhsa_user_sgpr_queue_ptr 0
		.amdhsa_user_sgpr_kernarg_segment_ptr 1
		.amdhsa_user_sgpr_dispatch_id 0
		.amdhsa_user_sgpr_kernarg_preload_length 0
		.amdhsa_user_sgpr_kernarg_preload_offset 0
		.amdhsa_user_sgpr_private_segment_size 0
		.amdhsa_wavefront_size32 1
		.amdhsa_uses_dynamic_stack 0
		.amdhsa_enable_private_segment 0
		.amdhsa_system_sgpr_workgroup_id_x 1
		.amdhsa_system_sgpr_workgroup_id_y 0
		.amdhsa_system_sgpr_workgroup_id_z 0
		.amdhsa_system_sgpr_workgroup_info 0
		.amdhsa_system_vgpr_workitem_id 0
		.amdhsa_next_free_vgpr 45
		.amdhsa_next_free_sgpr 20
		.amdhsa_named_barrier_count 0
		.amdhsa_reserve_vcc 1
		.amdhsa_float_round_mode_32 0
		.amdhsa_float_round_mode_16_64 0
		.amdhsa_float_denorm_mode_32 3
		.amdhsa_float_denorm_mode_16_64 3
		.amdhsa_fp16_overflow 0
		.amdhsa_memory_ordered 1
		.amdhsa_forward_progress 1
		.amdhsa_inst_pref_size 8
		.amdhsa_round_robin_scheduling 0
		.amdhsa_exception_fp_ieee_invalid_op 0
		.amdhsa_exception_fp_denorm_src 0
		.amdhsa_exception_fp_ieee_div_zero 0
		.amdhsa_exception_fp_ieee_overflow 0
		.amdhsa_exception_fp_ieee_underflow 0
		.amdhsa_exception_fp_ieee_inexact 0
		.amdhsa_exception_int_div_zero 0
	.end_amdhsa_kernel
	.section	.text._ZN9rocsparseL32bsr2csr_block_per_row_2_7_kernelILj256ELj7ElliEEv20rocsparse_direction_T3_S2_21rocsparse_index_base_PKT1_PKT2_PKS2_S2_S3_PS4_PS7_PS2_,"axG",@progbits,_ZN9rocsparseL32bsr2csr_block_per_row_2_7_kernelILj256ELj7ElliEEv20rocsparse_direction_T3_S2_21rocsparse_index_base_PKT1_PKT2_PKS2_S2_S3_PS4_PS7_PS2_,comdat
.Lfunc_end71:
	.size	_ZN9rocsparseL32bsr2csr_block_per_row_2_7_kernelILj256ELj7ElliEEv20rocsparse_direction_T3_S2_21rocsparse_index_base_PKT1_PKT2_PKS2_S2_S3_PS4_PS7_PS2_, .Lfunc_end71-_ZN9rocsparseL32bsr2csr_block_per_row_2_7_kernelILj256ELj7ElliEEv20rocsparse_direction_T3_S2_21rocsparse_index_base_PKT1_PKT2_PKS2_S2_S3_PS4_PS7_PS2_
                                        ; -- End function
	.set _ZN9rocsparseL32bsr2csr_block_per_row_2_7_kernelILj256ELj7ElliEEv20rocsparse_direction_T3_S2_21rocsparse_index_base_PKT1_PKT2_PKS2_S2_S3_PS4_PS7_PS2_.num_vgpr, 45
	.set _ZN9rocsparseL32bsr2csr_block_per_row_2_7_kernelILj256ELj7ElliEEv20rocsparse_direction_T3_S2_21rocsparse_index_base_PKT1_PKT2_PKS2_S2_S3_PS4_PS7_PS2_.num_agpr, 0
	.set _ZN9rocsparseL32bsr2csr_block_per_row_2_7_kernelILj256ELj7ElliEEv20rocsparse_direction_T3_S2_21rocsparse_index_base_PKT1_PKT2_PKS2_S2_S3_PS4_PS7_PS2_.numbered_sgpr, 20
	.set _ZN9rocsparseL32bsr2csr_block_per_row_2_7_kernelILj256ELj7ElliEEv20rocsparse_direction_T3_S2_21rocsparse_index_base_PKT1_PKT2_PKS2_S2_S3_PS4_PS7_PS2_.num_named_barrier, 0
	.set _ZN9rocsparseL32bsr2csr_block_per_row_2_7_kernelILj256ELj7ElliEEv20rocsparse_direction_T3_S2_21rocsparse_index_base_PKT1_PKT2_PKS2_S2_S3_PS4_PS7_PS2_.private_seg_size, 0
	.set _ZN9rocsparseL32bsr2csr_block_per_row_2_7_kernelILj256ELj7ElliEEv20rocsparse_direction_T3_S2_21rocsparse_index_base_PKT1_PKT2_PKS2_S2_S3_PS4_PS7_PS2_.uses_vcc, 1
	.set _ZN9rocsparseL32bsr2csr_block_per_row_2_7_kernelILj256ELj7ElliEEv20rocsparse_direction_T3_S2_21rocsparse_index_base_PKT1_PKT2_PKS2_S2_S3_PS4_PS7_PS2_.uses_flat_scratch, 0
	.set _ZN9rocsparseL32bsr2csr_block_per_row_2_7_kernelILj256ELj7ElliEEv20rocsparse_direction_T3_S2_21rocsparse_index_base_PKT1_PKT2_PKS2_S2_S3_PS4_PS7_PS2_.has_dyn_sized_stack, 0
	.set _ZN9rocsparseL32bsr2csr_block_per_row_2_7_kernelILj256ELj7ElliEEv20rocsparse_direction_T3_S2_21rocsparse_index_base_PKT1_PKT2_PKS2_S2_S3_PS4_PS7_PS2_.has_recursion, 0
	.set _ZN9rocsparseL32bsr2csr_block_per_row_2_7_kernelILj256ELj7ElliEEv20rocsparse_direction_T3_S2_21rocsparse_index_base_PKT1_PKT2_PKS2_S2_S3_PS4_PS7_PS2_.has_indirect_call, 0
	.section	.AMDGPU.csdata,"",@progbits
; Kernel info:
; codeLenInByte = 924
; TotalNumSgprs: 22
; NumVgprs: 45
; ScratchSize: 0
; MemoryBound: 0
; FloatMode: 240
; IeeeMode: 1
; LDSByteSize: 0 bytes/workgroup (compile time only)
; SGPRBlocks: 0
; VGPRBlocks: 2
; NumSGPRsForWavesPerEU: 22
; NumVGPRsForWavesPerEU: 45
; NamedBarCnt: 0
; Occupancy: 16
; WaveLimiterHint : 0
; COMPUTE_PGM_RSRC2:SCRATCH_EN: 0
; COMPUTE_PGM_RSRC2:USER_SGPR: 2
; COMPUTE_PGM_RSRC2:TRAP_HANDLER: 0
; COMPUTE_PGM_RSRC2:TGID_X_EN: 1
; COMPUTE_PGM_RSRC2:TGID_Y_EN: 0
; COMPUTE_PGM_RSRC2:TGID_Z_EN: 0
; COMPUTE_PGM_RSRC2:TIDIG_COMP_CNT: 0
	.section	.text._ZN9rocsparseL33bsr2csr_block_per_row_8_32_kernelILj1024ELj8ElliEEv20rocsparse_direction_T3_S2_21rocsparse_index_base_PKT1_PKT2_PKS2_S2_S3_PS4_PS7_PS2_,"axG",@progbits,_ZN9rocsparseL33bsr2csr_block_per_row_8_32_kernelILj1024ELj8ElliEEv20rocsparse_direction_T3_S2_21rocsparse_index_base_PKT1_PKT2_PKS2_S2_S3_PS4_PS7_PS2_,comdat
	.globl	_ZN9rocsparseL33bsr2csr_block_per_row_8_32_kernelILj1024ELj8ElliEEv20rocsparse_direction_T3_S2_21rocsparse_index_base_PKT1_PKT2_PKS2_S2_S3_PS4_PS7_PS2_ ; -- Begin function _ZN9rocsparseL33bsr2csr_block_per_row_8_32_kernelILj1024ELj8ElliEEv20rocsparse_direction_T3_S2_21rocsparse_index_base_PKT1_PKT2_PKS2_S2_S3_PS4_PS7_PS2_
	.p2align	8
	.type	_ZN9rocsparseL33bsr2csr_block_per_row_8_32_kernelILj1024ELj8ElliEEv20rocsparse_direction_T3_S2_21rocsparse_index_base_PKT1_PKT2_PKS2_S2_S3_PS4_PS7_PS2_,@function
_ZN9rocsparseL33bsr2csr_block_per_row_8_32_kernelILj1024ELj8ElliEEv20rocsparse_direction_T3_S2_21rocsparse_index_base_PKT1_PKT2_PKS2_S2_S3_PS4_PS7_PS2_: ; @_ZN9rocsparseL33bsr2csr_block_per_row_8_32_kernelILj1024ELj8ElliEEv20rocsparse_direction_T3_S2_21rocsparse_index_base_PKT1_PKT2_PKS2_S2_S3_PS4_PS7_PS2_
; %bb.0:
	s_clause 0x1
	s_load_b64 s[2:3], s[0:1], 0x28
	s_load_b64 s[12:13], s[0:1], 0x38
	s_bfe_u32 s4, ttmp6, 0x4000c
	s_and_b32 s5, ttmp6, 15
	s_add_co_i32 s4, s4, 1
	s_getreg_b32 s6, hwreg(HW_REG_IB_STS2, 6, 4)
	s_mul_i32 s4, ttmp9, s4
	s_delay_alu instid0(SALU_CYCLE_1) | instskip(SKIP_3) | instid1(SALU_CYCLE_1)
	s_add_co_i32 s5, s5, s4
	s_cmp_eq_u32 s6, 0
	s_mov_b32 s4, exec_lo
	s_cselect_b32 s14, ttmp9, s5
	v_or_b32_e32 v1, s14, v0
	s_delay_alu instid0(VALU_DEP_1)
	v_cmpx_eq_u32_e32 0, v1
	s_cbranch_execz .LBB72_2
; %bb.1:
	s_wait_kmcnt 0x0
	v_dual_mov_b32 v2, s3 :: v_dual_mov_b32 v3, 0
	global_store_b64 v3, v[2:3], s[12:13]
.LBB72_2:
	s_wait_xcnt 0x0
	s_or_b32 exec_lo, exec_lo, s4
	v_and_b32_e32 v2, 7, v0
	v_bfe_u32 v3, v0, 3, 3
	s_mov_b32 s4, exec_lo
	s_delay_alu instid0(VALU_DEP_1) | instskip(SKIP_1) | instid1(VALU_DEP_1)
	v_max_i32_e32 v1, v3, v2
	s_wait_kmcnt 0x0
	v_cmpx_gt_i32_e64 s2, v1
	s_cbranch_execz .LBB72_6
; %bb.3:
	s_clause 0x1
	s_load_b64 s[6:7], s[0:1], 0x18
	s_load_b32 s4, s[0:1], 0xc
	s_ashr_i32 s15, s14, 31
	s_mov_b32 s10, s2
	s_lshl_b64 s[8:9], s[14:15], 3
	s_mov_b32 s20, s3
	v_dual_mov_b32 v5, 0 :: v_dual_lshrrev_b32 v4, 6, v0
	v_mad_u32 v8, s2, s14, v3
	s_wait_kmcnt 0x0
	s_add_nc_u64 s[6:7], s[6:7], s[8:9]
	s_load_b128 s[16:19], s[6:7], 0x0
	s_wait_xcnt 0x0
	s_mov_b32 s7, 0
	s_mul_i32 s6, s2, s2
	s_mov_b32 s5, s7
	s_mov_b32 s11, s7
	;; [unrolled: 1-line block ×3, first 2 shown]
	s_wait_kmcnt 0x0
	s_sub_nc_u64 s[22:23], s[16:17], s[4:5]
	s_sub_nc_u64 s[8:9], s[18:19], s[4:5]
	s_mul_u64 s[18:19], s[22:23], s[6:7]
	s_sub_nc_u64 s[16:17], s[8:9], s[22:23]
	v_add_nc_u64_e32 v[0:1], s[22:23], v[4:5]
	s_mul_u64 s[24:25], s[16:17], s[10:11]
	s_delay_alu instid0(SALU_CYCLE_1) | instskip(NEXT) | instid1(SALU_CYCLE_1)
	s_add_nc_u64 s[20:21], s[24:25], s[20:21]
	s_add_nc_u64 s[20:21], s[20:21], s[18:19]
	s_delay_alu instid0(SALU_CYCLE_1) | instskip(NEXT) | instid1(VALU_DEP_2)
	v_mad_nc_u64_u32 v[6:7], s24, v3, s[20:21]
	v_cmp_gt_i64_e32 vcc_lo, s[8:9], v[0:1]
	s_delay_alu instid0(VALU_DEP_2)
	v_mad_u32 v7, s25, v3, v7
	global_store_b64 v8, v[6:7], s[12:13] offset:8 scale_offset
	s_wait_xcnt 0x0
	s_and_b32 exec_lo, exec_lo, vcc_lo
	s_cbranch_execz .LBB72_6
; %bb.4:
	v_mad_nc_u64_u32 v[6:7], s16, v3, v[4:5]
	s_clause 0x3
	s_load_b64 s[12:13], s[0:1], 0x10
	s_load_b64 s[14:15], s[0:1], 0x20
	;; [unrolled: 1-line block ×3, first 2 shown]
	s_load_b32 s5, s[0:1], 0x0
	v_mul_u64_e32 v[8:9], s[6:7], v[0:1]
	v_mul_lo_u32 v10, s2, v2
	v_mul_lo_u32 v12, s2, v3
	v_dual_mov_b32 v11, v5 :: v_dual_lshlrev_b32 v14, 3, v3
	v_dual_mov_b32 v13, v5 :: v_dual_mov_b32 v15, v5
	s_wait_xcnt 0x0
	s_load_b64 s[0:1], s[0:1], 0x40
	v_dual_mov_b32 v17, v5 :: v_dual_lshlrev_b32 v16, 3, v2
	v_mad_u32 v4, s17, v3, v7
	v_mad_nc_u64_u32 v[6:7], v6, s10, s[18:19]
	s_wait_kmcnt 0x0
	v_lshl_add_u64 v[10:11], v[10:11], 3, s[12:13]
	v_lshl_add_u64 v[12:13], v[12:13], 3, s[12:13]
	s_cmp_eq_u32 s5, 0
	s_delay_alu instid0(VALU_DEP_2) | instskip(NEXT) | instid1(VALU_DEP_4)
	v_add_nc_u64_e32 v[10:11], v[10:11], v[14:15]
	v_mad_u32 v7, v4, s10, v7
	s_delay_alu instid0(VALU_DEP_3) | instskip(SKIP_4) | instid1(VALU_DEP_2)
	v_add_nc_u64_e32 v[12:13], v[12:13], v[16:17]
	s_cselect_b32 vcc_lo, -1, 0
	v_mov_b32_e32 v3, v5
	s_lshl_b64 s[12:13], s[10:11], 7
	s_lshl_b64 s[10:11], s[10:11], 6
	v_dual_cndmask_b32 v5, v11, v13 :: v_dual_cndmask_b32 v4, v10, v12
	v_add_nc_u32_e32 v10, s3, v2
	v_add_nc_u64_e32 v[6:7], v[6:7], v[2:3]
	s_delay_alu instid0(VALU_DEP_3) | instskip(SKIP_1) | instid1(VALU_DEP_3)
	v_lshl_add_u64 v[2:3], v[8:9], 3, v[4:5]
	v_lshl_add_u64 v[8:9], v[0:1], 2, s[14:15]
	;; [unrolled: 1-line block ×4, first 2 shown]
	s_lshl_b64 s[0:1], s[6:7], 7
.LBB72_5:                               ; =>This Inner Loop Header: Depth=1
	global_load_b32 v11, v[8:9], off
	global_load_b64 v[12:13], v[2:3], off
	v_add_nc_u64_e32 v[0:1], 16, v[0:1]
	s_wait_xcnt 0x0
	v_add_nc_u64_e32 v[2:3], s[0:1], v[2:3]
	v_add_nc_u64_e32 v[8:9], 64, v[8:9]
	s_delay_alu instid0(VALU_DEP_3)
	v_cmp_le_i64_e32 vcc_lo, s[8:9], v[0:1]
	s_or_b32 s7, vcc_lo, s7
	s_wait_loadcnt 0x1
	v_subrev_nc_u32_e32 v11, s4, v11
	s_wait_loadcnt 0x0
	global_store_b64 v[4:5], v[12:13], off
	s_wait_xcnt 0x0
	v_add_nc_u64_e32 v[4:5], s[12:13], v[4:5]
	v_mad_u32 v11, v11, s2, v10
	global_store_b32 v[6:7], v11, off
	s_wait_xcnt 0x0
	v_add_nc_u64_e32 v[6:7], s[10:11], v[6:7]
	s_and_not1_b32 exec_lo, exec_lo, s7
	s_cbranch_execnz .LBB72_5
.LBB72_6:
	s_endpgm
	.section	.rodata,"a",@progbits
	.p2align	6, 0x0
	.amdhsa_kernel _ZN9rocsparseL33bsr2csr_block_per_row_8_32_kernelILj1024ELj8ElliEEv20rocsparse_direction_T3_S2_21rocsparse_index_base_PKT1_PKT2_PKS2_S2_S3_PS4_PS7_PS2_
		.amdhsa_group_segment_fixed_size 0
		.amdhsa_private_segment_fixed_size 0
		.amdhsa_kernarg_size 72
		.amdhsa_user_sgpr_count 2
		.amdhsa_user_sgpr_dispatch_ptr 0
		.amdhsa_user_sgpr_queue_ptr 0
		.amdhsa_user_sgpr_kernarg_segment_ptr 1
		.amdhsa_user_sgpr_dispatch_id 0
		.amdhsa_user_sgpr_kernarg_preload_length 0
		.amdhsa_user_sgpr_kernarg_preload_offset 0
		.amdhsa_user_sgpr_private_segment_size 0
		.amdhsa_wavefront_size32 1
		.amdhsa_uses_dynamic_stack 0
		.amdhsa_enable_private_segment 0
		.amdhsa_system_sgpr_workgroup_id_x 1
		.amdhsa_system_sgpr_workgroup_id_y 0
		.amdhsa_system_sgpr_workgroup_id_z 0
		.amdhsa_system_sgpr_workgroup_info 0
		.amdhsa_system_vgpr_workitem_id 0
		.amdhsa_next_free_vgpr 18
		.amdhsa_next_free_sgpr 26
		.amdhsa_named_barrier_count 0
		.amdhsa_reserve_vcc 1
		.amdhsa_float_round_mode_32 0
		.amdhsa_float_round_mode_16_64 0
		.amdhsa_float_denorm_mode_32 3
		.amdhsa_float_denorm_mode_16_64 3
		.amdhsa_fp16_overflow 0
		.amdhsa_memory_ordered 1
		.amdhsa_forward_progress 1
		.amdhsa_inst_pref_size 6
		.amdhsa_round_robin_scheduling 0
		.amdhsa_exception_fp_ieee_invalid_op 0
		.amdhsa_exception_fp_denorm_src 0
		.amdhsa_exception_fp_ieee_div_zero 0
		.amdhsa_exception_fp_ieee_overflow 0
		.amdhsa_exception_fp_ieee_underflow 0
		.amdhsa_exception_fp_ieee_inexact 0
		.amdhsa_exception_int_div_zero 0
	.end_amdhsa_kernel
	.section	.text._ZN9rocsparseL33bsr2csr_block_per_row_8_32_kernelILj1024ELj8ElliEEv20rocsparse_direction_T3_S2_21rocsparse_index_base_PKT1_PKT2_PKS2_S2_S3_PS4_PS7_PS2_,"axG",@progbits,_ZN9rocsparseL33bsr2csr_block_per_row_8_32_kernelILj1024ELj8ElliEEv20rocsparse_direction_T3_S2_21rocsparse_index_base_PKT1_PKT2_PKS2_S2_S3_PS4_PS7_PS2_,comdat
.Lfunc_end72:
	.size	_ZN9rocsparseL33bsr2csr_block_per_row_8_32_kernelILj1024ELj8ElliEEv20rocsparse_direction_T3_S2_21rocsparse_index_base_PKT1_PKT2_PKS2_S2_S3_PS4_PS7_PS2_, .Lfunc_end72-_ZN9rocsparseL33bsr2csr_block_per_row_8_32_kernelILj1024ELj8ElliEEv20rocsparse_direction_T3_S2_21rocsparse_index_base_PKT1_PKT2_PKS2_S2_S3_PS4_PS7_PS2_
                                        ; -- End function
	.set _ZN9rocsparseL33bsr2csr_block_per_row_8_32_kernelILj1024ELj8ElliEEv20rocsparse_direction_T3_S2_21rocsparse_index_base_PKT1_PKT2_PKS2_S2_S3_PS4_PS7_PS2_.num_vgpr, 18
	.set _ZN9rocsparseL33bsr2csr_block_per_row_8_32_kernelILj1024ELj8ElliEEv20rocsparse_direction_T3_S2_21rocsparse_index_base_PKT1_PKT2_PKS2_S2_S3_PS4_PS7_PS2_.num_agpr, 0
	.set _ZN9rocsparseL33bsr2csr_block_per_row_8_32_kernelILj1024ELj8ElliEEv20rocsparse_direction_T3_S2_21rocsparse_index_base_PKT1_PKT2_PKS2_S2_S3_PS4_PS7_PS2_.numbered_sgpr, 26
	.set _ZN9rocsparseL33bsr2csr_block_per_row_8_32_kernelILj1024ELj8ElliEEv20rocsparse_direction_T3_S2_21rocsparse_index_base_PKT1_PKT2_PKS2_S2_S3_PS4_PS7_PS2_.num_named_barrier, 0
	.set _ZN9rocsparseL33bsr2csr_block_per_row_8_32_kernelILj1024ELj8ElliEEv20rocsparse_direction_T3_S2_21rocsparse_index_base_PKT1_PKT2_PKS2_S2_S3_PS4_PS7_PS2_.private_seg_size, 0
	.set _ZN9rocsparseL33bsr2csr_block_per_row_8_32_kernelILj1024ELj8ElliEEv20rocsparse_direction_T3_S2_21rocsparse_index_base_PKT1_PKT2_PKS2_S2_S3_PS4_PS7_PS2_.uses_vcc, 1
	.set _ZN9rocsparseL33bsr2csr_block_per_row_8_32_kernelILj1024ELj8ElliEEv20rocsparse_direction_T3_S2_21rocsparse_index_base_PKT1_PKT2_PKS2_S2_S3_PS4_PS7_PS2_.uses_flat_scratch, 0
	.set _ZN9rocsparseL33bsr2csr_block_per_row_8_32_kernelILj1024ELj8ElliEEv20rocsparse_direction_T3_S2_21rocsparse_index_base_PKT1_PKT2_PKS2_S2_S3_PS4_PS7_PS2_.has_dyn_sized_stack, 0
	.set _ZN9rocsparseL33bsr2csr_block_per_row_8_32_kernelILj1024ELj8ElliEEv20rocsparse_direction_T3_S2_21rocsparse_index_base_PKT1_PKT2_PKS2_S2_S3_PS4_PS7_PS2_.has_recursion, 0
	.set _ZN9rocsparseL33bsr2csr_block_per_row_8_32_kernelILj1024ELj8ElliEEv20rocsparse_direction_T3_S2_21rocsparse_index_base_PKT1_PKT2_PKS2_S2_S3_PS4_PS7_PS2_.has_indirect_call, 0
	.section	.AMDGPU.csdata,"",@progbits
; Kernel info:
; codeLenInByte = 700
; TotalNumSgprs: 28
; NumVgprs: 18
; ScratchSize: 0
; MemoryBound: 0
; FloatMode: 240
; IeeeMode: 1
; LDSByteSize: 0 bytes/workgroup (compile time only)
; SGPRBlocks: 0
; VGPRBlocks: 1
; NumSGPRsForWavesPerEU: 28
; NumVGPRsForWavesPerEU: 18
; NamedBarCnt: 0
; Occupancy: 16
; WaveLimiterHint : 0
; COMPUTE_PGM_RSRC2:SCRATCH_EN: 0
; COMPUTE_PGM_RSRC2:USER_SGPR: 2
; COMPUTE_PGM_RSRC2:TRAP_HANDLER: 0
; COMPUTE_PGM_RSRC2:TGID_X_EN: 1
; COMPUTE_PGM_RSRC2:TGID_Y_EN: 0
; COMPUTE_PGM_RSRC2:TGID_Z_EN: 0
; COMPUTE_PGM_RSRC2:TIDIG_COMP_CNT: 0
	.section	.text._ZN9rocsparseL33bsr2csr_block_per_row_8_32_kernelILj1024ELj16ElliEEv20rocsparse_direction_T3_S2_21rocsparse_index_base_PKT1_PKT2_PKS2_S2_S3_PS4_PS7_PS2_,"axG",@progbits,_ZN9rocsparseL33bsr2csr_block_per_row_8_32_kernelILj1024ELj16ElliEEv20rocsparse_direction_T3_S2_21rocsparse_index_base_PKT1_PKT2_PKS2_S2_S3_PS4_PS7_PS2_,comdat
	.globl	_ZN9rocsparseL33bsr2csr_block_per_row_8_32_kernelILj1024ELj16ElliEEv20rocsparse_direction_T3_S2_21rocsparse_index_base_PKT1_PKT2_PKS2_S2_S3_PS4_PS7_PS2_ ; -- Begin function _ZN9rocsparseL33bsr2csr_block_per_row_8_32_kernelILj1024ELj16ElliEEv20rocsparse_direction_T3_S2_21rocsparse_index_base_PKT1_PKT2_PKS2_S2_S3_PS4_PS7_PS2_
	.p2align	8
	.type	_ZN9rocsparseL33bsr2csr_block_per_row_8_32_kernelILj1024ELj16ElliEEv20rocsparse_direction_T3_S2_21rocsparse_index_base_PKT1_PKT2_PKS2_S2_S3_PS4_PS7_PS2_,@function
_ZN9rocsparseL33bsr2csr_block_per_row_8_32_kernelILj1024ELj16ElliEEv20rocsparse_direction_T3_S2_21rocsparse_index_base_PKT1_PKT2_PKS2_S2_S3_PS4_PS7_PS2_: ; @_ZN9rocsparseL33bsr2csr_block_per_row_8_32_kernelILj1024ELj16ElliEEv20rocsparse_direction_T3_S2_21rocsparse_index_base_PKT1_PKT2_PKS2_S2_S3_PS4_PS7_PS2_
; %bb.0:
	s_clause 0x1
	s_load_b64 s[2:3], s[0:1], 0x28
	s_load_b64 s[12:13], s[0:1], 0x38
	s_bfe_u32 s4, ttmp6, 0x4000c
	s_and_b32 s5, ttmp6, 15
	s_add_co_i32 s4, s4, 1
	s_getreg_b32 s6, hwreg(HW_REG_IB_STS2, 6, 4)
	s_mul_i32 s4, ttmp9, s4
	s_delay_alu instid0(SALU_CYCLE_1) | instskip(SKIP_3) | instid1(SALU_CYCLE_1)
	s_add_co_i32 s5, s5, s4
	s_cmp_eq_u32 s6, 0
	s_mov_b32 s4, exec_lo
	s_cselect_b32 s14, ttmp9, s5
	v_or_b32_e32 v1, s14, v0
	s_delay_alu instid0(VALU_DEP_1)
	v_cmpx_eq_u32_e32 0, v1
	s_cbranch_execz .LBB73_2
; %bb.1:
	s_wait_kmcnt 0x0
	v_dual_mov_b32 v2, s3 :: v_dual_mov_b32 v3, 0
	global_store_b64 v3, v[2:3], s[12:13]
.LBB73_2:
	s_wait_xcnt 0x0
	s_or_b32 exec_lo, exec_lo, s4
	v_and_b32_e32 v2, 15, v0
	v_bfe_u32 v3, v0, 4, 4
	s_mov_b32 s4, exec_lo
	s_delay_alu instid0(VALU_DEP_1) | instskip(SKIP_1) | instid1(VALU_DEP_1)
	v_max_i32_e32 v1, v3, v2
	s_wait_kmcnt 0x0
	v_cmpx_gt_i32_e64 s2, v1
	s_cbranch_execz .LBB73_6
; %bb.3:
	s_clause 0x1
	s_load_b64 s[6:7], s[0:1], 0x18
	s_load_b32 s4, s[0:1], 0xc
	s_ashr_i32 s15, s14, 31
	s_mov_b32 s10, s2
	s_lshl_b64 s[8:9], s[14:15], 3
	s_mov_b32 s20, s3
	v_dual_mov_b32 v5, 0 :: v_dual_lshrrev_b32 v4, 8, v0
	v_mad_u32 v8, s2, s14, v3
	s_wait_kmcnt 0x0
	s_add_nc_u64 s[6:7], s[6:7], s[8:9]
	s_load_b128 s[16:19], s[6:7], 0x0
	s_wait_xcnt 0x0
	s_mov_b32 s7, 0
	s_mul_i32 s6, s2, s2
	s_mov_b32 s5, s7
	s_mov_b32 s11, s7
	s_mov_b32 s21, s7
	s_wait_kmcnt 0x0
	s_sub_nc_u64 s[22:23], s[16:17], s[4:5]
	s_sub_nc_u64 s[8:9], s[18:19], s[4:5]
	s_mul_u64 s[18:19], s[22:23], s[6:7]
	s_sub_nc_u64 s[16:17], s[8:9], s[22:23]
	v_add_nc_u64_e32 v[0:1], s[22:23], v[4:5]
	s_mul_u64 s[24:25], s[16:17], s[10:11]
	s_delay_alu instid0(SALU_CYCLE_1) | instskip(NEXT) | instid1(SALU_CYCLE_1)
	s_add_nc_u64 s[20:21], s[24:25], s[20:21]
	s_add_nc_u64 s[20:21], s[20:21], s[18:19]
	s_delay_alu instid0(SALU_CYCLE_1) | instskip(NEXT) | instid1(VALU_DEP_2)
	v_mad_nc_u64_u32 v[6:7], s24, v3, s[20:21]
	v_cmp_gt_i64_e32 vcc_lo, s[8:9], v[0:1]
	s_delay_alu instid0(VALU_DEP_2)
	v_mad_u32 v7, s25, v3, v7
	global_store_b64 v8, v[6:7], s[12:13] offset:8 scale_offset
	s_wait_xcnt 0x0
	s_and_b32 exec_lo, exec_lo, vcc_lo
	s_cbranch_execz .LBB73_6
; %bb.4:
	v_mad_nc_u64_u32 v[6:7], s16, v3, v[4:5]
	s_clause 0x3
	s_load_b64 s[12:13], s[0:1], 0x10
	s_load_b64 s[14:15], s[0:1], 0x20
	;; [unrolled: 1-line block ×3, first 2 shown]
	s_load_b32 s5, s[0:1], 0x0
	v_mul_u64_e32 v[8:9], s[6:7], v[0:1]
	v_mul_lo_u32 v10, s2, v2
	v_mul_lo_u32 v12, s2, v3
	v_dual_mov_b32 v11, v5 :: v_dual_lshlrev_b32 v14, 3, v3
	v_dual_mov_b32 v13, v5 :: v_dual_mov_b32 v15, v5
	s_wait_xcnt 0x0
	s_load_b64 s[0:1], s[0:1], 0x40
	v_dual_mov_b32 v17, v5 :: v_dual_lshlrev_b32 v16, 3, v2
	v_mad_u32 v4, s17, v3, v7
	v_mad_nc_u64_u32 v[6:7], v6, s10, s[18:19]
	s_wait_kmcnt 0x0
	v_lshl_add_u64 v[10:11], v[10:11], 3, s[12:13]
	v_lshl_add_u64 v[12:13], v[12:13], 3, s[12:13]
	s_cmp_eq_u32 s5, 0
	s_delay_alu instid0(VALU_DEP_2) | instskip(NEXT) | instid1(VALU_DEP_4)
	v_add_nc_u64_e32 v[10:11], v[10:11], v[14:15]
	v_mad_u32 v7, v4, s10, v7
	s_delay_alu instid0(VALU_DEP_3) | instskip(SKIP_4) | instid1(VALU_DEP_2)
	v_add_nc_u64_e32 v[12:13], v[12:13], v[16:17]
	s_cselect_b32 vcc_lo, -1, 0
	v_mov_b32_e32 v3, v5
	s_lshl_b64 s[12:13], s[10:11], 5
	s_lshl_b64 s[10:11], s[10:11], 4
	v_dual_cndmask_b32 v5, v11, v13 :: v_dual_cndmask_b32 v4, v10, v12
	v_add_nc_u32_e32 v10, s3, v2
	v_add_nc_u64_e32 v[6:7], v[6:7], v[2:3]
	s_delay_alu instid0(VALU_DEP_3) | instskip(SKIP_1) | instid1(VALU_DEP_3)
	v_lshl_add_u64 v[2:3], v[8:9], 3, v[4:5]
	v_lshl_add_u64 v[8:9], v[0:1], 2, s[14:15]
	;; [unrolled: 1-line block ×4, first 2 shown]
	s_lshl_b64 s[0:1], s[6:7], 5
.LBB73_5:                               ; =>This Inner Loop Header: Depth=1
	global_load_b32 v11, v[8:9], off
	global_load_b64 v[12:13], v[2:3], off
	v_add_nc_u64_e32 v[0:1], 4, v[0:1]
	s_wait_xcnt 0x0
	v_add_nc_u64_e32 v[2:3], s[0:1], v[2:3]
	v_add_nc_u64_e32 v[8:9], 16, v[8:9]
	s_delay_alu instid0(VALU_DEP_3)
	v_cmp_le_i64_e32 vcc_lo, s[8:9], v[0:1]
	s_or_b32 s7, vcc_lo, s7
	s_wait_loadcnt 0x1
	v_subrev_nc_u32_e32 v11, s4, v11
	s_wait_loadcnt 0x0
	global_store_b64 v[4:5], v[12:13], off
	s_wait_xcnt 0x0
	v_add_nc_u64_e32 v[4:5], s[12:13], v[4:5]
	v_mad_u32 v11, v11, s2, v10
	global_store_b32 v[6:7], v11, off
	s_wait_xcnt 0x0
	v_add_nc_u64_e32 v[6:7], s[10:11], v[6:7]
	s_and_not1_b32 exec_lo, exec_lo, s7
	s_cbranch_execnz .LBB73_5
.LBB73_6:
	s_endpgm
	.section	.rodata,"a",@progbits
	.p2align	6, 0x0
	.amdhsa_kernel _ZN9rocsparseL33bsr2csr_block_per_row_8_32_kernelILj1024ELj16ElliEEv20rocsparse_direction_T3_S2_21rocsparse_index_base_PKT1_PKT2_PKS2_S2_S3_PS4_PS7_PS2_
		.amdhsa_group_segment_fixed_size 0
		.amdhsa_private_segment_fixed_size 0
		.amdhsa_kernarg_size 72
		.amdhsa_user_sgpr_count 2
		.amdhsa_user_sgpr_dispatch_ptr 0
		.amdhsa_user_sgpr_queue_ptr 0
		.amdhsa_user_sgpr_kernarg_segment_ptr 1
		.amdhsa_user_sgpr_dispatch_id 0
		.amdhsa_user_sgpr_kernarg_preload_length 0
		.amdhsa_user_sgpr_kernarg_preload_offset 0
		.amdhsa_user_sgpr_private_segment_size 0
		.amdhsa_wavefront_size32 1
		.amdhsa_uses_dynamic_stack 0
		.amdhsa_enable_private_segment 0
		.amdhsa_system_sgpr_workgroup_id_x 1
		.amdhsa_system_sgpr_workgroup_id_y 0
		.amdhsa_system_sgpr_workgroup_id_z 0
		.amdhsa_system_sgpr_workgroup_info 0
		.amdhsa_system_vgpr_workitem_id 0
		.amdhsa_next_free_vgpr 18
		.amdhsa_next_free_sgpr 26
		.amdhsa_named_barrier_count 0
		.amdhsa_reserve_vcc 1
		.amdhsa_float_round_mode_32 0
		.amdhsa_float_round_mode_16_64 0
		.amdhsa_float_denorm_mode_32 3
		.amdhsa_float_denorm_mode_16_64 3
		.amdhsa_fp16_overflow 0
		.amdhsa_memory_ordered 1
		.amdhsa_forward_progress 1
		.amdhsa_inst_pref_size 6
		.amdhsa_round_robin_scheduling 0
		.amdhsa_exception_fp_ieee_invalid_op 0
		.amdhsa_exception_fp_denorm_src 0
		.amdhsa_exception_fp_ieee_div_zero 0
		.amdhsa_exception_fp_ieee_overflow 0
		.amdhsa_exception_fp_ieee_underflow 0
		.amdhsa_exception_fp_ieee_inexact 0
		.amdhsa_exception_int_div_zero 0
	.end_amdhsa_kernel
	.section	.text._ZN9rocsparseL33bsr2csr_block_per_row_8_32_kernelILj1024ELj16ElliEEv20rocsparse_direction_T3_S2_21rocsparse_index_base_PKT1_PKT2_PKS2_S2_S3_PS4_PS7_PS2_,"axG",@progbits,_ZN9rocsparseL33bsr2csr_block_per_row_8_32_kernelILj1024ELj16ElliEEv20rocsparse_direction_T3_S2_21rocsparse_index_base_PKT1_PKT2_PKS2_S2_S3_PS4_PS7_PS2_,comdat
.Lfunc_end73:
	.size	_ZN9rocsparseL33bsr2csr_block_per_row_8_32_kernelILj1024ELj16ElliEEv20rocsparse_direction_T3_S2_21rocsparse_index_base_PKT1_PKT2_PKS2_S2_S3_PS4_PS7_PS2_, .Lfunc_end73-_ZN9rocsparseL33bsr2csr_block_per_row_8_32_kernelILj1024ELj16ElliEEv20rocsparse_direction_T3_S2_21rocsparse_index_base_PKT1_PKT2_PKS2_S2_S3_PS4_PS7_PS2_
                                        ; -- End function
	.set _ZN9rocsparseL33bsr2csr_block_per_row_8_32_kernelILj1024ELj16ElliEEv20rocsparse_direction_T3_S2_21rocsparse_index_base_PKT1_PKT2_PKS2_S2_S3_PS4_PS7_PS2_.num_vgpr, 18
	.set _ZN9rocsparseL33bsr2csr_block_per_row_8_32_kernelILj1024ELj16ElliEEv20rocsparse_direction_T3_S2_21rocsparse_index_base_PKT1_PKT2_PKS2_S2_S3_PS4_PS7_PS2_.num_agpr, 0
	.set _ZN9rocsparseL33bsr2csr_block_per_row_8_32_kernelILj1024ELj16ElliEEv20rocsparse_direction_T3_S2_21rocsparse_index_base_PKT1_PKT2_PKS2_S2_S3_PS4_PS7_PS2_.numbered_sgpr, 26
	.set _ZN9rocsparseL33bsr2csr_block_per_row_8_32_kernelILj1024ELj16ElliEEv20rocsparse_direction_T3_S2_21rocsparse_index_base_PKT1_PKT2_PKS2_S2_S3_PS4_PS7_PS2_.num_named_barrier, 0
	.set _ZN9rocsparseL33bsr2csr_block_per_row_8_32_kernelILj1024ELj16ElliEEv20rocsparse_direction_T3_S2_21rocsparse_index_base_PKT1_PKT2_PKS2_S2_S3_PS4_PS7_PS2_.private_seg_size, 0
	.set _ZN9rocsparseL33bsr2csr_block_per_row_8_32_kernelILj1024ELj16ElliEEv20rocsparse_direction_T3_S2_21rocsparse_index_base_PKT1_PKT2_PKS2_S2_S3_PS4_PS7_PS2_.uses_vcc, 1
	.set _ZN9rocsparseL33bsr2csr_block_per_row_8_32_kernelILj1024ELj16ElliEEv20rocsparse_direction_T3_S2_21rocsparse_index_base_PKT1_PKT2_PKS2_S2_S3_PS4_PS7_PS2_.uses_flat_scratch, 0
	.set _ZN9rocsparseL33bsr2csr_block_per_row_8_32_kernelILj1024ELj16ElliEEv20rocsparse_direction_T3_S2_21rocsparse_index_base_PKT1_PKT2_PKS2_S2_S3_PS4_PS7_PS2_.has_dyn_sized_stack, 0
	.set _ZN9rocsparseL33bsr2csr_block_per_row_8_32_kernelILj1024ELj16ElliEEv20rocsparse_direction_T3_S2_21rocsparse_index_base_PKT1_PKT2_PKS2_S2_S3_PS4_PS7_PS2_.has_recursion, 0
	.set _ZN9rocsparseL33bsr2csr_block_per_row_8_32_kernelILj1024ELj16ElliEEv20rocsparse_direction_T3_S2_21rocsparse_index_base_PKT1_PKT2_PKS2_S2_S3_PS4_PS7_PS2_.has_indirect_call, 0
	.section	.AMDGPU.csdata,"",@progbits
; Kernel info:
; codeLenInByte = 700
; TotalNumSgprs: 28
; NumVgprs: 18
; ScratchSize: 0
; MemoryBound: 0
; FloatMode: 240
; IeeeMode: 1
; LDSByteSize: 0 bytes/workgroup (compile time only)
; SGPRBlocks: 0
; VGPRBlocks: 1
; NumSGPRsForWavesPerEU: 28
; NumVGPRsForWavesPerEU: 18
; NamedBarCnt: 0
; Occupancy: 16
; WaveLimiterHint : 0
; COMPUTE_PGM_RSRC2:SCRATCH_EN: 0
; COMPUTE_PGM_RSRC2:USER_SGPR: 2
; COMPUTE_PGM_RSRC2:TRAP_HANDLER: 0
; COMPUTE_PGM_RSRC2:TGID_X_EN: 1
; COMPUTE_PGM_RSRC2:TGID_Y_EN: 0
; COMPUTE_PGM_RSRC2:TGID_Z_EN: 0
; COMPUTE_PGM_RSRC2:TIDIG_COMP_CNT: 0
	.section	.text._ZN9rocsparseL33bsr2csr_block_per_row_8_32_kernelILj1024ELj32ElliEEv20rocsparse_direction_T3_S2_21rocsparse_index_base_PKT1_PKT2_PKS2_S2_S3_PS4_PS7_PS2_,"axG",@progbits,_ZN9rocsparseL33bsr2csr_block_per_row_8_32_kernelILj1024ELj32ElliEEv20rocsparse_direction_T3_S2_21rocsparse_index_base_PKT1_PKT2_PKS2_S2_S3_PS4_PS7_PS2_,comdat
	.globl	_ZN9rocsparseL33bsr2csr_block_per_row_8_32_kernelILj1024ELj32ElliEEv20rocsparse_direction_T3_S2_21rocsparse_index_base_PKT1_PKT2_PKS2_S2_S3_PS4_PS7_PS2_ ; -- Begin function _ZN9rocsparseL33bsr2csr_block_per_row_8_32_kernelILj1024ELj32ElliEEv20rocsparse_direction_T3_S2_21rocsparse_index_base_PKT1_PKT2_PKS2_S2_S3_PS4_PS7_PS2_
	.p2align	8
	.type	_ZN9rocsparseL33bsr2csr_block_per_row_8_32_kernelILj1024ELj32ElliEEv20rocsparse_direction_T3_S2_21rocsparse_index_base_PKT1_PKT2_PKS2_S2_S3_PS4_PS7_PS2_,@function
_ZN9rocsparseL33bsr2csr_block_per_row_8_32_kernelILj1024ELj32ElliEEv20rocsparse_direction_T3_S2_21rocsparse_index_base_PKT1_PKT2_PKS2_S2_S3_PS4_PS7_PS2_: ; @_ZN9rocsparseL33bsr2csr_block_per_row_8_32_kernelILj1024ELj32ElliEEv20rocsparse_direction_T3_S2_21rocsparse_index_base_PKT1_PKT2_PKS2_S2_S3_PS4_PS7_PS2_
; %bb.0:
	s_clause 0x1
	s_load_b64 s[2:3], s[0:1], 0x28
	s_load_b64 s[16:17], s[0:1], 0x38
	s_bfe_u32 s4, ttmp6, 0x4000c
	s_and_b32 s5, ttmp6, 15
	s_add_co_i32 s4, s4, 1
	s_getreg_b32 s6, hwreg(HW_REG_IB_STS2, 6, 4)
	s_mul_i32 s4, ttmp9, s4
	s_delay_alu instid0(SALU_CYCLE_1) | instskip(SKIP_3) | instid1(SALU_CYCLE_1)
	s_add_co_i32 s5, s5, s4
	s_cmp_eq_u32 s6, 0
	s_mov_b32 s4, exec_lo
	s_cselect_b32 s22, ttmp9, s5
	v_or_b32_e32 v1, s22, v0
	s_delay_alu instid0(VALU_DEP_1)
	v_cmpx_eq_u32_e32 0, v1
	s_cbranch_execz .LBB74_2
; %bb.1:
	s_wait_kmcnt 0x0
	v_dual_mov_b32 v2, s3 :: v_dual_mov_b32 v3, 0
	global_store_b64 v3, v[2:3], s[16:17]
.LBB74_2:
	s_wait_xcnt 0x0
	s_or_b32 exec_lo, exec_lo, s4
	v_dual_lshrrev_b32 v4, 5, v0 :: v_dual_bitop2_b32 v2, 31, v0 bitop3:0x40
	s_mov_b32 s4, exec_lo
	s_delay_alu instid0(VALU_DEP_1) | instskip(SKIP_1) | instid1(VALU_DEP_1)
	v_max_i32_e32 v0, v4, v2
	s_wait_kmcnt 0x0
	v_cmpx_gt_i32_e64 s2, v0
	s_cbranch_execz .LBB74_6
; %bb.3:
	s_clause 0x1
	s_load_b64 s[4:5], s[0:1], 0x18
	s_load_b32 s8, s[0:1], 0xc
	s_ashr_i32 s23, s22, 31
	s_mov_b32 s9, 0
	s_lshl_b64 s[6:7], s[22:23], 3
	s_mul_i32 s18, s2, s2
	s_mov_b32 s14, s2
	s_mov_b32 s19, s9
	;; [unrolled: 1-line block ×4, first 2 shown]
	v_mad_u32 v3, s2, s22, v4
	s_mov_b32 s27, s9
	s_wait_kmcnt 0x0
	s_add_nc_u64 s[10:11], s[4:5], s[6:7]
	s_load_b128 s[4:7], s[10:11], 0x0
	s_wait_kmcnt 0x0
	s_sub_nc_u64 s[10:11], s[4:5], s[8:9]
	s_sub_nc_u64 s[12:13], s[6:7], s[8:9]
	s_mul_u64 s[20:21], s[10:11], s[18:19]
	s_sub_nc_u64 s[24:25], s[12:13], s[10:11]
	v_cmp_ge_i64_e64 s6, s[4:5], s[6:7]
	s_mul_u64 s[24:25], s[24:25], s[14:15]
	s_delay_alu instid0(SALU_CYCLE_1) | instskip(SKIP_2) | instid1(VALU_DEP_1)
	v_mad_nc_u64_u32 v[0:1], s24, v4, s[20:21]
	s_add_nc_u64 s[22:23], s[24:25], s[26:27]
	s_and_b32 vcc_lo, exec_lo, s6
	v_mad_u32 v1, s25, v4, v1
	s_delay_alu instid0(VALU_DEP_1)
	v_add_nc_u64_e32 v[6:7], s[22:23], v[0:1]
	global_store_b64 v3, v[6:7], s[16:17] offset:8 scale_offset
	s_cbranch_vccnz .LBB74_6
; %bb.4:
	s_clause 0x4
	s_load_b64 s[6:7], s[0:1], 0x10
	s_load_b64 s[24:25], s[0:1], 0x40
	;; [unrolled: 1-line block ×4, first 2 shown]
	s_load_b32 s26, s[0:1], 0x0
	v_mul_lo_u32 v6, s2, v2
	v_mul_lo_u32 v8, s2, v4
	v_dual_mov_b32 v3, 0 :: v_dual_lshlrev_b32 v4, 3, v4
	s_delay_alu instid0(VALU_DEP_1) | instskip(SKIP_4) | instid1(VALU_DEP_3)
	v_dual_mov_b32 v5, v3 :: v_dual_lshlrev_b32 v10, 3, v2
	v_dual_mov_b32 v7, v3 :: v_dual_mov_b32 v9, v3
	v_mov_b32_e32 v11, v3
	v_add_nc_u64_e32 v[12:13], v[0:1], v[2:3]
	s_wait_kmcnt 0x0
	v_lshl_add_u64 v[6:7], v[6:7], 3, s[6:7]
	v_lshl_add_u64 v[8:9], v[8:9], 3, s[6:7]
	s_cmp_eq_u32 s26, 0
	s_delay_alu instid0(VALU_DEP_3)
	v_lshl_add_u64 v[0:1], v[12:13], 3, s[22:23]
	s_cselect_b32 vcc_lo, -1, 0
	v_add_nc_u64_e32 v[4:5], v[6:7], v[4:5]
	v_add_nc_u32_e32 v6, s3, v2
	v_add_nc_u64_e32 v[8:9], v[8:9], v[10:11]
	s_lshl_b64 s[0:1], s[18:19], 3
	s_lshl_b64 s[4:5], s[4:5], 2
	;; [unrolled: 1-line block ×4, first 2 shown]
	s_sub_nc_u64 s[18:19], s[4:5], s[18:19]
	s_lshl_b64 s[4:5], s[14:15], 2
	v_dual_cndmask_b32 v3, v5, v9 :: v_dual_cndmask_b32 v2, v4, v8
	v_lshl_add_u64 v[4:5], v[12:13], 2, s[24:25]
	s_add_nc_u64 s[14:15], s[16:17], s[18:19]
	s_delay_alu instid0(VALU_DEP_2)
	v_lshl_add_u64 v[2:3], s[20:21], 3, v[2:3]
.LBB74_5:                               ; =>This Inner Loop Header: Depth=1
	global_load_b64 v[8:9], v[2:3], off
	s_load_b32 s3, s[14:15], 0x0
	s_add_nc_u64 s[10:11], s[10:11], 1
	v_add_nc_u64_e32 v[2:3], s[0:1], v[2:3]
	s_wait_xcnt 0x0
	s_add_nc_u64 s[14:15], s[14:15], 4
	s_wait_kmcnt 0x0
	s_sub_co_i32 s3, s3, s8
	s_delay_alu instid0(SALU_CYCLE_1)
	v_mad_u32 v7, s3, s2, v6
	v_cmp_lt_i64_e64 s3, s[10:11], s[12:13]
	s_and_b32 vcc_lo, exec_lo, s3
	global_store_b32 v[4:5], v7, off
	s_wait_xcnt 0x0
	v_add_nc_u64_e32 v[4:5], s[4:5], v[4:5]
	s_wait_loadcnt 0x0
	global_store_b64 v[0:1], v[8:9], off
	s_wait_xcnt 0x0
	v_add_nc_u64_e32 v[0:1], s[6:7], v[0:1]
	s_cbranch_vccnz .LBB74_5
.LBB74_6:
	s_endpgm
	.section	.rodata,"a",@progbits
	.p2align	6, 0x0
	.amdhsa_kernel _ZN9rocsparseL33bsr2csr_block_per_row_8_32_kernelILj1024ELj32ElliEEv20rocsparse_direction_T3_S2_21rocsparse_index_base_PKT1_PKT2_PKS2_S2_S3_PS4_PS7_PS2_
		.amdhsa_group_segment_fixed_size 0
		.amdhsa_private_segment_fixed_size 0
		.amdhsa_kernarg_size 72
		.amdhsa_user_sgpr_count 2
		.amdhsa_user_sgpr_dispatch_ptr 0
		.amdhsa_user_sgpr_queue_ptr 0
		.amdhsa_user_sgpr_kernarg_segment_ptr 1
		.amdhsa_user_sgpr_dispatch_id 0
		.amdhsa_user_sgpr_kernarg_preload_length 0
		.amdhsa_user_sgpr_kernarg_preload_offset 0
		.amdhsa_user_sgpr_private_segment_size 0
		.amdhsa_wavefront_size32 1
		.amdhsa_uses_dynamic_stack 0
		.amdhsa_enable_private_segment 0
		.amdhsa_system_sgpr_workgroup_id_x 1
		.amdhsa_system_sgpr_workgroup_id_y 0
		.amdhsa_system_sgpr_workgroup_id_z 0
		.amdhsa_system_sgpr_workgroup_info 0
		.amdhsa_system_vgpr_workitem_id 0
		.amdhsa_next_free_vgpr 14
		.amdhsa_next_free_sgpr 28
		.amdhsa_named_barrier_count 0
		.amdhsa_reserve_vcc 1
		.amdhsa_float_round_mode_32 0
		.amdhsa_float_round_mode_16_64 0
		.amdhsa_float_denorm_mode_32 3
		.amdhsa_float_denorm_mode_16_64 3
		.amdhsa_fp16_overflow 0
		.amdhsa_memory_ordered 1
		.amdhsa_forward_progress 1
		.amdhsa_inst_pref_size 6
		.amdhsa_round_robin_scheduling 0
		.amdhsa_exception_fp_ieee_invalid_op 0
		.amdhsa_exception_fp_denorm_src 0
		.amdhsa_exception_fp_ieee_div_zero 0
		.amdhsa_exception_fp_ieee_overflow 0
		.amdhsa_exception_fp_ieee_underflow 0
		.amdhsa_exception_fp_ieee_inexact 0
		.amdhsa_exception_int_div_zero 0
	.end_amdhsa_kernel
	.section	.text._ZN9rocsparseL33bsr2csr_block_per_row_8_32_kernelILj1024ELj32ElliEEv20rocsparse_direction_T3_S2_21rocsparse_index_base_PKT1_PKT2_PKS2_S2_S3_PS4_PS7_PS2_,"axG",@progbits,_ZN9rocsparseL33bsr2csr_block_per_row_8_32_kernelILj1024ELj32ElliEEv20rocsparse_direction_T3_S2_21rocsparse_index_base_PKT1_PKT2_PKS2_S2_S3_PS4_PS7_PS2_,comdat
.Lfunc_end74:
	.size	_ZN9rocsparseL33bsr2csr_block_per_row_8_32_kernelILj1024ELj32ElliEEv20rocsparse_direction_T3_S2_21rocsparse_index_base_PKT1_PKT2_PKS2_S2_S3_PS4_PS7_PS2_, .Lfunc_end74-_ZN9rocsparseL33bsr2csr_block_per_row_8_32_kernelILj1024ELj32ElliEEv20rocsparse_direction_T3_S2_21rocsparse_index_base_PKT1_PKT2_PKS2_S2_S3_PS4_PS7_PS2_
                                        ; -- End function
	.set _ZN9rocsparseL33bsr2csr_block_per_row_8_32_kernelILj1024ELj32ElliEEv20rocsparse_direction_T3_S2_21rocsparse_index_base_PKT1_PKT2_PKS2_S2_S3_PS4_PS7_PS2_.num_vgpr, 14
	.set _ZN9rocsparseL33bsr2csr_block_per_row_8_32_kernelILj1024ELj32ElliEEv20rocsparse_direction_T3_S2_21rocsparse_index_base_PKT1_PKT2_PKS2_S2_S3_PS4_PS7_PS2_.num_agpr, 0
	.set _ZN9rocsparseL33bsr2csr_block_per_row_8_32_kernelILj1024ELj32ElliEEv20rocsparse_direction_T3_S2_21rocsparse_index_base_PKT1_PKT2_PKS2_S2_S3_PS4_PS7_PS2_.numbered_sgpr, 28
	.set _ZN9rocsparseL33bsr2csr_block_per_row_8_32_kernelILj1024ELj32ElliEEv20rocsparse_direction_T3_S2_21rocsparse_index_base_PKT1_PKT2_PKS2_S2_S3_PS4_PS7_PS2_.num_named_barrier, 0
	.set _ZN9rocsparseL33bsr2csr_block_per_row_8_32_kernelILj1024ELj32ElliEEv20rocsparse_direction_T3_S2_21rocsparse_index_base_PKT1_PKT2_PKS2_S2_S3_PS4_PS7_PS2_.private_seg_size, 0
	.set _ZN9rocsparseL33bsr2csr_block_per_row_8_32_kernelILj1024ELj32ElliEEv20rocsparse_direction_T3_S2_21rocsparse_index_base_PKT1_PKT2_PKS2_S2_S3_PS4_PS7_PS2_.uses_vcc, 1
	.set _ZN9rocsparseL33bsr2csr_block_per_row_8_32_kernelILj1024ELj32ElliEEv20rocsparse_direction_T3_S2_21rocsparse_index_base_PKT1_PKT2_PKS2_S2_S3_PS4_PS7_PS2_.uses_flat_scratch, 0
	.set _ZN9rocsparseL33bsr2csr_block_per_row_8_32_kernelILj1024ELj32ElliEEv20rocsparse_direction_T3_S2_21rocsparse_index_base_PKT1_PKT2_PKS2_S2_S3_PS4_PS7_PS2_.has_dyn_sized_stack, 0
	.set _ZN9rocsparseL33bsr2csr_block_per_row_8_32_kernelILj1024ELj32ElliEEv20rocsparse_direction_T3_S2_21rocsparse_index_base_PKT1_PKT2_PKS2_S2_S3_PS4_PS7_PS2_.has_recursion, 0
	.set _ZN9rocsparseL33bsr2csr_block_per_row_8_32_kernelILj1024ELj32ElliEEv20rocsparse_direction_T3_S2_21rocsparse_index_base_PKT1_PKT2_PKS2_S2_S3_PS4_PS7_PS2_.has_indirect_call, 0
	.section	.AMDGPU.csdata,"",@progbits
; Kernel info:
; codeLenInByte = 644
; TotalNumSgprs: 30
; NumVgprs: 14
; ScratchSize: 0
; MemoryBound: 0
; FloatMode: 240
; IeeeMode: 1
; LDSByteSize: 0 bytes/workgroup (compile time only)
; SGPRBlocks: 0
; VGPRBlocks: 0
; NumSGPRsForWavesPerEU: 30
; NumVGPRsForWavesPerEU: 14
; NamedBarCnt: 0
; Occupancy: 16
; WaveLimiterHint : 0
; COMPUTE_PGM_RSRC2:SCRATCH_EN: 0
; COMPUTE_PGM_RSRC2:USER_SGPR: 2
; COMPUTE_PGM_RSRC2:TRAP_HANDLER: 0
; COMPUTE_PGM_RSRC2:TGID_X_EN: 1
; COMPUTE_PGM_RSRC2:TGID_Y_EN: 0
; COMPUTE_PGM_RSRC2:TGID_Z_EN: 0
; COMPUTE_PGM_RSRC2:TIDIG_COMP_CNT: 0
	.section	.text._ZN9rocsparseL35bsr2csr_block_per_row_33_256_kernelILj1024ELj64ELj32ElliEEv20rocsparse_direction_T4_S2_21rocsparse_index_base_PKT2_PKT3_PKS2_S2_S3_PS4_PS7_PS2_,"axG",@progbits,_ZN9rocsparseL35bsr2csr_block_per_row_33_256_kernelILj1024ELj64ELj32ElliEEv20rocsparse_direction_T4_S2_21rocsparse_index_base_PKT2_PKT3_PKS2_S2_S3_PS4_PS7_PS2_,comdat
	.globl	_ZN9rocsparseL35bsr2csr_block_per_row_33_256_kernelILj1024ELj64ELj32ElliEEv20rocsparse_direction_T4_S2_21rocsparse_index_base_PKT2_PKT3_PKS2_S2_S3_PS4_PS7_PS2_ ; -- Begin function _ZN9rocsparseL35bsr2csr_block_per_row_33_256_kernelILj1024ELj64ELj32ElliEEv20rocsparse_direction_T4_S2_21rocsparse_index_base_PKT2_PKT3_PKS2_S2_S3_PS4_PS7_PS2_
	.p2align	8
	.type	_ZN9rocsparseL35bsr2csr_block_per_row_33_256_kernelILj1024ELj64ELj32ElliEEv20rocsparse_direction_T4_S2_21rocsparse_index_base_PKT2_PKT3_PKS2_S2_S3_PS4_PS7_PS2_,@function
_ZN9rocsparseL35bsr2csr_block_per_row_33_256_kernelILj1024ELj64ELj32ElliEEv20rocsparse_direction_T4_S2_21rocsparse_index_base_PKT2_PKT3_PKS2_S2_S3_PS4_PS7_PS2_: ; @_ZN9rocsparseL35bsr2csr_block_per_row_33_256_kernelILj1024ELj64ELj32ElliEEv20rocsparse_direction_T4_S2_21rocsparse_index_base_PKT2_PKT3_PKS2_S2_S3_PS4_PS7_PS2_
; %bb.0:
	s_load_b64 s[2:3], s[0:1], 0x18
	s_bfe_u32 s4, ttmp6, 0x4000c
	s_and_b32 s5, ttmp6, 15
	s_add_co_i32 s4, s4, 1
	s_getreg_b32 s6, hwreg(HW_REG_IB_STS2, 6, 4)
	s_mul_i32 s4, ttmp9, s4
	s_clause 0x1
	s_load_b64 s[8:9], s[0:1], 0x28
	s_load_b64 s[24:25], s[0:1], 0x38
	s_add_co_i32 s5, s5, s4
	s_cmp_eq_u32 s6, 0
	s_mov_b32 s11, 0
	s_cselect_b32 s26, ttmp9, s5
	s_mov_b32 s13, s11
	s_ashr_i32 s27, s26, 31
	v_or_b32_e32 v1, s26, v0
	s_lshl_b64 s[4:5], s[26:27], 3
	s_wait_kmcnt 0x0
	s_add_nc_u64 s[2:3], s[2:3], s[4:5]
	s_load_b128 s[4:7], s[2:3], 0x0
	s_wait_xcnt 0x0
	s_mov_b32 s2, exec_lo
	s_mov_b32 s12, s9
	v_cmpx_eq_u32_e32 0, v1
	s_cbranch_execz .LBB75_2
; %bb.1:
	v_mov_b64_e32 v[2:3], s[12:13]
	v_mov_b32_e32 v1, 0
	global_store_b64 v1, v[2:3], s[24:25]
.LBB75_2:
	s_wait_xcnt 0x0
	s_or_b32 exec_lo, exec_lo, s2
	s_load_b32 s10, s[0:1], 0xc
	v_lshrrev_b32_e32 v2, 5, v0
	s_mul_i32 s20, s8, s8
	s_mov_b32 s21, s11
	s_mov_b32 s9, s11
	s_mul_i32 s26, s8, s26
	v_cmp_gt_i32_e64 s2, s8, v2
	s_wait_kmcnt 0x0
	s_sub_nc_u64 s[14:15], s[4:5], s[10:11]
	s_sub_nc_u64 s[16:17], s[6:7], s[10:11]
	s_mul_u64 s[18:19], s[14:15], s[20:21]
	s_sub_nc_u64 s[22:23], s[16:17], s[14:15]
	s_add_nc_u64 s[30:31], s[18:19], s[12:13]
	s_mul_u64 s[28:29], s[22:23], s[8:9]
	s_delay_alu instid0(SALU_CYCLE_1)
	s_add_nc_u64 s[30:31], s[30:31], s[28:29]
	s_and_saveexec_b32 s3, s2
	s_cbranch_execz .LBB75_4
; %bb.3:
	v_mad_nc_u64_u32 v[4:5], s28, v2, s[30:31]
	v_add_nc_u32_e32 v1, s26, v2
	s_delay_alu instid0(VALU_DEP_2)
	v_mad_u32 v5, s29, v2, v5
	global_store_b64 v1, v[4:5], s[24:25] offset:8 scale_offset
.LBB75_4:
	s_wait_xcnt 0x0
	s_or_b32 exec_lo, exec_lo, s3
	v_or_b32_e32 v4, 32, v2
	s_delay_alu instid0(VALU_DEP_1)
	v_cmp_gt_i32_e64 s3, s8, v4
	s_and_saveexec_b32 s13, s3
	s_cbranch_execz .LBB75_6
; %bb.5:
	v_mad_nc_u64_u32 v[6:7], s28, v4, s[30:31]
	v_mov_b32_e32 v3, 0
	s_ashr_i32 s27, s26, 31
	s_delay_alu instid0(VALU_DEP_1) | instid1(SALU_CYCLE_1)
	v_add_nc_u64_e32 v[8:9], s[26:27], v[2:3]
	s_delay_alu instid0(VALU_DEP_3) | instskip(NEXT) | instid1(VALU_DEP_2)
	v_mad_u32 v7, s29, v4, v7
	v_lshl_add_u64 v[8:9], v[8:9], 3, s[24:25]
	global_store_b64 v[8:9], v[6:7], off offset:264
.LBB75_6:
	s_wait_xcnt 0x0
	s_or_b32 exec_lo, exec_lo, s13
	v_cmp_lt_i64_e64 s6, s[4:5], s[6:7]
	s_and_b32 vcc_lo, exec_lo, s6
	s_cbranch_vccz .LBB75_17
; %bb.7:
	v_dual_mov_b32 v3, 0 :: v_dual_bitop2_b32 v0, 31, v0 bitop3:0x40
	s_load_b64 s[28:29], s[0:1], 0x40
	v_mul_lo_u32 v8, v2, s8
	s_delay_alu instid0(VALU_DEP_2) | instskip(SKIP_3) | instid1(VALU_DEP_4)
	v_dual_mov_b32 v5, v3 :: v_dual_lshlrev_b32 v10, 3, v2
	v_mul_u64_e32 v[6:7], s[22:23], v[2:3]
	v_mul_lo_u32 v12, v0, s8
	v_dual_mov_b32 v9, v3 :: v_dual_mov_b32 v1, v3
	v_mul_u64_e32 v[4:5], s[22:23], v[4:5]
	s_clause 0x3
	s_load_b64 s[22:23], s[0:1], 0x10
	s_load_b64 s[6:7], s[0:1], 0x20
	;; [unrolled: 1-line block ×3, first 2 shown]
	s_load_b32 s13, s[0:1], 0x0
	v_dual_mov_b32 v13, v3 :: v_dual_lshlrev_b32 v16, 3, v0
	v_dual_mov_b32 v17, v3 :: v_dual_mov_b32 v11, v3
	v_dual_mov_b32 v21, v3 :: v_dual_bitop2_b32 v30, 32, v0 bitop3:0x54
	v_dual_mov_b32 v23, v3 :: v_dual_lshlrev_b32 v2, 2, v0
	v_cmp_gt_i32_e32 vcc_lo, s8, v0
	s_wait_xcnt 0x0
	s_delay_alu instid0(VALU_DEP_3) | instskip(NEXT) | instid1(VALU_DEP_3)
	v_cmp_gt_i32_e64 s1, s8, v30
	v_lshl_add_u64 v[2:3], s[18:19], 2, v[2:3]
	s_wait_kmcnt 0x0
	s_cmp_eq_u32 s13, 0
	s_cselect_b32 s0, -1, 0
	s_lshl_b32 s33, s8, 5
	s_and_b32 s13, s2, vcc_lo
	v_add_nc_u32_e32 v22, s33, v8
	v_add_nc_u32_e32 v20, s33, v12
	v_mul_u64_e32 v[14:15], s[8:9], v[6:7]
	v_lshl_add_u64 v[6:7], v[12:13], 3, v[10:11]
	s_and_b32 s24, s2, s1
	v_lshl_add_u64 v[12:13], v[22:23], 3, v[16:17]
	v_mul_u64_e32 v[18:19], s[8:9], v[4:5]
	v_lshl_add_u64 v[4:5], v[8:9], 3, v[16:17]
	v_lshl_add_u64 v[10:11], v[20:21], 3, v[10:11]
	s_and_b32 s25, s3, vcc_lo
	s_and_b32 s1, s3, s1
	s_lshl_b64 s[2:3], s[18:19], 3
	v_add_nc_u64_e32 v[4:5], s[22:23], v[4:5]
	v_add_nc_u64_e32 v[6:7], s[22:23], v[6:7]
	;; [unrolled: 1-line block ×3, first 2 shown]
	s_lshl_b64 s[4:5], s[4:5], 2
	s_lshl_b64 s[30:31], s[10:11], 2
	s_delay_alu instid0(SALU_CYCLE_1)
	s_sub_nc_u64 s[30:31], s[4:5], s[30:31]
	s_lshl_b64 s[4:5], s[20:21], 3
	s_add_nc_u64 s[6:7], s[6:7], s[30:31]
	s_lshl_b64 s[20:21], s[8:9], 3
	v_lshl_add_u64 v[20:21], v[14:15], 2, s[28:29]
	v_lshl_add_u64 v[16:17], v[14:15], 3, v[16:17]
	v_add_nc_u64_e32 v[24:25], s[18:19], v[18:19]
	v_lshl_add_u64 v[18:19], v[18:19], 2, s[28:29]
	s_delay_alu instid0(VALU_DEP_3) | instskip(SKIP_1) | instid1(VALU_DEP_3)
	v_add_nc_u64_e32 v[16:17], s[2:3], v[16:17]
	s_lshl_b64 s[18:19], s[8:9], 2
	v_add_nc_u64_e32 v[8:9], v[24:25], v[0:1]
	s_delay_alu instid0(VALU_DEP_1) | instskip(SKIP_3) | instid1(VALU_DEP_3)
	v_lshl_add_u64 v[22:23], v[8:9], 3, s[26:27]
	v_add_nc_u64_e32 v[8:9], s[22:23], v[12:13]
	v_add_nc_u64_e32 v[12:13], 0x80, v[20:21]
	s_add_nc_u64 s[22:23], s[26:27], 0x100
	v_add_nc_u64_e32 v[14:15], 0x100, v[22:23]
	s_branch .LBB75_9
.LBB75_8:                               ;   in Loop: Header=BB75_9 Depth=1
	s_wait_xcnt 0x0
	s_or_b32 exec_lo, exec_lo, s9
	s_add_nc_u64 s[14:15], s[14:15], 1
	v_add_nc_u64_e32 v[4:5], s[4:5], v[4:5]
	v_cmp_ge_i64_e64 s9, s[14:15], s[16:17]
	v_add_nc_u64_e32 v[8:9], s[4:5], v[8:9]
	v_add_nc_u64_e32 v[6:7], s[4:5], v[6:7]
	;; [unrolled: 1-line block ×5, first 2 shown]
	s_add_nc_u64 s[6:7], s[6:7], 4
	s_and_b32 vcc_lo, exec_lo, s9
	s_add_nc_u64 s[22:23], s[22:23], s[20:21]
	s_cbranch_vccnz .LBB75_17
.LBB75_9:                               ; =>This Inner Loop Header: Depth=1
	s_load_b32 s9, s[6:7], 0x0
	s_delay_alu instid0(VALU_DEP_2)
	v_add_nc_u64_e32 v[24:25], v[12:13], v[2:3]
	v_add_nc_u64_e32 v[26:27], s[22:23], v[16:17]
	;; [unrolled: 1-line block ×4, first 2 shown]
	s_wait_kmcnt 0x0
	s_sub_co_i32 s9, s9, s10
	s_delay_alu instid0(SALU_CYCLE_1) | instskip(NEXT) | instid1(SALU_CYCLE_1)
	s_mul_i32 s9, s9, s8
	s_add_co_i32 s9, s9, s12
	s_delay_alu instid0(SALU_CYCLE_1)
	v_add_nc_u32_e32 v1, s9, v0
	s_and_saveexec_b32 s11, s13
	s_cbranch_execz .LBB75_11
; %bb.10:                               ;   in Loop: Header=BB75_9 Depth=1
	v_dual_cndmask_b32 v23, v21, v29, s0 :: v_dual_cndmask_b32 v22, v20, v28, s0
	global_load_b64 v[22:23], v[22:23], off
	global_store_b32 v[24:25], v1, off offset:-128
	s_wait_loadcnt 0x0
	global_store_b64 v[26:27], v[22:23], off offset:-256
.LBB75_11:                              ;   in Loop: Header=BB75_9 Depth=1
	s_wait_xcnt 0x0
	s_or_b32 exec_lo, exec_lo, s11
	v_add_nc_u64_e32 v[22:23], s[2:3], v[10:11]
	v_add_nc_u32_e32 v31, s9, v30
	s_and_saveexec_b32 s9, s24
	s_cbranch_execz .LBB75_13
; %bb.12:                               ;   in Loop: Header=BB75_9 Depth=1
	v_add_nc_u64_e32 v[28:29], 0x100, v[28:29]
	s_delay_alu instid0(VALU_DEP_1)
	v_dual_cndmask_b32 v29, v23, v29, s0 :: v_dual_cndmask_b32 v28, v22, v28, s0
	global_load_b64 v[28:29], v[28:29], off
	global_store_b32 v[24:25], v31, off
	s_wait_loadcnt 0x0
	global_store_b64 v[26:27], v[28:29], off
.LBB75_13:                              ;   in Loop: Header=BB75_9 Depth=1
	s_wait_xcnt 0x0
	s_or_b32 exec_lo, exec_lo, s9
	v_add_nc_u64_e32 v[24:25], v[18:19], v[2:3]
	v_add_nc_u64_e32 v[26:27], s[2:3], v[8:9]
	s_and_saveexec_b32 s9, s25
	s_cbranch_execz .LBB75_15
; %bb.14:                               ;   in Loop: Header=BB75_9 Depth=1
	v_add_nc_u64_e32 v[20:21], 0x100, v[20:21]
	s_delay_alu instid0(VALU_DEP_1)
	v_dual_cndmask_b32 v21, v21, v27, s0 :: v_dual_cndmask_b32 v20, v20, v26, s0
	global_load_b64 v[20:21], v[20:21], off
	global_store_b32 v[24:25], v1, off
	s_wait_loadcnt 0x0
	global_store_b64 v[14:15], v[20:21], off offset:-256
.LBB75_15:                              ;   in Loop: Header=BB75_9 Depth=1
	s_wait_xcnt 0x0
	s_or_b32 exec_lo, exec_lo, s9
	s_and_saveexec_b32 s9, s1
	s_cbranch_execz .LBB75_8
; %bb.16:                               ;   in Loop: Header=BB75_9 Depth=1
	v_dual_cndmask_b32 v21, v23, v27, s0 :: v_dual_cndmask_b32 v20, v22, v26, s0
	global_load_b64 v[20:21], v[20:21], off offset:256
	global_store_b32 v[24:25], v31, off offset:128
	s_wait_loadcnt 0x0
	global_store_b64 v[14:15], v[20:21], off
	s_branch .LBB75_8
.LBB75_17:
	s_endpgm
	.section	.rodata,"a",@progbits
	.p2align	6, 0x0
	.amdhsa_kernel _ZN9rocsparseL35bsr2csr_block_per_row_33_256_kernelILj1024ELj64ELj32ElliEEv20rocsparse_direction_T4_S2_21rocsparse_index_base_PKT2_PKT3_PKS2_S2_S3_PS4_PS7_PS2_
		.amdhsa_group_segment_fixed_size 0
		.amdhsa_private_segment_fixed_size 0
		.amdhsa_kernarg_size 72
		.amdhsa_user_sgpr_count 2
		.amdhsa_user_sgpr_dispatch_ptr 0
		.amdhsa_user_sgpr_queue_ptr 0
		.amdhsa_user_sgpr_kernarg_segment_ptr 1
		.amdhsa_user_sgpr_dispatch_id 0
		.amdhsa_user_sgpr_kernarg_preload_length 0
		.amdhsa_user_sgpr_kernarg_preload_offset 0
		.amdhsa_user_sgpr_private_segment_size 0
		.amdhsa_wavefront_size32 1
		.amdhsa_uses_dynamic_stack 0
		.amdhsa_enable_private_segment 0
		.amdhsa_system_sgpr_workgroup_id_x 1
		.amdhsa_system_sgpr_workgroup_id_y 0
		.amdhsa_system_sgpr_workgroup_id_z 0
		.amdhsa_system_sgpr_workgroup_info 0
		.amdhsa_system_vgpr_workitem_id 0
		.amdhsa_next_free_vgpr 32
		.amdhsa_next_free_sgpr 34
		.amdhsa_named_barrier_count 0
		.amdhsa_reserve_vcc 1
		.amdhsa_float_round_mode_32 0
		.amdhsa_float_round_mode_16_64 0
		.amdhsa_float_denorm_mode_32 3
		.amdhsa_float_denorm_mode_16_64 3
		.amdhsa_fp16_overflow 0
		.amdhsa_memory_ordered 1
		.amdhsa_forward_progress 1
		.amdhsa_inst_pref_size 10
		.amdhsa_round_robin_scheduling 0
		.amdhsa_exception_fp_ieee_invalid_op 0
		.amdhsa_exception_fp_denorm_src 0
		.amdhsa_exception_fp_ieee_div_zero 0
		.amdhsa_exception_fp_ieee_overflow 0
		.amdhsa_exception_fp_ieee_underflow 0
		.amdhsa_exception_fp_ieee_inexact 0
		.amdhsa_exception_int_div_zero 0
	.end_amdhsa_kernel
	.section	.text._ZN9rocsparseL35bsr2csr_block_per_row_33_256_kernelILj1024ELj64ELj32ElliEEv20rocsparse_direction_T4_S2_21rocsparse_index_base_PKT2_PKT3_PKS2_S2_S3_PS4_PS7_PS2_,"axG",@progbits,_ZN9rocsparseL35bsr2csr_block_per_row_33_256_kernelILj1024ELj64ELj32ElliEEv20rocsparse_direction_T4_S2_21rocsparse_index_base_PKT2_PKT3_PKS2_S2_S3_PS4_PS7_PS2_,comdat
.Lfunc_end75:
	.size	_ZN9rocsparseL35bsr2csr_block_per_row_33_256_kernelILj1024ELj64ELj32ElliEEv20rocsparse_direction_T4_S2_21rocsparse_index_base_PKT2_PKT3_PKS2_S2_S3_PS4_PS7_PS2_, .Lfunc_end75-_ZN9rocsparseL35bsr2csr_block_per_row_33_256_kernelILj1024ELj64ELj32ElliEEv20rocsparse_direction_T4_S2_21rocsparse_index_base_PKT2_PKT3_PKS2_S2_S3_PS4_PS7_PS2_
                                        ; -- End function
	.set _ZN9rocsparseL35bsr2csr_block_per_row_33_256_kernelILj1024ELj64ELj32ElliEEv20rocsparse_direction_T4_S2_21rocsparse_index_base_PKT2_PKT3_PKS2_S2_S3_PS4_PS7_PS2_.num_vgpr, 32
	.set _ZN9rocsparseL35bsr2csr_block_per_row_33_256_kernelILj1024ELj64ELj32ElliEEv20rocsparse_direction_T4_S2_21rocsparse_index_base_PKT2_PKT3_PKS2_S2_S3_PS4_PS7_PS2_.num_agpr, 0
	.set _ZN9rocsparseL35bsr2csr_block_per_row_33_256_kernelILj1024ELj64ELj32ElliEEv20rocsparse_direction_T4_S2_21rocsparse_index_base_PKT2_PKT3_PKS2_S2_S3_PS4_PS7_PS2_.numbered_sgpr, 34
	.set _ZN9rocsparseL35bsr2csr_block_per_row_33_256_kernelILj1024ELj64ELj32ElliEEv20rocsparse_direction_T4_S2_21rocsparse_index_base_PKT2_PKT3_PKS2_S2_S3_PS4_PS7_PS2_.num_named_barrier, 0
	.set _ZN9rocsparseL35bsr2csr_block_per_row_33_256_kernelILj1024ELj64ELj32ElliEEv20rocsparse_direction_T4_S2_21rocsparse_index_base_PKT2_PKT3_PKS2_S2_S3_PS4_PS7_PS2_.private_seg_size, 0
	.set _ZN9rocsparseL35bsr2csr_block_per_row_33_256_kernelILj1024ELj64ELj32ElliEEv20rocsparse_direction_T4_S2_21rocsparse_index_base_PKT2_PKT3_PKS2_S2_S3_PS4_PS7_PS2_.uses_vcc, 1
	.set _ZN9rocsparseL35bsr2csr_block_per_row_33_256_kernelILj1024ELj64ELj32ElliEEv20rocsparse_direction_T4_S2_21rocsparse_index_base_PKT2_PKT3_PKS2_S2_S3_PS4_PS7_PS2_.uses_flat_scratch, 0
	.set _ZN9rocsparseL35bsr2csr_block_per_row_33_256_kernelILj1024ELj64ELj32ElliEEv20rocsparse_direction_T4_S2_21rocsparse_index_base_PKT2_PKT3_PKS2_S2_S3_PS4_PS7_PS2_.has_dyn_sized_stack, 0
	.set _ZN9rocsparseL35bsr2csr_block_per_row_33_256_kernelILj1024ELj64ELj32ElliEEv20rocsparse_direction_T4_S2_21rocsparse_index_base_PKT2_PKT3_PKS2_S2_S3_PS4_PS7_PS2_.has_recursion, 0
	.set _ZN9rocsparseL35bsr2csr_block_per_row_33_256_kernelILj1024ELj64ELj32ElliEEv20rocsparse_direction_T4_S2_21rocsparse_index_base_PKT2_PKT3_PKS2_S2_S3_PS4_PS7_PS2_.has_indirect_call, 0
	.section	.AMDGPU.csdata,"",@progbits
; Kernel info:
; codeLenInByte = 1188
; TotalNumSgprs: 36
; NumVgprs: 32
; ScratchSize: 0
; MemoryBound: 0
; FloatMode: 240
; IeeeMode: 1
; LDSByteSize: 0 bytes/workgroup (compile time only)
; SGPRBlocks: 0
; VGPRBlocks: 1
; NumSGPRsForWavesPerEU: 36
; NumVGPRsForWavesPerEU: 32
; NamedBarCnt: 0
; Occupancy: 16
; WaveLimiterHint : 1
; COMPUTE_PGM_RSRC2:SCRATCH_EN: 0
; COMPUTE_PGM_RSRC2:USER_SGPR: 2
; COMPUTE_PGM_RSRC2:TRAP_HANDLER: 0
; COMPUTE_PGM_RSRC2:TGID_X_EN: 1
; COMPUTE_PGM_RSRC2:TGID_Y_EN: 0
; COMPUTE_PGM_RSRC2:TGID_Z_EN: 0
; COMPUTE_PGM_RSRC2:TIDIG_COMP_CNT: 0
	.section	.text._ZN9rocsparseL35bsr2csr_block_per_row_33_256_kernelILj1024ELj128ELj32ElliEEv20rocsparse_direction_T4_S2_21rocsparse_index_base_PKT2_PKT3_PKS2_S2_S3_PS4_PS7_PS2_,"axG",@progbits,_ZN9rocsparseL35bsr2csr_block_per_row_33_256_kernelILj1024ELj128ELj32ElliEEv20rocsparse_direction_T4_S2_21rocsparse_index_base_PKT2_PKT3_PKS2_S2_S3_PS4_PS7_PS2_,comdat
	.globl	_ZN9rocsparseL35bsr2csr_block_per_row_33_256_kernelILj1024ELj128ELj32ElliEEv20rocsparse_direction_T4_S2_21rocsparse_index_base_PKT2_PKT3_PKS2_S2_S3_PS4_PS7_PS2_ ; -- Begin function _ZN9rocsparseL35bsr2csr_block_per_row_33_256_kernelILj1024ELj128ELj32ElliEEv20rocsparse_direction_T4_S2_21rocsparse_index_base_PKT2_PKT3_PKS2_S2_S3_PS4_PS7_PS2_
	.p2align	8
	.type	_ZN9rocsparseL35bsr2csr_block_per_row_33_256_kernelILj1024ELj128ELj32ElliEEv20rocsparse_direction_T4_S2_21rocsparse_index_base_PKT2_PKT3_PKS2_S2_S3_PS4_PS7_PS2_,@function
_ZN9rocsparseL35bsr2csr_block_per_row_33_256_kernelILj1024ELj128ELj32ElliEEv20rocsparse_direction_T4_S2_21rocsparse_index_base_PKT2_PKT3_PKS2_S2_S3_PS4_PS7_PS2_: ; @_ZN9rocsparseL35bsr2csr_block_per_row_33_256_kernelILj1024ELj128ELj32ElliEEv20rocsparse_direction_T4_S2_21rocsparse_index_base_PKT2_PKT3_PKS2_S2_S3_PS4_PS7_PS2_
; %bb.0:
	s_load_b64 s[2:3], s[0:1], 0x18
	s_bfe_u32 s4, ttmp6, 0x4000c
	s_and_b32 s5, ttmp6, 15
	s_add_co_i32 s4, s4, 1
	s_getreg_b32 s6, hwreg(HW_REG_IB_STS2, 6, 4)
	s_mul_i32 s4, ttmp9, s4
	s_mov_b32 s15, 0
	s_add_co_i32 s5, s5, s4
	s_cmp_eq_u32 s6, 0
	s_clause 0x1
	s_load_b64 s[12:13], s[0:1], 0x28
	s_load_b64 s[6:7], s[0:1], 0x38
	s_cselect_b32 s4, ttmp9, s5
	s_mov_b32 s17, s15
	s_ashr_i32 s5, s4, 31
	v_or_b32_e32 v1, s4, v0
	s_lshl_b64 s[8:9], s[4:5], 3
	s_wait_kmcnt 0x0
	s_add_nc_u64 s[2:3], s[2:3], s[8:9]
	s_load_b128 s[8:11], s[2:3], 0x0
	s_wait_xcnt 0x0
	s_mov_b32 s2, exec_lo
	s_mov_b32 s16, s13
	v_cmpx_eq_u32_e32 0, v1
	s_cbranch_execz .LBB76_2
; %bb.1:
	v_mov_b64_e32 v[2:3], s[16:17]
	v_mov_b32_e32 v1, 0
	global_store_b64 v1, v[2:3], s[6:7]
.LBB76_2:
	s_wait_xcnt 0x0
	s_or_b32 exec_lo, exec_lo, s2
	s_load_b32 s14, s[0:1], 0xc
	v_lshrrev_b32_e32 v4, 5, v0
	s_mul_i32 s24, s12, s12
	s_mov_b32 s25, s15
	s_mov_b32 s13, s15
	s_delay_alu instid0(VALU_DEP_1)
	v_cmp_gt_i32_e64 s2, s12, v4
	s_wait_kmcnt 0x0
	s_sub_nc_u64 s[18:19], s[8:9], s[14:15]
	s_sub_nc_u64 s[20:21], s[10:11], s[14:15]
	s_mul_u64 s[26:27], s[18:19], s[24:25]
	s_sub_nc_u64 s[28:29], s[20:21], s[18:19]
	s_add_nc_u64 s[30:31], s[26:27], s[16:17]
	s_mul_u64 s[22:23], s[28:29], s[12:13]
	s_delay_alu instid0(SALU_CYCLE_1)
	s_add_nc_u64 s[34:35], s[30:31], s[22:23]
	s_mul_i32 s30, s12, s4
	s_and_saveexec_b32 s3, s2
	s_cbranch_execz .LBB76_4
; %bb.3:
	v_mad_nc_u64_u32 v[2:3], s22, v4, s[34:35]
	v_add_nc_u32_e32 v1, s30, v4
	s_delay_alu instid0(VALU_DEP_2)
	v_mad_u32 v3, s23, v4, v3
	global_store_b64 v1, v[2:3], s[6:7] offset:8 scale_offset
.LBB76_4:
	s_wait_xcnt 0x0
	s_or_b32 exec_lo, exec_lo, s3
	v_or_b32_e32 v2, 32, v4
	s_delay_alu instid0(VALU_DEP_1)
	v_cmp_gt_i32_e64 s3, s12, v2
	s_and_saveexec_b32 s4, s3
	s_cbranch_execz .LBB76_6
; %bb.5:
	v_mad_nc_u64_u32 v[6:7], s22, v2, s[34:35]
	v_mov_b32_e32 v5, 0
	s_ashr_i32 s31, s30, 31
	s_delay_alu instid0(VALU_DEP_1) | instid1(SALU_CYCLE_1)
	v_add_nc_u64_e32 v[8:9], s[30:31], v[4:5]
	s_delay_alu instid0(VALU_DEP_3) | instskip(NEXT) | instid1(VALU_DEP_2)
	v_mad_u32 v7, s23, v2, v7
	v_lshl_add_u64 v[8:9], v[8:9], 3, s[6:7]
	global_store_b64 v[8:9], v[6:7], off offset:264
.LBB76_6:
	s_wait_xcnt 0x0
	s_or_b32 exec_lo, exec_lo, s4
	v_or_b32_e32 v6, 64, v4
	s_delay_alu instid0(VALU_DEP_1)
	v_cmp_gt_i32_e64 s4, s12, v6
	s_and_saveexec_b32 s5, s4
	s_cbranch_execz .LBB76_8
; %bb.7:
	v_mad_nc_u64_u32 v[8:9], s22, v6, s[34:35]
	v_mov_b32_e32 v5, 0
	s_ashr_i32 s31, s30, 31
	s_delay_alu instid0(VALU_DEP_1) | instid1(SALU_CYCLE_1)
	v_add_nc_u64_e32 v[10:11], s[30:31], v[4:5]
	s_delay_alu instid0(VALU_DEP_3) | instskip(NEXT) | instid1(VALU_DEP_2)
	v_mad_u32 v9, s23, v6, v9
	v_lshl_add_u64 v[10:11], v[10:11], 3, s[6:7]
	global_store_b64 v[10:11], v[8:9], off offset:520
.LBB76_8:
	;; [unrolled: 18-line block ×3, first 2 shown]
	s_wait_xcnt 0x0
	s_or_b32 exec_lo, exec_lo, s17
	v_cmp_lt_i64_e64 s6, s[8:9], s[10:11]
	s_and_b32 vcc_lo, exec_lo, s6
	s_cbranch_vccz .LBB76_45
; %bb.11:
	v_dual_mov_b32 v5, 0 :: v_dual_bitop2_b32 v0, 31, v0 bitop3:0x40
	s_clause 0x1
	s_load_b64 s[30:31], s[0:1], 0x20
	s_load_b32 s6, s[0:1], 0x0
	v_mul_lo_u32 v8, v4, s12
	s_clause 0x2
	s_load_b64 s[34:35], s[0:1], 0x10
	s_load_b64 s[10:11], s[0:1], 0x30
	;; [unrolled: 1-line block ×3, first 2 shown]
	v_dual_mov_b32 v13, v5 :: v_dual_bitop2_b32 v49, 64, v0 bitop3:0x54
	v_dual_mov_b32 v3, v5 :: v_dual_mov_b32 v7, v5
	v_mul_u64_e32 v[14:15], s[28:29], v[4:5]
	v_mul_lo_u32 v10, v0, s12
	s_delay_alu instid0(VALU_DEP_4) | instskip(NEXT) | instid1(VALU_DEP_4)
	v_mul_u64_e32 v[12:13], s[28:29], v[12:13]
	v_mul_u64_e32 v[18:19], s[28:29], v[2:3]
	;; [unrolled: 1-line block ×3, first 2 shown]
	v_dual_mov_b32 v9, v5 :: v_dual_mov_b32 v1, v5
	v_dual_mov_b32 v31, v5 :: v_dual_lshlrev_b32 v30, 3, v0
	v_or_b32_e32 v50, 0x60, v0
	v_dual_mov_b32 v11, v5 :: v_dual_bitop2_b32 v48, 32, v0 bitop3:0x54
	v_dual_mov_b32 v41, v5 :: v_dual_lshlrev_b32 v40, 3, v4
	s_wait_kmcnt 0x0
	s_cmp_eq_u32 s6, 0
	v_mov_b32_e32 v23, v5
	s_cselect_b32 s0, -1, 0
	s_lshl_b32 s44, s12, 5
	s_delay_alu instid0(SALU_CYCLE_1) | instskip(SKIP_3) | instid1(VALU_DEP_3)
	v_dual_mov_b32 v17, v5 :: v_dual_add_nc_u32 v16, s44, v10
	v_dual_mov_b32 v25, v5 :: v_dual_add_nc_u32 v22, s44, v8
	v_mov_b32_e32 v21, v5
	v_lshl_add_u64 v[2:3], v[8:9], 3, v[30:31]
	v_dual_add_nc_u32 v20, s44, v16 :: v_dual_add_nc_u32 v24, s44, v22
	v_dual_mov_b32 v27, v5 :: v_dual_mov_b32 v33, v5
	v_lshl_add_u64 v[4:5], v[22:23], 3, v[30:31]
	s_delay_alu instid0(VALU_DEP_3) | instskip(NEXT) | instid1(VALU_DEP_4)
	v_add_nc_u32_e32 v32, s44, v20
	v_add_nc_u32_e32 v26, s44, v24
	v_cmp_gt_i32_e64 s6, s12, v49
	v_mad_nc_u64_u32 v[28:29], v14, s12, s[26:27]
	v_cmp_gt_i32_e64 s7, s12, v50
	v_mad_nc_u64_u32 v[34:35], v12, s12, s[26:27]
	v_mad_nc_u64_u32 v[36:37], v18, s12, s[26:27]
	v_mad_nc_u64_u32 v[38:39], v6, s12, s[26:27]
	v_lshl_add_u64 v[8:9], v[26:27], 3, v[30:31]
	v_cmp_gt_i32_e32 vcc_lo, s12, v0
	v_cmp_gt_i32_e64 s1, s12, v48
	s_and_b32 s28, s2, s6
	s_and_b32 s29, s2, s7
	;; [unrolled: 1-line block ×3, first 2 shown]
	v_mad_u32 v29, v15, s12, v29
	v_lshl_add_u64 v[14:15], v[20:21], 3, v[40:41]
	v_mad_u32 v35, v13, s12, v35
	v_mad_u32 v37, v19, s12, v37
	;; [unrolled: 1-line block ×3, first 2 shown]
	v_lshl_add_u64 v[6:7], v[24:25], 3, v[30:31]
	v_lshl_add_u64 v[12:13], v[16:17], 3, v[40:41]
	s_and_b32 s39, s3, s7
	s_and_b32 s42, s4, s6
	;; [unrolled: 1-line block ×4, first 2 shown]
	v_add_nc_u64_e32 v[18:19], v[28:29], v[0:1]
	s_and_b32 s46, s5, s7
	v_add_nc_u64_e32 v[22:23], v[34:35], v[0:1]
	v_add_nc_u64_e32 v[26:27], v[36:37], v[0:1]
	;; [unrolled: 1-line block ×3, first 2 shown]
	s_lshl_b64 s[6:7], s[8:9], 2
	s_lshl_b64 s[8:9], s[14:15], 2
	v_lshlrev_b64_e32 v[16:17], 2, v[18:19]
	v_lshlrev_b64_e32 v[18:19], 3, v[18:19]
	;; [unrolled: 1-line block ×8, first 2 shown]
	v_lshl_add_u64 v[10:11], v[10:11], 3, v[40:41]
	v_lshl_add_u64 v[32:33], v[32:33], 3, v[40:41]
	s_and_b32 s17, s2, vcc_lo
	s_and_b32 s33, s2, s1
	s_and_b32 s36, s3, vcc_lo
	s_and_b32 s37, s3, s1
	s_lshl_b64 s[2:3], s[26:27], 3
	s_sub_nc_u64 s[6:7], s[6:7], s[8:9]
	s_and_b32 s40, s4, vcc_lo
	s_and_b32 s41, s4, s1
	s_and_b32 s44, s5, vcc_lo
	s_and_b32 s1, s5, s1
	s_add_nc_u64 s[2:3], s[34:35], s[2:3]
	s_lshl_b64 s[4:5], s[24:25], 3
	s_add_nc_u64 s[6:7], s[30:31], s[6:7]
	s_lshl_b64 s[8:9], s[12:13], 2
	s_lshl_b64 s[24:25], s[12:13], 3
	s_branch .LBB76_13
.LBB76_12:                              ;   in Loop: Header=BB76_13 Depth=1
	s_wait_xcnt 0x0
	s_or_b32 exec_lo, exec_lo, s13
	s_add_nc_u64 s[18:19], s[18:19], 1
	s_add_nc_u64 s[2:3], s[2:3], s[4:5]
	v_cmp_ge_i64_e64 s13, s[18:19], s[20:21]
	s_add_nc_u64 s[6:7], s[6:7], 4
	s_add_nc_u64 s[22:23], s[22:23], s[8:9]
	;; [unrolled: 1-line block ×3, first 2 shown]
	s_and_b32 vcc_lo, exec_lo, s13
	s_cbranch_vccnz .LBB76_45
.LBB76_13:                              ; =>This Inner Loop Header: Depth=1
	s_load_b32 s13, s[6:7], 0x0
	v_add_nc_u64_e32 v[42:43], s[22:23], v[16:17]
	v_add_nc_u64_e32 v[44:45], s[10:11], v[18:19]
	;; [unrolled: 1-line block ×4, first 2 shown]
	s_wait_kmcnt 0x0
	s_sub_co_i32 s13, s13, s14
	s_delay_alu instid0(SALU_CYCLE_1) | instskip(NEXT) | instid1(SALU_CYCLE_1)
	s_mul_i32 s13, s13, s12
	s_add_co_i32 s13, s13, s16
	s_delay_alu instid0(SALU_CYCLE_1)
	v_add_nc_u32_e32 v1, s13, v0
	s_and_saveexec_b32 s15, s17
	s_cbranch_execz .LBB76_15
; %bb.14:                               ;   in Loop: Header=BB76_13 Depth=1
	v_dual_cndmask_b32 v37, v35, v47, s0 :: v_dual_cndmask_b32 v36, v34, v46, s0
	global_load_b64 v[36:37], v[36:37], off
	global_store_b32 v[42:43], v1, off
	s_wait_loadcnt 0x0
	global_store_b64 v[44:45], v[36:37], off
.LBB76_15:                              ;   in Loop: Header=BB76_13 Depth=1
	s_wait_xcnt 0x0
	s_or_b32 exec_lo, exec_lo, s15
	v_add_nc_u64_e32 v[36:37], s[2:3], v[12:13]
	v_add_nc_u32_e32 v51, s13, v48
	s_and_saveexec_b32 s15, s33
	s_cbranch_execz .LBB76_17
; %bb.16:                               ;   in Loop: Header=BB76_13 Depth=1
	v_add_nc_u64_e32 v[38:39], 0x100, v[46:47]
	s_delay_alu instid0(VALU_DEP_1)
	v_dual_cndmask_b32 v39, v37, v39, s0 :: v_dual_cndmask_b32 v38, v36, v38, s0
	global_load_b64 v[38:39], v[38:39], off
	global_store_b32 v[42:43], v51, off offset:128
	s_wait_loadcnt 0x0
	global_store_b64 v[44:45], v[38:39], off offset:256
.LBB76_17:                              ;   in Loop: Header=BB76_13 Depth=1
	s_wait_xcnt 0x0
	s_or_b32 exec_lo, exec_lo, s15
	v_add_nc_u64_e32 v[38:39], s[2:3], v[14:15]
	v_add_nc_u32_e32 v52, s13, v49
	s_and_saveexec_b32 s15, s28
	s_cbranch_execz .LBB76_19
; %bb.18:                               ;   in Loop: Header=BB76_13 Depth=1
	v_add_nc_u64_e32 v[40:41], 0x200, v[46:47]
	s_delay_alu instid0(VALU_DEP_1)
	v_dual_cndmask_b32 v41, v39, v41, s0 :: v_dual_cndmask_b32 v40, v38, v40, s0
	global_load_b64 v[40:41], v[40:41], off
	global_store_b32 v[42:43], v52, off offset:256
	s_wait_loadcnt 0x0
	global_store_b64 v[44:45], v[40:41], off offset:512
.LBB76_19:                              ;   in Loop: Header=BB76_13 Depth=1
	s_wait_xcnt 0x0
	s_or_b32 exec_lo, exec_lo, s15
	v_add_nc_u64_e32 v[40:41], s[2:3], v[32:33]
	v_add_nc_u32_e32 v53, s13, v50
	s_and_saveexec_b32 s13, s29
	s_cbranch_execz .LBB76_21
; %bb.20:                               ;   in Loop: Header=BB76_13 Depth=1
	v_add_nc_u64_e32 v[46:47], 0x300, v[46:47]
	s_delay_alu instid0(VALU_DEP_1)
	v_dual_cndmask_b32 v47, v41, v47, s0 :: v_dual_cndmask_b32 v46, v40, v46, s0
	global_load_b64 v[46:47], v[46:47], off
	global_store_b32 v[42:43], v53, off offset:384
	s_wait_loadcnt 0x0
	global_store_b64 v[44:45], v[46:47], off offset:768
.LBB76_21:                              ;   in Loop: Header=BB76_13 Depth=1
	s_wait_xcnt 0x0
	s_or_b32 exec_lo, exec_lo, s13
	v_add_nc_u64_e32 v[42:43], s[22:23], v[24:25]
	v_add_nc_u64_e32 v[44:45], s[10:11], v[26:27]
	;; [unrolled: 1-line block ×3, first 2 shown]
	s_and_saveexec_b32 s13, s36
	s_cbranch_execnz .LBB76_35
; %bb.22:                               ;   in Loop: Header=BB76_13 Depth=1
	s_or_b32 exec_lo, exec_lo, s13
	s_and_saveexec_b32 s13, s37
	s_cbranch_execnz .LBB76_36
.LBB76_23:                              ;   in Loop: Header=BB76_13 Depth=1
	s_or_b32 exec_lo, exec_lo, s13
	s_and_saveexec_b32 s13, s38
	s_cbranch_execnz .LBB76_37
.LBB76_24:                              ;   in Loop: Header=BB76_13 Depth=1
	s_or_b32 exec_lo, exec_lo, s13
	s_and_saveexec_b32 s13, s39
	s_cbranch_execz .LBB76_26
.LBB76_25:                              ;   in Loop: Header=BB76_13 Depth=1
	v_add_nc_u64_e32 v[46:47], 0x300, v[46:47]
	v_add_nc_u64_e32 v[54:55], 0x100, v[40:41]
	s_delay_alu instid0(VALU_DEP_1)
	v_dual_cndmask_b32 v47, v55, v47, s0 :: v_dual_cndmask_b32 v46, v54, v46, s0
	global_load_b64 v[46:47], v[46:47], off
	global_store_b32 v[42:43], v53, off offset:384
	s_wait_loadcnt 0x0
	global_store_b64 v[44:45], v[46:47], off offset:768
.LBB76_26:                              ;   in Loop: Header=BB76_13 Depth=1
	s_wait_xcnt 0x0
	s_or_b32 exec_lo, exec_lo, s13
	v_add_nc_u64_e32 v[42:43], s[22:23], v[30:31]
	v_add_nc_u64_e32 v[44:45], s[10:11], v[28:29]
	;; [unrolled: 1-line block ×3, first 2 shown]
	s_and_saveexec_b32 s13, s40
	s_cbranch_execnz .LBB76_38
; %bb.27:                               ;   in Loop: Header=BB76_13 Depth=1
	s_or_b32 exec_lo, exec_lo, s13
	s_and_saveexec_b32 s13, s41
	s_cbranch_execnz .LBB76_39
.LBB76_28:                              ;   in Loop: Header=BB76_13 Depth=1
	s_or_b32 exec_lo, exec_lo, s13
	s_and_saveexec_b32 s13, s42
	s_cbranch_execnz .LBB76_40
.LBB76_29:                              ;   in Loop: Header=BB76_13 Depth=1
	s_or_b32 exec_lo, exec_lo, s13
	s_and_saveexec_b32 s13, s43
	s_cbranch_execz .LBB76_31
.LBB76_30:                              ;   in Loop: Header=BB76_13 Depth=1
	v_add_nc_u64_e32 v[46:47], 0x300, v[46:47]
	v_add_nc_u64_e32 v[54:55], 0x200, v[40:41]
	s_delay_alu instid0(VALU_DEP_1)
	v_dual_cndmask_b32 v47, v55, v47, s0 :: v_dual_cndmask_b32 v46, v54, v46, s0
	global_load_b64 v[46:47], v[46:47], off
	global_store_b32 v[42:43], v53, off offset:384
	s_wait_loadcnt 0x0
	global_store_b64 v[44:45], v[46:47], off offset:768
.LBB76_31:                              ;   in Loop: Header=BB76_13 Depth=1
	s_wait_xcnt 0x0
	s_or_b32 exec_lo, exec_lo, s13
	v_add_nc_u64_e32 v[42:43], s[22:23], v[22:23]
	v_add_nc_u64_e32 v[44:45], s[10:11], v[20:21]
	v_add_nc_u64_e32 v[46:47], s[2:3], v[8:9]
	s_and_saveexec_b32 s13, s44
	s_cbranch_execnz .LBB76_41
; %bb.32:                               ;   in Loop: Header=BB76_13 Depth=1
	s_or_b32 exec_lo, exec_lo, s13
	s_and_saveexec_b32 s13, s1
	s_cbranch_execnz .LBB76_42
.LBB76_33:                              ;   in Loop: Header=BB76_13 Depth=1
	s_or_b32 exec_lo, exec_lo, s13
	s_and_saveexec_b32 s13, s45
	s_cbranch_execnz .LBB76_43
.LBB76_34:                              ;   in Loop: Header=BB76_13 Depth=1
	s_or_b32 exec_lo, exec_lo, s13
	s_and_saveexec_b32 s13, s46
	s_cbranch_execz .LBB76_12
	s_branch .LBB76_44
.LBB76_35:                              ;   in Loop: Header=BB76_13 Depth=1
	v_add_nc_u64_e32 v[54:55], 0x100, v[34:35]
	s_delay_alu instid0(VALU_DEP_1)
	v_dual_cndmask_b32 v55, v55, v47, s0 :: v_dual_cndmask_b32 v54, v54, v46, s0
	global_load_b64 v[54:55], v[54:55], off
	global_store_b32 v[42:43], v1, off
	s_wait_loadcnt 0x0
	global_store_b64 v[44:45], v[54:55], off
	s_wait_xcnt 0x0
	s_or_b32 exec_lo, exec_lo, s13
	s_and_saveexec_b32 s13, s37
	s_cbranch_execz .LBB76_23
.LBB76_36:                              ;   in Loop: Header=BB76_13 Depth=1
	s_delay_alu instid0(VALU_DEP_1)
	v_dual_cndmask_b32 v55, v37, v47, s0 :: v_dual_cndmask_b32 v54, v36, v46, s0
	global_load_b64 v[54:55], v[54:55], off offset:256
	global_store_b32 v[42:43], v51, off offset:128
	s_wait_loadcnt 0x0
	global_store_b64 v[44:45], v[54:55], off offset:256
	s_wait_xcnt 0x0
	s_or_b32 exec_lo, exec_lo, s13
	s_and_saveexec_b32 s13, s38
	s_cbranch_execz .LBB76_24
.LBB76_37:                              ;   in Loop: Header=BB76_13 Depth=1
	v_add_nc_u64_e32 v[54:55], 0x200, v[46:47]
	v_add_nc_u64_e32 v[56:57], 0x100, v[38:39]
	s_delay_alu instid0(VALU_DEP_1)
	v_dual_cndmask_b32 v55, v57, v55, s0 :: v_dual_cndmask_b32 v54, v56, v54, s0
	global_load_b64 v[54:55], v[54:55], off
	global_store_b32 v[42:43], v52, off offset:256
	s_wait_loadcnt 0x0
	global_store_b64 v[44:45], v[54:55], off offset:512
	s_wait_xcnt 0x0
	s_or_b32 exec_lo, exec_lo, s13
	s_and_saveexec_b32 s13, s39
	s_cbranch_execnz .LBB76_25
	s_branch .LBB76_26
.LBB76_38:                              ;   in Loop: Header=BB76_13 Depth=1
	v_add_nc_u64_e32 v[54:55], 0x200, v[34:35]
	s_delay_alu instid0(VALU_DEP_1)
	v_dual_cndmask_b32 v55, v55, v47, s0 :: v_dual_cndmask_b32 v54, v54, v46, s0
	global_load_b64 v[54:55], v[54:55], off
	global_store_b32 v[42:43], v1, off
	s_wait_loadcnt 0x0
	global_store_b64 v[44:45], v[54:55], off
	s_wait_xcnt 0x0
	s_or_b32 exec_lo, exec_lo, s13
	s_and_saveexec_b32 s13, s41
	s_cbranch_execz .LBB76_28
.LBB76_39:                              ;   in Loop: Header=BB76_13 Depth=1
	s_delay_alu instid0(VALU_DEP_1) | instskip(SKIP_1) | instid1(VALU_DEP_1)
	v_add_nc_u64_e32 v[54:55], 0x100, v[46:47]
	v_add_nc_u64_e32 v[56:57], 0x200, v[36:37]
	v_dual_cndmask_b32 v55, v57, v55, s0 :: v_dual_cndmask_b32 v54, v56, v54, s0
	global_load_b64 v[54:55], v[54:55], off
	global_store_b32 v[42:43], v51, off offset:128
	s_wait_loadcnt 0x0
	global_store_b64 v[44:45], v[54:55], off offset:256
	s_wait_xcnt 0x0
	s_or_b32 exec_lo, exec_lo, s13
	s_and_saveexec_b32 s13, s42
	s_cbranch_execz .LBB76_29
.LBB76_40:                              ;   in Loop: Header=BB76_13 Depth=1
	v_dual_cndmask_b32 v55, v39, v47, s0 :: v_dual_cndmask_b32 v54, v38, v46, s0
	global_load_b64 v[54:55], v[54:55], off offset:512
	global_store_b32 v[42:43], v52, off offset:256
	s_wait_loadcnt 0x0
	global_store_b64 v[44:45], v[54:55], off offset:512
	s_wait_xcnt 0x0
	s_or_b32 exec_lo, exec_lo, s13
	s_and_saveexec_b32 s13, s43
	s_cbranch_execnz .LBB76_30
	s_branch .LBB76_31
.LBB76_41:                              ;   in Loop: Header=BB76_13 Depth=1
	v_add_nc_u64_e32 v[34:35], 0x300, v[34:35]
	s_delay_alu instid0(VALU_DEP_1)
	v_dual_cndmask_b32 v35, v35, v47, s0 :: v_dual_cndmask_b32 v34, v34, v46, s0
	global_load_b64 v[34:35], v[34:35], off
	global_store_b32 v[42:43], v1, off
	s_wait_loadcnt 0x0
	global_store_b64 v[44:45], v[34:35], off
	s_wait_xcnt 0x0
	s_or_b32 exec_lo, exec_lo, s13
	s_and_saveexec_b32 s13, s1
	s_cbranch_execz .LBB76_33
.LBB76_42:                              ;   in Loop: Header=BB76_13 Depth=1
	s_delay_alu instid0(VALU_DEP_1) | instskip(SKIP_1) | instid1(VALU_DEP_1)
	v_add_nc_u64_e32 v[34:35], 0x100, v[46:47]
	v_add_nc_u64_e32 v[36:37], 0x300, v[36:37]
	v_dual_cndmask_b32 v35, v37, v35, s0 :: v_dual_cndmask_b32 v34, v36, v34, s0
	global_load_b64 v[34:35], v[34:35], off
	global_store_b32 v[42:43], v51, off offset:128
	s_wait_loadcnt 0x0
	global_store_b64 v[44:45], v[34:35], off offset:256
	s_wait_xcnt 0x0
	s_or_b32 exec_lo, exec_lo, s13
	s_and_saveexec_b32 s13, s45
	s_cbranch_execz .LBB76_34
.LBB76_43:                              ;   in Loop: Header=BB76_13 Depth=1
	v_add_nc_u64_e32 v[34:35], 0x200, v[46:47]
	v_add_nc_u64_e32 v[36:37], 0x300, v[38:39]
	s_delay_alu instid0(VALU_DEP_1)
	v_dual_cndmask_b32 v35, v37, v35, s0 :: v_dual_cndmask_b32 v34, v36, v34, s0
	global_load_b64 v[34:35], v[34:35], off
	global_store_b32 v[42:43], v52, off offset:256
	s_wait_loadcnt 0x0
	global_store_b64 v[44:45], v[34:35], off offset:512
	s_wait_xcnt 0x0
	s_or_b32 exec_lo, exec_lo, s13
	s_and_saveexec_b32 s13, s46
	s_cbranch_execz .LBB76_12
.LBB76_44:                              ;   in Loop: Header=BB76_13 Depth=1
	v_dual_cndmask_b32 v35, v41, v47, s0 :: v_dual_cndmask_b32 v34, v40, v46, s0
	global_load_b64 v[34:35], v[34:35], off offset:768
	global_store_b32 v[42:43], v53, off offset:384
	s_wait_loadcnt 0x0
	global_store_b64 v[44:45], v[34:35], off offset:768
	s_branch .LBB76_12
.LBB76_45:
	s_endpgm
	.section	.rodata,"a",@progbits
	.p2align	6, 0x0
	.amdhsa_kernel _ZN9rocsparseL35bsr2csr_block_per_row_33_256_kernelILj1024ELj128ELj32ElliEEv20rocsparse_direction_T4_S2_21rocsparse_index_base_PKT2_PKT3_PKS2_S2_S3_PS4_PS7_PS2_
		.amdhsa_group_segment_fixed_size 0
		.amdhsa_private_segment_fixed_size 0
		.amdhsa_kernarg_size 72
		.amdhsa_user_sgpr_count 2
		.amdhsa_user_sgpr_dispatch_ptr 0
		.amdhsa_user_sgpr_queue_ptr 0
		.amdhsa_user_sgpr_kernarg_segment_ptr 1
		.amdhsa_user_sgpr_dispatch_id 0
		.amdhsa_user_sgpr_kernarg_preload_length 0
		.amdhsa_user_sgpr_kernarg_preload_offset 0
		.amdhsa_user_sgpr_private_segment_size 0
		.amdhsa_wavefront_size32 1
		.amdhsa_uses_dynamic_stack 0
		.amdhsa_enable_private_segment 0
		.amdhsa_system_sgpr_workgroup_id_x 1
		.amdhsa_system_sgpr_workgroup_id_y 0
		.amdhsa_system_sgpr_workgroup_id_z 0
		.amdhsa_system_sgpr_workgroup_info 0
		.amdhsa_system_vgpr_workitem_id 0
		.amdhsa_next_free_vgpr 58
		.amdhsa_next_free_sgpr 47
		.amdhsa_named_barrier_count 0
		.amdhsa_reserve_vcc 1
		.amdhsa_float_round_mode_32 0
		.amdhsa_float_round_mode_16_64 0
		.amdhsa_float_denorm_mode_32 3
		.amdhsa_float_denorm_mode_16_64 3
		.amdhsa_fp16_overflow 0
		.amdhsa_memory_ordered 1
		.amdhsa_forward_progress 1
		.amdhsa_inst_pref_size 21
		.amdhsa_round_robin_scheduling 0
		.amdhsa_exception_fp_ieee_invalid_op 0
		.amdhsa_exception_fp_denorm_src 0
		.amdhsa_exception_fp_ieee_div_zero 0
		.amdhsa_exception_fp_ieee_overflow 0
		.amdhsa_exception_fp_ieee_underflow 0
		.amdhsa_exception_fp_ieee_inexact 0
		.amdhsa_exception_int_div_zero 0
	.end_amdhsa_kernel
	.section	.text._ZN9rocsparseL35bsr2csr_block_per_row_33_256_kernelILj1024ELj128ELj32ElliEEv20rocsparse_direction_T4_S2_21rocsparse_index_base_PKT2_PKT3_PKS2_S2_S3_PS4_PS7_PS2_,"axG",@progbits,_ZN9rocsparseL35bsr2csr_block_per_row_33_256_kernelILj1024ELj128ELj32ElliEEv20rocsparse_direction_T4_S2_21rocsparse_index_base_PKT2_PKT3_PKS2_S2_S3_PS4_PS7_PS2_,comdat
.Lfunc_end76:
	.size	_ZN9rocsparseL35bsr2csr_block_per_row_33_256_kernelILj1024ELj128ELj32ElliEEv20rocsparse_direction_T4_S2_21rocsparse_index_base_PKT2_PKT3_PKS2_S2_S3_PS4_PS7_PS2_, .Lfunc_end76-_ZN9rocsparseL35bsr2csr_block_per_row_33_256_kernelILj1024ELj128ELj32ElliEEv20rocsparse_direction_T4_S2_21rocsparse_index_base_PKT2_PKT3_PKS2_S2_S3_PS4_PS7_PS2_
                                        ; -- End function
	.set _ZN9rocsparseL35bsr2csr_block_per_row_33_256_kernelILj1024ELj128ELj32ElliEEv20rocsparse_direction_T4_S2_21rocsparse_index_base_PKT2_PKT3_PKS2_S2_S3_PS4_PS7_PS2_.num_vgpr, 58
	.set _ZN9rocsparseL35bsr2csr_block_per_row_33_256_kernelILj1024ELj128ELj32ElliEEv20rocsparse_direction_T4_S2_21rocsparse_index_base_PKT2_PKT3_PKS2_S2_S3_PS4_PS7_PS2_.num_agpr, 0
	.set _ZN9rocsparseL35bsr2csr_block_per_row_33_256_kernelILj1024ELj128ELj32ElliEEv20rocsparse_direction_T4_S2_21rocsparse_index_base_PKT2_PKT3_PKS2_S2_S3_PS4_PS7_PS2_.numbered_sgpr, 47
	.set _ZN9rocsparseL35bsr2csr_block_per_row_33_256_kernelILj1024ELj128ELj32ElliEEv20rocsparse_direction_T4_S2_21rocsparse_index_base_PKT2_PKT3_PKS2_S2_S3_PS4_PS7_PS2_.num_named_barrier, 0
	.set _ZN9rocsparseL35bsr2csr_block_per_row_33_256_kernelILj1024ELj128ELj32ElliEEv20rocsparse_direction_T4_S2_21rocsparse_index_base_PKT2_PKT3_PKS2_S2_S3_PS4_PS7_PS2_.private_seg_size, 0
	.set _ZN9rocsparseL35bsr2csr_block_per_row_33_256_kernelILj1024ELj128ELj32ElliEEv20rocsparse_direction_T4_S2_21rocsparse_index_base_PKT2_PKT3_PKS2_S2_S3_PS4_PS7_PS2_.uses_vcc, 1
	.set _ZN9rocsparseL35bsr2csr_block_per_row_33_256_kernelILj1024ELj128ELj32ElliEEv20rocsparse_direction_T4_S2_21rocsparse_index_base_PKT2_PKT3_PKS2_S2_S3_PS4_PS7_PS2_.uses_flat_scratch, 0
	.set _ZN9rocsparseL35bsr2csr_block_per_row_33_256_kernelILj1024ELj128ELj32ElliEEv20rocsparse_direction_T4_S2_21rocsparse_index_base_PKT2_PKT3_PKS2_S2_S3_PS4_PS7_PS2_.has_dyn_sized_stack, 0
	.set _ZN9rocsparseL35bsr2csr_block_per_row_33_256_kernelILj1024ELj128ELj32ElliEEv20rocsparse_direction_T4_S2_21rocsparse_index_base_PKT2_PKT3_PKS2_S2_S3_PS4_PS7_PS2_.has_recursion, 0
	.set _ZN9rocsparseL35bsr2csr_block_per_row_33_256_kernelILj1024ELj128ELj32ElliEEv20rocsparse_direction_T4_S2_21rocsparse_index_base_PKT2_PKT3_PKS2_S2_S3_PS4_PS7_PS2_.has_indirect_call, 0
	.section	.AMDGPU.csdata,"",@progbits
; Kernel info:
; codeLenInByte = 2676
; TotalNumSgprs: 49
; NumVgprs: 58
; ScratchSize: 0
; MemoryBound: 0
; FloatMode: 240
; IeeeMode: 1
; LDSByteSize: 0 bytes/workgroup (compile time only)
; SGPRBlocks: 0
; VGPRBlocks: 3
; NumSGPRsForWavesPerEU: 49
; NumVGPRsForWavesPerEU: 58
; NamedBarCnt: 0
; Occupancy: 16
; WaveLimiterHint : 1
; COMPUTE_PGM_RSRC2:SCRATCH_EN: 0
; COMPUTE_PGM_RSRC2:USER_SGPR: 2
; COMPUTE_PGM_RSRC2:TRAP_HANDLER: 0
; COMPUTE_PGM_RSRC2:TGID_X_EN: 1
; COMPUTE_PGM_RSRC2:TGID_Y_EN: 0
; COMPUTE_PGM_RSRC2:TGID_Z_EN: 0
; COMPUTE_PGM_RSRC2:TIDIG_COMP_CNT: 0
	.section	.text._ZN9rocsparseL35bsr2csr_block_per_row_33_256_kernelILj1024ELj256ELj32ElliEEv20rocsparse_direction_T4_S2_21rocsparse_index_base_PKT2_PKT3_PKS2_S2_S3_PS4_PS7_PS2_,"axG",@progbits,_ZN9rocsparseL35bsr2csr_block_per_row_33_256_kernelILj1024ELj256ELj32ElliEEv20rocsparse_direction_T4_S2_21rocsparse_index_base_PKT2_PKT3_PKS2_S2_S3_PS4_PS7_PS2_,comdat
	.globl	_ZN9rocsparseL35bsr2csr_block_per_row_33_256_kernelILj1024ELj256ELj32ElliEEv20rocsparse_direction_T4_S2_21rocsparse_index_base_PKT2_PKT3_PKS2_S2_S3_PS4_PS7_PS2_ ; -- Begin function _ZN9rocsparseL35bsr2csr_block_per_row_33_256_kernelILj1024ELj256ELj32ElliEEv20rocsparse_direction_T4_S2_21rocsparse_index_base_PKT2_PKT3_PKS2_S2_S3_PS4_PS7_PS2_
	.p2align	8
	.type	_ZN9rocsparseL35bsr2csr_block_per_row_33_256_kernelILj1024ELj256ELj32ElliEEv20rocsparse_direction_T4_S2_21rocsparse_index_base_PKT2_PKT3_PKS2_S2_S3_PS4_PS7_PS2_,@function
_ZN9rocsparseL35bsr2csr_block_per_row_33_256_kernelILj1024ELj256ELj32ElliEEv20rocsparse_direction_T4_S2_21rocsparse_index_base_PKT2_PKT3_PKS2_S2_S3_PS4_PS7_PS2_: ; @_ZN9rocsparseL35bsr2csr_block_per_row_33_256_kernelILj1024ELj256ELj32ElliEEv20rocsparse_direction_T4_S2_21rocsparse_index_base_PKT2_PKT3_PKS2_S2_S3_PS4_PS7_PS2_
; %bb.0:
	s_load_b64 s[2:3], s[0:1], 0x18
	s_bfe_u32 s4, ttmp6, 0x4000c
	s_and_b32 s5, ttmp6, 15
	s_add_co_i32 s4, s4, 1
	s_getreg_b32 s6, hwreg(HW_REG_IB_STS2, 6, 4)
	s_mul_i32 s4, ttmp9, s4
	s_clause 0x1
	s_load_b64 s[16:17], s[0:1], 0x28
	s_load_b64 s[10:11], s[0:1], 0x38
	s_add_co_i32 s5, s5, s4
	s_cmp_eq_u32 s6, 0
	s_mov_b32 s19, 0
	s_cselect_b32 s4, ttmp9, s5
	s_mov_b32 s21, s19
	s_ashr_i32 s5, s4, 31
	v_or_b32_e32 v1, s4, v0
	s_lshl_b64 s[6:7], s[4:5], 3
	s_wait_kmcnt 0x0
	s_add_nc_u64 s[2:3], s[2:3], s[6:7]
	s_load_b128 s[12:15], s[2:3], 0x0
	s_wait_xcnt 0x0
	s_mov_b32 s2, exec_lo
	s_mov_b32 s20, s17
	v_cmpx_eq_u32_e32 0, v1
	s_cbranch_execz .LBB77_2
; %bb.1:
	v_mov_b64_e32 v[2:3], s[20:21]
	v_mov_b32_e32 v1, 0
	global_store_b64 v1, v[2:3], s[10:11]
.LBB77_2:
	s_wait_xcnt 0x0
	s_or_b32 exec_lo, exec_lo, s2
	s_load_b32 s22, s[0:1], 0xc
	s_mov_b32 s23, s19
	v_lshrrev_b32_e32 v2, 5, v0
	s_mul_i32 s18, s16, s16
	s_mov_b32 s17, s19
	s_mul_i32 s34, s16, s4
	s_delay_alu instid0(VALU_DEP_1)
	v_cmp_gt_i32_e64 s2, s16, v2
	s_wait_kmcnt 0x0
	s_sub_nc_u64 s[24:25], s[12:13], s[22:23]
	s_sub_nc_u64 s[26:27], s[14:15], s[22:23]
	s_mul_u64 s[28:29], s[24:25], s[18:19]
	s_sub_nc_u64 s[40:41], s[26:27], s[24:25]
	s_add_nc_u64 s[6:7], s[28:29], s[20:21]
	s_mul_u64 s[30:31], s[40:41], s[16:17]
	s_delay_alu instid0(SALU_CYCLE_1)
	s_add_nc_u64 s[36:37], s[6:7], s[30:31]
	s_and_saveexec_b32 s3, s2
	s_cbranch_execz .LBB77_4
; %bb.3:
	v_mad_nc_u64_u32 v[4:5], s30, v2, s[36:37]
	v_add_nc_u32_e32 v1, s34, v2
	s_delay_alu instid0(VALU_DEP_2)
	v_mad_u32 v5, s31, v2, v5
	global_store_b64 v1, v[4:5], s[10:11] offset:8 scale_offset
.LBB77_4:
	s_wait_xcnt 0x0
	s_or_b32 exec_lo, exec_lo, s3
	v_or_b32_e32 v24, 32, v2
	s_delay_alu instid0(VALU_DEP_1)
	v_cmp_gt_i32_e64 s3, s16, v24
	s_and_saveexec_b32 s4, s3
	s_cbranch_execz .LBB77_6
; %bb.5:
	v_mad_nc_u64_u32 v[4:5], s30, v24, s[36:37]
	v_mov_b32_e32 v3, 0
	s_ashr_i32 s35, s34, 31
	s_delay_alu instid0(VALU_DEP_1) | instid1(SALU_CYCLE_1)
	v_add_nc_u64_e32 v[6:7], s[34:35], v[2:3]
	s_delay_alu instid0(VALU_DEP_3) | instskip(NEXT) | instid1(VALU_DEP_2)
	v_mad_u32 v5, s31, v24, v5
	v_lshl_add_u64 v[6:7], v[6:7], 3, s[10:11]
	global_store_b64 v[6:7], v[4:5], off offset:264
.LBB77_6:
	s_wait_xcnt 0x0
	s_or_b32 exec_lo, exec_lo, s4
	v_or_b32_e32 v28, 64, v2
	s_delay_alu instid0(VALU_DEP_1)
	v_cmp_gt_i32_e64 s4, s16, v28
	s_and_saveexec_b32 s5, s4
	s_cbranch_execz .LBB77_8
; %bb.7:
	v_mad_nc_u64_u32 v[4:5], s30, v28, s[36:37]
	v_mov_b32_e32 v3, 0
	s_ashr_i32 s35, s34, 31
	s_delay_alu instid0(VALU_DEP_1) | instid1(SALU_CYCLE_1)
	v_add_nc_u64_e32 v[6:7], s[34:35], v[2:3]
	s_delay_alu instid0(VALU_DEP_3) | instskip(NEXT) | instid1(VALU_DEP_2)
	v_mad_u32 v5, s31, v28, v5
	v_lshl_add_u64 v[6:7], v[6:7], 3, s[10:11]
	global_store_b64 v[6:7], v[4:5], off offset:520
.LBB77_8:
	;; [unrolled: 18-line block ×7, first 2 shown]
	s_wait_xcnt 0x0
	s_or_b32 exec_lo, exec_lo, s17
	v_cmp_lt_i64_e64 s10, s[12:13], s[14:15]
	s_and_b32 vcc_lo, exec_lo, s10
	s_cbranch_vccz .LBB77_149
; %bb.19:
	s_clause 0x2
	s_load_b64 s[30:31], s[0:1], 0x20
	s_load_b64 s[34:35], s[0:1], 0x30
	s_load_b32 s10, s[0:1], 0x0
	v_dual_mov_b32 v3, 0 :: v_dual_bitop2_b32 v0, 31, v0 bitop3:0x40
	s_clause 0x1
	s_load_b64 s[36:37], s[0:1], 0x10
	s_load_b64 s[38:39], s[0:1], 0x40
	v_mul_lo_u32 v4, v2, s16
	v_mul_lo_u32 v6, v0, s16
	v_dual_mov_b32 v31, v3 :: v_dual_mov_b32 v33, v3
	v_dual_mov_b32 v39, v3 :: v_dual_mov_b32 v41, v3
	;; [unrolled: 1-line block ×3, first 2 shown]
	v_mul_u64_e32 v[22:23], s[40:41], v[2:3]
	s_delay_alu instid0(VALU_DEP_4) | instskip(NEXT) | instid1(VALU_DEP_4)
	v_mul_u64_e32 v[32:33], s[40:41], v[32:33]
	v_mul_u64_e32 v[40:41], s[40:41], v[40:41]
	s_delay_alu instid0(VALU_DEP_4)
	v_mul_u64_e32 v[44:45], s[40:41], v[44:45]
	v_mul_u64_e32 v[46:47], s[40:41], v[46:47]
	v_dual_mov_b32 v9, v3 :: v_dual_bitop2_b32 v76, 32, v0 bitop3:0x54
	s_wait_kmcnt 0x0
	s_cmp_eq_u32 s10, 0
	v_dual_mov_b32 v11, v3 :: v_dual_bitop2_b32 v77, 64, v0 bitop3:0x54
	s_cselect_b32 s0, -1, 0
	s_lshl_b32 s91, s16, 5
	s_delay_alu instid0(SALU_CYCLE_1)
	v_dual_mov_b32 v17, v3 :: v_dual_add_nc_u32 v8, s91, v6
	v_mov_b32_e32 v19, v3
	v_or_b32_e32 v78, 0x60, v0
	v_or_b32_e32 v79, 0x80, v0
	;; [unrolled: 1-line block ×3, first 2 shown]
	v_dual_mov_b32 v25, v3 :: v_dual_add_nc_u32 v10, s91, v8
	v_or_b32_e32 v81, 0xc0, v0
	v_or_b32_e32 v82, 0xe0, v0
	v_cmp_gt_i32_e32 vcc_lo, s16, v0
	s_delay_alu instid0(VALU_DEP_4)
	v_add_nc_u32_e32 v12, s91, v10
	v_mul_u64_e32 v[24:25], s[40:41], v[24:25]
	v_cmp_gt_i32_e64 s1, s16, v76
	v_cmp_gt_i32_e64 s10, s16, v77
	v_cmp_gt_i32_e64 s11, s16, v78
	v_add_nc_u32_e32 v14, s91, v12
	v_cmp_gt_i32_e64 s12, s16, v79
	v_cmp_gt_i32_e64 s13, s16, v80
	v_dual_mov_b32 v29, v3 :: v_dual_add_nc_u32 v26, s91, v4
	s_delay_alu instid0(VALU_DEP_4) | instskip(SKIP_2) | instid1(VALU_DEP_4)
	v_add_nc_u32_e32 v16, s91, v14
	v_cmp_gt_i32_e64 s14, s16, v81
	v_cmp_gt_i32_e64 s15, s16, v82
	v_add_nc_u32_e32 v30, s91, v26
	v_mul_u64_e32 v[28:29], s[40:41], v[28:29]
	v_dual_mov_b32 v27, v3 :: v_dual_add_nc_u32 v18, s91, v16
	v_dual_mov_b32 v1, v3 :: v_dual_mov_b32 v7, v3
	s_delay_alu instid0(VALU_DEP_4) | instskip(SKIP_1) | instid1(VALU_DEP_2)
	v_dual_mov_b32 v35, v3 :: v_dual_add_nc_u32 v34, s91, v30
	v_dual_mov_b32 v37, v3 :: v_dual_mov_b32 v13, v3
	v_dual_mov_b32 v15, v3 :: v_dual_add_nc_u32 v38, s91, v34
	v_dual_mov_b32 v21, v3 :: v_dual_mov_b32 v5, v3
	s_delay_alu instid0(VALU_DEP_3) | instskip(NEXT) | instid1(VALU_DEP_3)
	v_mul_u64_e32 v[36:37], s[40:41], v[36:37]
	v_dual_mov_b32 v43, v3 :: v_dual_add_nc_u32 v42, s91, v38
	v_add_nc_u32_e32 v20, s91, v18
	v_lshlrev_b32_e32 v2, 3, v2
	s_and_b32 s17, s2, vcc_lo
	s_delay_alu instid0(VALU_DEP_3) | instskip(SKIP_3) | instid1(VALU_DEP_1)
	v_dual_mov_b32 v49, v3 :: v_dual_add_nc_u32 v48, s91, v42
	s_and_b32 s21, s2, s1
	s_and_b32 s23, s2, s10
	;; [unrolled: 1-line block ×3, first 2 shown]
	v_dual_mov_b32 v51, v3 :: v_dual_add_nc_u32 v50, s91, v48
	s_and_b32 s42, s2, s12
	s_and_b32 s43, s2, s13
	s_and_b32 s44, s2, s14
	s_and_b32 s45, s2, s15
	s_and_b32 s46, s3, vcc_lo
	s_and_b32 s47, s3, s1
	s_and_b32 s48, s3, s10
	s_and_b32 s49, s3, s11
	s_and_b32 s50, s3, s12
	s_and_b32 s51, s3, s13
	s_and_b32 s52, s3, s14
	s_and_b32 s53, s3, s15
	s_and_b32 s54, s4, vcc_lo
	s_and_b32 s55, s4, s1
	s_and_b32 s56, s4, s10
	s_and_b32 s57, s4, s11
	;; [unrolled: 8-line block ×7, first 2 shown]
	s_and_b32 s12, s9, s12
	s_and_b32 s13, s9, s13
	;; [unrolled: 1-line block ×4, first 2 shown]
	s_mov_b64 s[2:3], s[24:25]
	s_branch .LBB77_21
.LBB77_20:                              ;   in Loop: Header=BB77_21 Depth=1
	s_wait_xcnt 0x0
	s_or_b32 exec_lo, exec_lo, s4
	s_add_nc_u64 s[2:3], s[2:3], 1
	s_delay_alu instid0(SALU_CYCLE_1)
	v_cmp_ge_i64_e64 s4, s[2:3], s[26:27]
	s_and_b32 vcc_lo, exec_lo, s4
	s_cbranch_vccnz .LBB77_149
.LBB77_21:                              ; =>This Inner Loop Header: Depth=1
	s_sub_nc_u64 s[4:5], s[2:3], s[24:25]
	s_lshl_b64 s[6:7], s[2:3], 2
	v_add_nc_u64_e32 v[52:53], s[4:5], v[22:23]
	s_add_nc_u64 s[6:7], s[30:31], s[6:7]
	s_load_b32 s15, s[6:7], 0x0
	s_wait_xcnt 0x0
	s_mul_u64 s[6:7], s[2:3], s[18:19]
	s_delay_alu instid0(SALU_CYCLE_1) | instskip(NEXT) | instid1(VALU_DEP_1)
	s_lshl_b64 s[6:7], s[6:7], 3
	v_mad_nc_u64_u32 v[54:55], v52, s16, s[28:29]
	s_add_nc_u64 s[6:7], s[36:37], s[6:7]
	s_delay_alu instid0(SALU_CYCLE_1) | instskip(SKIP_1) | instid1(VALU_DEP_3)
	v_add_nc_u64_e32 v[56:57], s[6:7], v[2:3]
	v_lshl_add_u64 v[74:75], v[4:5], 3, s[6:7]
	v_mad_u32 v55, v53, s16, v55
	s_wait_kmcnt 0x0
	s_sub_co_i32 s15, s15, s22
	s_delay_alu instid0(SALU_CYCLE_1) | instskip(NEXT) | instid1(SALU_CYCLE_1)
	s_mul_i32 s15, s15, s16
	s_add_co_i32 s15, s15, s20
	s_delay_alu instid0(SALU_CYCLE_1) | instskip(NEXT) | instid1(VALU_DEP_2)
	v_add_nc_u32_e32 v83, s15, v0
	v_add_nc_u64_e32 v[52:53], v[54:55], v[0:1]
	v_lshl_add_u64 v[54:55], v[6:7], 3, v[56:57]
	s_delay_alu instid0(VALU_DEP_2)
	v_lshl_add_u64 v[70:71], v[52:53], 2, s[38:39]
	v_lshl_add_u64 v[72:73], v[52:53], 3, s[34:35]
	v_lshlrev_b32_e32 v52, 3, v0
	s_and_saveexec_b32 s92, s17
	s_cbranch_execz .LBB77_23
; %bb.22:                               ;   in Loop: Header=BB77_21 Depth=1
	v_mov_b32_e32 v53, v3
	s_delay_alu instid0(VALU_DEP_1) | instskip(NEXT) | instid1(VALU_DEP_1)
	v_add_nc_u64_e32 v[58:59], v[74:75], v[52:53]
	v_dual_cndmask_b32 v59, v55, v59, s0 :: v_dual_cndmask_b32 v58, v54, v58, s0
	global_load_b64 v[58:59], v[58:59], off
	global_store_b32 v[70:71], v83, off
	s_wait_loadcnt 0x0
	global_store_b64 v[72:73], v[58:59], off
.LBB77_23:                              ;   in Loop: Header=BB77_21 Depth=1
	s_wait_xcnt 0x0
	s_or_b32 exec_lo, exec_lo, s92
	v_add_nc_u32_e32 v84, s15, v76
	v_lshl_add_u64 v[68:69], v[8:9], 3, v[56:57]
	s_and_saveexec_b32 s92, s21
	s_cbranch_execz .LBB77_25
; %bb.24:                               ;   in Loop: Header=BB77_21 Depth=1
	v_mov_b32_e32 v53, v3
	s_delay_alu instid0(VALU_DEP_1) | instskip(NEXT) | instid1(VALU_DEP_1)
	v_add_nc_u64_e32 v[58:59], v[74:75], v[52:53]
	v_add_nc_u64_e32 v[58:59], 0x100, v[58:59]
	s_delay_alu instid0(VALU_DEP_1)
	v_dual_cndmask_b32 v59, v69, v59, s0 :: v_dual_cndmask_b32 v58, v68, v58, s0
	global_load_b64 v[58:59], v[58:59], off
	global_store_b32 v[70:71], v84, off offset:128
	s_wait_loadcnt 0x0
	global_store_b64 v[72:73], v[58:59], off offset:256
.LBB77_25:                              ;   in Loop: Header=BB77_21 Depth=1
	s_wait_xcnt 0x0
	s_or_b32 exec_lo, exec_lo, s92
	v_add_nc_u32_e32 v85, s15, v77
	v_lshl_add_u64 v[66:67], v[10:11], 3, v[56:57]
	s_and_saveexec_b32 s92, s23
	s_cbranch_execz .LBB77_27
; %bb.26:                               ;   in Loop: Header=BB77_21 Depth=1
	v_mov_b32_e32 v53, v3
	s_delay_alu instid0(VALU_DEP_1) | instskip(NEXT) | instid1(VALU_DEP_1)
	v_add_nc_u64_e32 v[58:59], v[74:75], v[52:53]
	v_add_nc_u64_e32 v[58:59], 0x200, v[58:59]
	s_delay_alu instid0(VALU_DEP_1)
	v_dual_cndmask_b32 v59, v67, v59, s0 :: v_dual_cndmask_b32 v58, v66, v58, s0
	global_load_b64 v[58:59], v[58:59], off
	global_store_b32 v[70:71], v85, off offset:256
	s_wait_loadcnt 0x0
	global_store_b64 v[72:73], v[58:59], off offset:512
.LBB77_27:                              ;   in Loop: Header=BB77_21 Depth=1
	;; [unrolled: 18-line block ×7, first 2 shown]
	s_wait_xcnt 0x0
	s_or_b32 exec_lo, exec_lo, s15
	v_add_nc_u64_e32 v[70:71], s[4:5], v[24:25]
	v_lshl_add_u64 v[74:75], v[26:27], 3, s[6:7]
	s_delay_alu instid0(VALU_DEP_2) | instskip(NEXT) | instid1(VALU_DEP_1)
	v_mad_nc_u64_u32 v[72:73], v70, s16, s[28:29]
	v_mad_u32 v73, v71, s16, v73
	s_delay_alu instid0(VALU_DEP_1) | instskip(NEXT) | instid1(VALU_DEP_1)
	v_add_nc_u64_e32 v[72:73], v[72:73], v[0:1]
	v_lshl_add_u64 v[70:71], v[72:73], 2, s[38:39]
	v_lshl_add_u64 v[72:73], v[72:73], 3, s[34:35]
	s_and_saveexec_b32 s15, s46
	s_cbranch_execnz .LBB77_99
; %bb.38:                               ;   in Loop: Header=BB77_21 Depth=1
	s_or_b32 exec_lo, exec_lo, s15
	s_and_saveexec_b32 s15, s47
	s_cbranch_execnz .LBB77_100
.LBB77_39:                              ;   in Loop: Header=BB77_21 Depth=1
	s_or_b32 exec_lo, exec_lo, s15
	s_and_saveexec_b32 s15, s48
	s_cbranch_execnz .LBB77_101
.LBB77_40:                              ;   in Loop: Header=BB77_21 Depth=1
	s_or_b32 exec_lo, exec_lo, s15
	s_and_saveexec_b32 s15, s49
	s_cbranch_execnz .LBB77_102
.LBB77_41:                              ;   in Loop: Header=BB77_21 Depth=1
	s_or_b32 exec_lo, exec_lo, s15
	s_and_saveexec_b32 s15, s50
	s_cbranch_execnz .LBB77_103
.LBB77_42:                              ;   in Loop: Header=BB77_21 Depth=1
	s_or_b32 exec_lo, exec_lo, s15
	s_and_saveexec_b32 s15, s51
	s_cbranch_execnz .LBB77_104
.LBB77_43:                              ;   in Loop: Header=BB77_21 Depth=1
	s_or_b32 exec_lo, exec_lo, s15
	s_and_saveexec_b32 s15, s52
	s_cbranch_execnz .LBB77_105
.LBB77_44:                              ;   in Loop: Header=BB77_21 Depth=1
	s_or_b32 exec_lo, exec_lo, s15
	s_and_saveexec_b32 s15, s53
	s_cbranch_execz .LBB77_46
.LBB77_45:                              ;   in Loop: Header=BB77_21 Depth=1
	v_add_nc_u64_e32 v[92:93], 0x100, v[56:57]
	v_mov_b32_e32 v53, v3
	s_delay_alu instid0(VALU_DEP_1) | instskip(NEXT) | instid1(VALU_DEP_1)
	v_add_nc_u64_e32 v[74:75], v[74:75], v[52:53]
	v_add_nc_u64_e32 v[74:75], 0x700, v[74:75]
	s_delay_alu instid0(VALU_DEP_1)
	v_dual_cndmask_b32 v75, v93, v75, s0 :: v_dual_cndmask_b32 v74, v92, v74, s0
	global_load_b64 v[74:75], v[74:75], off
	global_store_b32 v[70:71], v90, off offset:896
	s_wait_loadcnt 0x0
	global_store_b64 v[72:73], v[74:75], off offset:1792
.LBB77_46:                              ;   in Loop: Header=BB77_21 Depth=1
	s_wait_xcnt 0x0
	s_or_b32 exec_lo, exec_lo, s15
	v_add_nc_u64_e32 v[70:71], s[4:5], v[28:29]
	v_lshl_add_u64 v[74:75], v[30:31], 3, s[6:7]
	s_delay_alu instid0(VALU_DEP_2) | instskip(NEXT) | instid1(VALU_DEP_1)
	v_mad_nc_u64_u32 v[72:73], v70, s16, s[28:29]
	v_mad_u32 v73, v71, s16, v73
	s_delay_alu instid0(VALU_DEP_1) | instskip(NEXT) | instid1(VALU_DEP_1)
	v_add_nc_u64_e32 v[72:73], v[72:73], v[0:1]
	v_lshl_add_u64 v[70:71], v[72:73], 2, s[38:39]
	v_lshl_add_u64 v[72:73], v[72:73], 3, s[34:35]
	s_and_saveexec_b32 s15, s54
	s_cbranch_execnz .LBB77_106
; %bb.47:                               ;   in Loop: Header=BB77_21 Depth=1
	s_or_b32 exec_lo, exec_lo, s15
	s_and_saveexec_b32 s15, s55
	s_cbranch_execnz .LBB77_107
.LBB77_48:                              ;   in Loop: Header=BB77_21 Depth=1
	s_or_b32 exec_lo, exec_lo, s15
	s_and_saveexec_b32 s15, s56
	s_cbranch_execnz .LBB77_108
.LBB77_49:                              ;   in Loop: Header=BB77_21 Depth=1
	s_or_b32 exec_lo, exec_lo, s15
	s_and_saveexec_b32 s15, s57
	s_cbranch_execnz .LBB77_109
.LBB77_50:                              ;   in Loop: Header=BB77_21 Depth=1
	s_or_b32 exec_lo, exec_lo, s15
	s_and_saveexec_b32 s15, s58
	s_cbranch_execnz .LBB77_110
.LBB77_51:                              ;   in Loop: Header=BB77_21 Depth=1
	s_or_b32 exec_lo, exec_lo, s15
	s_and_saveexec_b32 s15, s59
	s_cbranch_execnz .LBB77_111
.LBB77_52:                              ;   in Loop: Header=BB77_21 Depth=1
	s_or_b32 exec_lo, exec_lo, s15
	s_and_saveexec_b32 s15, s60
	s_cbranch_execnz .LBB77_112
.LBB77_53:                              ;   in Loop: Header=BB77_21 Depth=1
	s_or_b32 exec_lo, exec_lo, s15
	s_and_saveexec_b32 s15, s61
	s_cbranch_execz .LBB77_55
.LBB77_54:                              ;   in Loop: Header=BB77_21 Depth=1
	v_add_nc_u64_e32 v[92:93], 0x200, v[56:57]
	v_mov_b32_e32 v53, v3
	s_delay_alu instid0(VALU_DEP_1) | instskip(NEXT) | instid1(VALU_DEP_1)
	v_add_nc_u64_e32 v[74:75], v[74:75], v[52:53]
	v_add_nc_u64_e32 v[74:75], 0x700, v[74:75]
	s_delay_alu instid0(VALU_DEP_1)
	v_dual_cndmask_b32 v75, v93, v75, s0 :: v_dual_cndmask_b32 v74, v92, v74, s0
	global_load_b64 v[74:75], v[74:75], off
	global_store_b32 v[70:71], v90, off offset:896
	s_wait_loadcnt 0x0
	global_store_b64 v[72:73], v[74:75], off offset:1792
.LBB77_55:                              ;   in Loop: Header=BB77_21 Depth=1
	s_wait_xcnt 0x0
	s_or_b32 exec_lo, exec_lo, s15
	v_add_nc_u64_e32 v[70:71], s[4:5], v[32:33]
	v_lshl_add_u64 v[74:75], v[34:35], 3, s[6:7]
	s_delay_alu instid0(VALU_DEP_2) | instskip(NEXT) | instid1(VALU_DEP_1)
	v_mad_nc_u64_u32 v[72:73], v70, s16, s[28:29]
	v_mad_u32 v73, v71, s16, v73
	s_delay_alu instid0(VALU_DEP_1) | instskip(NEXT) | instid1(VALU_DEP_1)
	v_add_nc_u64_e32 v[72:73], v[72:73], v[0:1]
	v_lshl_add_u64 v[70:71], v[72:73], 2, s[38:39]
	v_lshl_add_u64 v[72:73], v[72:73], 3, s[34:35]
	s_and_saveexec_b32 s15, s62
	s_cbranch_execnz .LBB77_113
; %bb.56:                               ;   in Loop: Header=BB77_21 Depth=1
	s_or_b32 exec_lo, exec_lo, s15
	s_and_saveexec_b32 s15, s63
	s_cbranch_execnz .LBB77_114
.LBB77_57:                              ;   in Loop: Header=BB77_21 Depth=1
	s_or_b32 exec_lo, exec_lo, s15
	s_and_saveexec_b32 s15, s64
	s_cbranch_execnz .LBB77_115
.LBB77_58:                              ;   in Loop: Header=BB77_21 Depth=1
	s_or_b32 exec_lo, exec_lo, s15
	s_and_saveexec_b32 s15, s65
	s_cbranch_execnz .LBB77_116
.LBB77_59:                              ;   in Loop: Header=BB77_21 Depth=1
	s_or_b32 exec_lo, exec_lo, s15
	s_and_saveexec_b32 s15, s66
	s_cbranch_execnz .LBB77_117
.LBB77_60:                              ;   in Loop: Header=BB77_21 Depth=1
	s_or_b32 exec_lo, exec_lo, s15
	s_and_saveexec_b32 s15, s67
	s_cbranch_execnz .LBB77_118
.LBB77_61:                              ;   in Loop: Header=BB77_21 Depth=1
	s_or_b32 exec_lo, exec_lo, s15
	s_and_saveexec_b32 s15, s68
	s_cbranch_execnz .LBB77_119
.LBB77_62:                              ;   in Loop: Header=BB77_21 Depth=1
	s_or_b32 exec_lo, exec_lo, s15
	s_and_saveexec_b32 s15, s69
	s_cbranch_execz .LBB77_64
.LBB77_63:                              ;   in Loop: Header=BB77_21 Depth=1
	v_add_nc_u64_e32 v[92:93], 0x300, v[56:57]
	v_mov_b32_e32 v53, v3
	s_delay_alu instid0(VALU_DEP_1) | instskip(NEXT) | instid1(VALU_DEP_1)
	v_add_nc_u64_e32 v[74:75], v[74:75], v[52:53]
	v_add_nc_u64_e32 v[74:75], 0x700, v[74:75]
	s_delay_alu instid0(VALU_DEP_1)
	v_dual_cndmask_b32 v75, v93, v75, s0 :: v_dual_cndmask_b32 v74, v92, v74, s0
	global_load_b64 v[74:75], v[74:75], off
	global_store_b32 v[70:71], v90, off offset:896
	s_wait_loadcnt 0x0
	global_store_b64 v[72:73], v[74:75], off offset:1792
.LBB77_64:                              ;   in Loop: Header=BB77_21 Depth=1
	s_wait_xcnt 0x0
	s_or_b32 exec_lo, exec_lo, s15
	v_add_nc_u64_e32 v[70:71], s[4:5], v[36:37]
	v_lshl_add_u64 v[74:75], v[38:39], 3, s[6:7]
	s_delay_alu instid0(VALU_DEP_2) | instskip(NEXT) | instid1(VALU_DEP_1)
	v_mad_nc_u64_u32 v[72:73], v70, s16, s[28:29]
	v_mad_u32 v73, v71, s16, v73
	s_delay_alu instid0(VALU_DEP_1) | instskip(NEXT) | instid1(VALU_DEP_1)
	v_add_nc_u64_e32 v[72:73], v[72:73], v[0:1]
	v_lshl_add_u64 v[70:71], v[72:73], 2, s[38:39]
	v_lshl_add_u64 v[72:73], v[72:73], 3, s[34:35]
	s_and_saveexec_b32 s15, s70
	s_cbranch_execnz .LBB77_120
; %bb.65:                               ;   in Loop: Header=BB77_21 Depth=1
	s_or_b32 exec_lo, exec_lo, s15
	s_and_saveexec_b32 s15, s71
	s_cbranch_execnz .LBB77_121
.LBB77_66:                              ;   in Loop: Header=BB77_21 Depth=1
	s_or_b32 exec_lo, exec_lo, s15
	s_and_saveexec_b32 s15, s72
	s_cbranch_execnz .LBB77_122
.LBB77_67:                              ;   in Loop: Header=BB77_21 Depth=1
	s_or_b32 exec_lo, exec_lo, s15
	s_and_saveexec_b32 s15, s73
	s_cbranch_execnz .LBB77_123
.LBB77_68:                              ;   in Loop: Header=BB77_21 Depth=1
	s_or_b32 exec_lo, exec_lo, s15
	s_and_saveexec_b32 s15, s74
	s_cbranch_execnz .LBB77_124
.LBB77_69:                              ;   in Loop: Header=BB77_21 Depth=1
	s_or_b32 exec_lo, exec_lo, s15
	s_and_saveexec_b32 s15, s75
	s_cbranch_execnz .LBB77_125
.LBB77_70:                              ;   in Loop: Header=BB77_21 Depth=1
	s_or_b32 exec_lo, exec_lo, s15
	s_and_saveexec_b32 s15, s76
	s_cbranch_execnz .LBB77_126
.LBB77_71:                              ;   in Loop: Header=BB77_21 Depth=1
	s_or_b32 exec_lo, exec_lo, s15
	s_and_saveexec_b32 s15, s8
	s_cbranch_execz .LBB77_73
.LBB77_72:                              ;   in Loop: Header=BB77_21 Depth=1
	v_add_nc_u64_e32 v[92:93], 0x400, v[56:57]
	v_mov_b32_e32 v53, v3
	s_delay_alu instid0(VALU_DEP_1) | instskip(NEXT) | instid1(VALU_DEP_1)
	v_add_nc_u64_e32 v[74:75], v[74:75], v[52:53]
	v_add_nc_u64_e32 v[74:75], 0x700, v[74:75]
	s_delay_alu instid0(VALU_DEP_1)
	v_dual_cndmask_b32 v75, v93, v75, s0 :: v_dual_cndmask_b32 v74, v92, v74, s0
	global_load_b64 v[74:75], v[74:75], off
	global_store_b32 v[70:71], v90, off offset:896
	s_wait_loadcnt 0x0
	global_store_b64 v[72:73], v[74:75], off offset:1792
.LBB77_73:                              ;   in Loop: Header=BB77_21 Depth=1
	s_wait_xcnt 0x0
	s_or_b32 exec_lo, exec_lo, s15
	v_add_nc_u64_e32 v[70:71], s[4:5], v[40:41]
	v_lshl_add_u64 v[74:75], v[42:43], 3, s[6:7]
	s_delay_alu instid0(VALU_DEP_2) | instskip(NEXT) | instid1(VALU_DEP_1)
	v_mad_nc_u64_u32 v[72:73], v70, s16, s[28:29]
	v_mad_u32 v73, v71, s16, v73
	s_delay_alu instid0(VALU_DEP_1) | instskip(NEXT) | instid1(VALU_DEP_1)
	v_add_nc_u64_e32 v[72:73], v[72:73], v[0:1]
	v_lshl_add_u64 v[70:71], v[72:73], 2, s[38:39]
	v_lshl_add_u64 v[72:73], v[72:73], 3, s[34:35]
	s_and_saveexec_b32 s15, s40
	s_cbranch_execnz .LBB77_127
; %bb.74:                               ;   in Loop: Header=BB77_21 Depth=1
	s_or_b32 exec_lo, exec_lo, s15
	s_and_saveexec_b32 s15, s41
	s_cbranch_execnz .LBB77_128
.LBB77_75:                              ;   in Loop: Header=BB77_21 Depth=1
	s_or_b32 exec_lo, exec_lo, s15
	s_and_saveexec_b32 s15, s77
	s_cbranch_execnz .LBB77_129
.LBB77_76:                              ;   in Loop: Header=BB77_21 Depth=1
	s_or_b32 exec_lo, exec_lo, s15
	s_and_saveexec_b32 s15, s78
	s_cbranch_execnz .LBB77_130
.LBB77_77:                              ;   in Loop: Header=BB77_21 Depth=1
	s_or_b32 exec_lo, exec_lo, s15
	s_and_saveexec_b32 s15, s79
	s_cbranch_execnz .LBB77_131
.LBB77_78:                              ;   in Loop: Header=BB77_21 Depth=1
	s_or_b32 exec_lo, exec_lo, s15
	s_and_saveexec_b32 s15, s80
	s_cbranch_execnz .LBB77_132
.LBB77_79:                              ;   in Loop: Header=BB77_21 Depth=1
	s_or_b32 exec_lo, exec_lo, s15
	s_and_saveexec_b32 s15, s81
	s_cbranch_execnz .LBB77_133
.LBB77_80:                              ;   in Loop: Header=BB77_21 Depth=1
	s_or_b32 exec_lo, exec_lo, s15
	s_and_saveexec_b32 s15, s82
	s_cbranch_execz .LBB77_82
.LBB77_81:                              ;   in Loop: Header=BB77_21 Depth=1
	v_add_nc_u64_e32 v[92:93], 0x500, v[56:57]
	v_mov_b32_e32 v53, v3
	s_delay_alu instid0(VALU_DEP_1) | instskip(NEXT) | instid1(VALU_DEP_1)
	v_add_nc_u64_e32 v[74:75], v[74:75], v[52:53]
	v_add_nc_u64_e32 v[74:75], 0x700, v[74:75]
	s_delay_alu instid0(VALU_DEP_1)
	v_dual_cndmask_b32 v75, v93, v75, s0 :: v_dual_cndmask_b32 v74, v92, v74, s0
	global_load_b64 v[74:75], v[74:75], off
	global_store_b32 v[70:71], v90, off offset:896
	s_wait_loadcnt 0x0
	global_store_b64 v[72:73], v[74:75], off offset:1792
.LBB77_82:                              ;   in Loop: Header=BB77_21 Depth=1
	s_wait_xcnt 0x0
	s_or_b32 exec_lo, exec_lo, s15
	v_add_nc_u64_e32 v[70:71], s[4:5], v[44:45]
	v_lshl_add_u64 v[74:75], v[48:49], 3, s[6:7]
	s_delay_alu instid0(VALU_DEP_2) | instskip(NEXT) | instid1(VALU_DEP_1)
	v_mad_nc_u64_u32 v[72:73], v70, s16, s[28:29]
	v_mad_u32 v73, v71, s16, v73
	s_delay_alu instid0(VALU_DEP_1) | instskip(NEXT) | instid1(VALU_DEP_1)
	v_add_nc_u64_e32 v[72:73], v[72:73], v[0:1]
	v_lshl_add_u64 v[70:71], v[72:73], 2, s[38:39]
	v_lshl_add_u64 v[72:73], v[72:73], 3, s[34:35]
	s_and_saveexec_b32 s15, s83
	s_cbranch_execnz .LBB77_134
; %bb.83:                               ;   in Loop: Header=BB77_21 Depth=1
	s_or_b32 exec_lo, exec_lo, s15
	s_and_saveexec_b32 s15, s84
	s_cbranch_execnz .LBB77_135
.LBB77_84:                              ;   in Loop: Header=BB77_21 Depth=1
	s_or_b32 exec_lo, exec_lo, s15
	s_and_saveexec_b32 s15, s85
	s_cbranch_execnz .LBB77_136
.LBB77_85:                              ;   in Loop: Header=BB77_21 Depth=1
	s_or_b32 exec_lo, exec_lo, s15
	s_and_saveexec_b32 s15, s86
	s_cbranch_execnz .LBB77_137
.LBB77_86:                              ;   in Loop: Header=BB77_21 Depth=1
	s_or_b32 exec_lo, exec_lo, s15
	s_and_saveexec_b32 s15, s87
	s_cbranch_execnz .LBB77_138
.LBB77_87:                              ;   in Loop: Header=BB77_21 Depth=1
	s_or_b32 exec_lo, exec_lo, s15
	s_and_saveexec_b32 s15, s88
	s_cbranch_execnz .LBB77_139
.LBB77_88:                              ;   in Loop: Header=BB77_21 Depth=1
	s_or_b32 exec_lo, exec_lo, s15
	s_and_saveexec_b32 s15, s89
	s_cbranch_execnz .LBB77_140
.LBB77_89:                              ;   in Loop: Header=BB77_21 Depth=1
	s_or_b32 exec_lo, exec_lo, s15
	s_and_saveexec_b32 s15, s90
	s_cbranch_execz .LBB77_91
.LBB77_90:                              ;   in Loop: Header=BB77_21 Depth=1
	v_add_nc_u64_e32 v[92:93], 0x600, v[56:57]
	v_mov_b32_e32 v53, v3
	s_delay_alu instid0(VALU_DEP_1) | instskip(NEXT) | instid1(VALU_DEP_1)
	v_add_nc_u64_e32 v[74:75], v[74:75], v[52:53]
	v_add_nc_u64_e32 v[74:75], 0x700, v[74:75]
	s_delay_alu instid0(VALU_DEP_1)
	v_dual_cndmask_b32 v75, v93, v75, s0 :: v_dual_cndmask_b32 v74, v92, v74, s0
	global_load_b64 v[74:75], v[74:75], off
	global_store_b32 v[70:71], v90, off offset:896
	s_wait_loadcnt 0x0
	global_store_b64 v[72:73], v[74:75], off offset:1792
.LBB77_91:                              ;   in Loop: Header=BB77_21 Depth=1
	s_wait_xcnt 0x0
	s_or_b32 exec_lo, exec_lo, s15
	v_add_nc_u64_e32 v[70:71], s[4:5], v[46:47]
	v_lshl_add_u64 v[74:75], v[50:51], 3, s[6:7]
	s_delay_alu instid0(VALU_DEP_2) | instskip(NEXT) | instid1(VALU_DEP_1)
	v_mad_nc_u64_u32 v[72:73], v70, s16, s[28:29]
	v_mad_u32 v73, v71, s16, v73
	s_delay_alu instid0(VALU_DEP_1) | instskip(NEXT) | instid1(VALU_DEP_1)
	v_add_nc_u64_e32 v[72:73], v[72:73], v[0:1]
	v_lshl_add_u64 v[70:71], v[72:73], 2, s[38:39]
	v_lshl_add_u64 v[72:73], v[72:73], 3, s[34:35]
	s_and_saveexec_b32 s4, s91
	s_cbranch_execnz .LBB77_141
; %bb.92:                               ;   in Loop: Header=BB77_21 Depth=1
	s_or_b32 exec_lo, exec_lo, s4
	s_and_saveexec_b32 s4, s1
	s_cbranch_execnz .LBB77_142
.LBB77_93:                              ;   in Loop: Header=BB77_21 Depth=1
	s_or_b32 exec_lo, exec_lo, s4
	s_and_saveexec_b32 s4, s10
	s_cbranch_execnz .LBB77_143
.LBB77_94:                              ;   in Loop: Header=BB77_21 Depth=1
	s_or_b32 exec_lo, exec_lo, s4
	s_and_saveexec_b32 s4, s11
	s_cbranch_execnz .LBB77_144
.LBB77_95:                              ;   in Loop: Header=BB77_21 Depth=1
	s_or_b32 exec_lo, exec_lo, s4
	s_and_saveexec_b32 s4, s12
	s_cbranch_execnz .LBB77_145
.LBB77_96:                              ;   in Loop: Header=BB77_21 Depth=1
	s_or_b32 exec_lo, exec_lo, s4
	s_and_saveexec_b32 s4, s13
	s_cbranch_execnz .LBB77_146
.LBB77_97:                              ;   in Loop: Header=BB77_21 Depth=1
	s_or_b32 exec_lo, exec_lo, s4
	s_and_saveexec_b32 s4, s14
	s_cbranch_execnz .LBB77_147
.LBB77_98:                              ;   in Loop: Header=BB77_21 Depth=1
	s_or_b32 exec_lo, exec_lo, s4
	s_and_saveexec_b32 s4, s9
	s_cbranch_execz .LBB77_20
	s_branch .LBB77_148
.LBB77_99:                              ;   in Loop: Header=BB77_21 Depth=1
	v_add_nc_u64_e32 v[92:93], 0x100, v[54:55]
	v_mov_b32_e32 v53, v3
	s_delay_alu instid0(VALU_DEP_1) | instskip(NEXT) | instid1(VALU_DEP_1)
	v_add_nc_u64_e32 v[94:95], v[74:75], v[52:53]
	v_dual_cndmask_b32 v93, v93, v95, s0 :: v_dual_cndmask_b32 v92, v92, v94, s0
	global_load_b64 v[92:93], v[92:93], off
	global_store_b32 v[70:71], v83, off
	s_wait_loadcnt 0x0
	global_store_b64 v[72:73], v[92:93], off
	s_wait_xcnt 0x0
	s_or_b32 exec_lo, exec_lo, s15
	s_and_saveexec_b32 s15, s47
	s_cbranch_execz .LBB77_39
.LBB77_100:                             ;   in Loop: Header=BB77_21 Depth=1
	v_mov_b32_e32 v53, v3
	s_delay_alu instid0(VALU_DEP_1) | instskip(NEXT) | instid1(VALU_DEP_1)
	v_add_nc_u64_e32 v[92:93], v[74:75], v[52:53]
	v_dual_cndmask_b32 v93, v69, v93, s0 :: v_dual_cndmask_b32 v92, v68, v92, s0
	global_load_b64 v[92:93], v[92:93], off offset:256
	global_store_b32 v[70:71], v84, off offset:128
	s_wait_loadcnt 0x0
	global_store_b64 v[72:73], v[92:93], off offset:256
	s_wait_xcnt 0x0
	s_or_b32 exec_lo, exec_lo, s15
	s_and_saveexec_b32 s15, s48
	s_cbranch_execz .LBB77_40
.LBB77_101:                             ;   in Loop: Header=BB77_21 Depth=1
	v_add_nc_u64_e32 v[94:95], 0x100, v[66:67]
	v_mov_b32_e32 v53, v3
	s_delay_alu instid0(VALU_DEP_1) | instskip(NEXT) | instid1(VALU_DEP_1)
	v_add_nc_u64_e32 v[92:93], v[74:75], v[52:53]
	v_add_nc_u64_e32 v[92:93], 0x200, v[92:93]
	s_delay_alu instid0(VALU_DEP_1)
	v_dual_cndmask_b32 v93, v95, v93, s0 :: v_dual_cndmask_b32 v92, v94, v92, s0
	global_load_b64 v[92:93], v[92:93], off
	global_store_b32 v[70:71], v85, off offset:256
	s_wait_loadcnt 0x0
	global_store_b64 v[72:73], v[92:93], off offset:512
	s_wait_xcnt 0x0
	s_or_b32 exec_lo, exec_lo, s15
	s_and_saveexec_b32 s15, s49
	s_cbranch_execz .LBB77_41
.LBB77_102:                             ;   in Loop: Header=BB77_21 Depth=1
	v_add_nc_u64_e32 v[94:95], 0x100, v[64:65]
	v_mov_b32_e32 v53, v3
	s_delay_alu instid0(VALU_DEP_1) | instskip(NEXT) | instid1(VALU_DEP_1)
	v_add_nc_u64_e32 v[92:93], v[74:75], v[52:53]
	v_add_nc_u64_e32 v[92:93], 0x300, v[92:93]
	s_delay_alu instid0(VALU_DEP_1)
	v_dual_cndmask_b32 v93, v95, v93, s0 :: v_dual_cndmask_b32 v92, v94, v92, s0
	global_load_b64 v[92:93], v[92:93], off
	global_store_b32 v[70:71], v86, off offset:384
	s_wait_loadcnt 0x0
	global_store_b64 v[72:73], v[92:93], off offset:768
	s_wait_xcnt 0x0
	s_or_b32 exec_lo, exec_lo, s15
	s_and_saveexec_b32 s15, s50
	s_cbranch_execz .LBB77_42
.LBB77_103:                             ;   in Loop: Header=BB77_21 Depth=1
	v_add_nc_u64_e32 v[94:95], 0x100, v[62:63]
	v_mov_b32_e32 v53, v3
	s_delay_alu instid0(VALU_DEP_1) | instskip(NEXT) | instid1(VALU_DEP_1)
	v_add_nc_u64_e32 v[92:93], v[74:75], v[52:53]
	v_add_nc_u64_e32 v[92:93], 0x400, v[92:93]
	s_delay_alu instid0(VALU_DEP_1)
	v_dual_cndmask_b32 v93, v95, v93, s0 :: v_dual_cndmask_b32 v92, v94, v92, s0
	global_load_b64 v[92:93], v[92:93], off
	global_store_b32 v[70:71], v87, off offset:512
	s_wait_loadcnt 0x0
	global_store_b64 v[72:73], v[92:93], off offset:1024
	s_wait_xcnt 0x0
	s_or_b32 exec_lo, exec_lo, s15
	s_and_saveexec_b32 s15, s51
	s_cbranch_execz .LBB77_43
.LBB77_104:                             ;   in Loop: Header=BB77_21 Depth=1
	v_add_nc_u64_e32 v[94:95], 0x100, v[60:61]
	v_mov_b32_e32 v53, v3
	s_delay_alu instid0(VALU_DEP_1) | instskip(NEXT) | instid1(VALU_DEP_1)
	v_add_nc_u64_e32 v[92:93], v[74:75], v[52:53]
	v_add_nc_u64_e32 v[92:93], 0x500, v[92:93]
	s_delay_alu instid0(VALU_DEP_1)
	v_dual_cndmask_b32 v93, v95, v93, s0 :: v_dual_cndmask_b32 v92, v94, v92, s0
	global_load_b64 v[92:93], v[92:93], off
	global_store_b32 v[70:71], v88, off offset:640
	s_wait_loadcnt 0x0
	global_store_b64 v[72:73], v[92:93], off offset:1280
	s_wait_xcnt 0x0
	s_or_b32 exec_lo, exec_lo, s15
	s_and_saveexec_b32 s15, s52
	s_cbranch_execz .LBB77_44
.LBB77_105:                             ;   in Loop: Header=BB77_21 Depth=1
	v_add_nc_u64_e32 v[94:95], 0x100, v[58:59]
	v_mov_b32_e32 v53, v3
	s_delay_alu instid0(VALU_DEP_1) | instskip(NEXT) | instid1(VALU_DEP_1)
	v_add_nc_u64_e32 v[92:93], v[74:75], v[52:53]
	v_add_nc_u64_e32 v[92:93], 0x600, v[92:93]
	s_delay_alu instid0(VALU_DEP_1)
	v_dual_cndmask_b32 v93, v95, v93, s0 :: v_dual_cndmask_b32 v92, v94, v92, s0
	global_load_b64 v[92:93], v[92:93], off
	global_store_b32 v[70:71], v89, off offset:768
	s_wait_loadcnt 0x0
	global_store_b64 v[72:73], v[92:93], off offset:1536
	s_wait_xcnt 0x0
	s_or_b32 exec_lo, exec_lo, s15
	s_and_saveexec_b32 s15, s53
	s_cbranch_execnz .LBB77_45
	s_branch .LBB77_46
.LBB77_106:                             ;   in Loop: Header=BB77_21 Depth=1
	v_add_nc_u64_e32 v[92:93], 0x200, v[54:55]
	v_mov_b32_e32 v53, v3
	s_delay_alu instid0(VALU_DEP_1) | instskip(NEXT) | instid1(VALU_DEP_1)
	v_add_nc_u64_e32 v[94:95], v[74:75], v[52:53]
	v_dual_cndmask_b32 v93, v93, v95, s0 :: v_dual_cndmask_b32 v92, v92, v94, s0
	global_load_b64 v[92:93], v[92:93], off
	global_store_b32 v[70:71], v83, off
	s_wait_loadcnt 0x0
	global_store_b64 v[72:73], v[92:93], off
	s_wait_xcnt 0x0
	s_or_b32 exec_lo, exec_lo, s15
	s_and_saveexec_b32 s15, s55
	s_cbranch_execz .LBB77_48
.LBB77_107:                             ;   in Loop: Header=BB77_21 Depth=1
	v_add_nc_u64_e32 v[94:95], 0x200, v[68:69]
	v_mov_b32_e32 v53, v3
	s_delay_alu instid0(VALU_DEP_1) | instskip(NEXT) | instid1(VALU_DEP_1)
	v_add_nc_u64_e32 v[92:93], v[74:75], v[52:53]
	v_add_nc_u64_e32 v[92:93], 0x100, v[92:93]
	s_delay_alu instid0(VALU_DEP_1)
	v_dual_cndmask_b32 v93, v95, v93, s0 :: v_dual_cndmask_b32 v92, v94, v92, s0
	global_load_b64 v[92:93], v[92:93], off
	global_store_b32 v[70:71], v84, off offset:128
	s_wait_loadcnt 0x0
	global_store_b64 v[72:73], v[92:93], off offset:256
	s_wait_xcnt 0x0
	s_or_b32 exec_lo, exec_lo, s15
	s_and_saveexec_b32 s15, s56
	s_cbranch_execz .LBB77_49
.LBB77_108:                             ;   in Loop: Header=BB77_21 Depth=1
	v_mov_b32_e32 v53, v3
	s_delay_alu instid0(VALU_DEP_1) | instskip(NEXT) | instid1(VALU_DEP_1)
	v_add_nc_u64_e32 v[92:93], v[74:75], v[52:53]
	v_dual_cndmask_b32 v93, v67, v93, s0 :: v_dual_cndmask_b32 v92, v66, v92, s0
	global_load_b64 v[92:93], v[92:93], off offset:512
	global_store_b32 v[70:71], v85, off offset:256
	s_wait_loadcnt 0x0
	global_store_b64 v[72:73], v[92:93], off offset:512
	s_wait_xcnt 0x0
	s_or_b32 exec_lo, exec_lo, s15
	s_and_saveexec_b32 s15, s57
	s_cbranch_execz .LBB77_50
.LBB77_109:                             ;   in Loop: Header=BB77_21 Depth=1
	v_add_nc_u64_e32 v[94:95], 0x200, v[64:65]
	v_mov_b32_e32 v53, v3
	s_delay_alu instid0(VALU_DEP_1) | instskip(NEXT) | instid1(VALU_DEP_1)
	v_add_nc_u64_e32 v[92:93], v[74:75], v[52:53]
	v_add_nc_u64_e32 v[92:93], 0x300, v[92:93]
	s_delay_alu instid0(VALU_DEP_1)
	v_dual_cndmask_b32 v93, v95, v93, s0 :: v_dual_cndmask_b32 v92, v94, v92, s0
	global_load_b64 v[92:93], v[92:93], off
	global_store_b32 v[70:71], v86, off offset:384
	s_wait_loadcnt 0x0
	global_store_b64 v[72:73], v[92:93], off offset:768
	s_wait_xcnt 0x0
	s_or_b32 exec_lo, exec_lo, s15
	s_and_saveexec_b32 s15, s58
	s_cbranch_execz .LBB77_51
.LBB77_110:                             ;   in Loop: Header=BB77_21 Depth=1
	v_add_nc_u64_e32 v[94:95], 0x200, v[62:63]
	v_mov_b32_e32 v53, v3
	s_delay_alu instid0(VALU_DEP_1) | instskip(NEXT) | instid1(VALU_DEP_1)
	v_add_nc_u64_e32 v[92:93], v[74:75], v[52:53]
	v_add_nc_u64_e32 v[92:93], 0x400, v[92:93]
	s_delay_alu instid0(VALU_DEP_1)
	v_dual_cndmask_b32 v93, v95, v93, s0 :: v_dual_cndmask_b32 v92, v94, v92, s0
	global_load_b64 v[92:93], v[92:93], off
	global_store_b32 v[70:71], v87, off offset:512
	s_wait_loadcnt 0x0
	global_store_b64 v[72:73], v[92:93], off offset:1024
	s_wait_xcnt 0x0
	s_or_b32 exec_lo, exec_lo, s15
	s_and_saveexec_b32 s15, s59
	s_cbranch_execz .LBB77_52
.LBB77_111:                             ;   in Loop: Header=BB77_21 Depth=1
	v_add_nc_u64_e32 v[94:95], 0x200, v[60:61]
	v_mov_b32_e32 v53, v3
	s_delay_alu instid0(VALU_DEP_1) | instskip(NEXT) | instid1(VALU_DEP_1)
	v_add_nc_u64_e32 v[92:93], v[74:75], v[52:53]
	v_add_nc_u64_e32 v[92:93], 0x500, v[92:93]
	s_delay_alu instid0(VALU_DEP_1)
	v_dual_cndmask_b32 v93, v95, v93, s0 :: v_dual_cndmask_b32 v92, v94, v92, s0
	global_load_b64 v[92:93], v[92:93], off
	global_store_b32 v[70:71], v88, off offset:640
	s_wait_loadcnt 0x0
	global_store_b64 v[72:73], v[92:93], off offset:1280
	s_wait_xcnt 0x0
	s_or_b32 exec_lo, exec_lo, s15
	s_and_saveexec_b32 s15, s60
	s_cbranch_execz .LBB77_53
.LBB77_112:                             ;   in Loop: Header=BB77_21 Depth=1
	v_add_nc_u64_e32 v[94:95], 0x200, v[58:59]
	v_mov_b32_e32 v53, v3
	s_delay_alu instid0(VALU_DEP_1) | instskip(NEXT) | instid1(VALU_DEP_1)
	v_add_nc_u64_e32 v[92:93], v[74:75], v[52:53]
	v_add_nc_u64_e32 v[92:93], 0x600, v[92:93]
	s_delay_alu instid0(VALU_DEP_1)
	v_dual_cndmask_b32 v93, v95, v93, s0 :: v_dual_cndmask_b32 v92, v94, v92, s0
	global_load_b64 v[92:93], v[92:93], off
	global_store_b32 v[70:71], v89, off offset:768
	s_wait_loadcnt 0x0
	global_store_b64 v[72:73], v[92:93], off offset:1536
	s_wait_xcnt 0x0
	s_or_b32 exec_lo, exec_lo, s15
	s_and_saveexec_b32 s15, s61
	s_cbranch_execnz .LBB77_54
	s_branch .LBB77_55
.LBB77_113:                             ;   in Loop: Header=BB77_21 Depth=1
	v_add_nc_u64_e32 v[92:93], 0x300, v[54:55]
	v_mov_b32_e32 v53, v3
	s_delay_alu instid0(VALU_DEP_1) | instskip(NEXT) | instid1(VALU_DEP_1)
	v_add_nc_u64_e32 v[94:95], v[74:75], v[52:53]
	v_dual_cndmask_b32 v93, v93, v95, s0 :: v_dual_cndmask_b32 v92, v92, v94, s0
	global_load_b64 v[92:93], v[92:93], off
	global_store_b32 v[70:71], v83, off
	s_wait_loadcnt 0x0
	global_store_b64 v[72:73], v[92:93], off
	s_wait_xcnt 0x0
	s_or_b32 exec_lo, exec_lo, s15
	s_and_saveexec_b32 s15, s63
	s_cbranch_execz .LBB77_57
.LBB77_114:                             ;   in Loop: Header=BB77_21 Depth=1
	v_add_nc_u64_e32 v[94:95], 0x300, v[68:69]
	v_mov_b32_e32 v53, v3
	s_delay_alu instid0(VALU_DEP_1) | instskip(NEXT) | instid1(VALU_DEP_1)
	v_add_nc_u64_e32 v[92:93], v[74:75], v[52:53]
	v_add_nc_u64_e32 v[92:93], 0x100, v[92:93]
	s_delay_alu instid0(VALU_DEP_1)
	v_dual_cndmask_b32 v93, v95, v93, s0 :: v_dual_cndmask_b32 v92, v94, v92, s0
	global_load_b64 v[92:93], v[92:93], off
	global_store_b32 v[70:71], v84, off offset:128
	s_wait_loadcnt 0x0
	global_store_b64 v[72:73], v[92:93], off offset:256
	s_wait_xcnt 0x0
	s_or_b32 exec_lo, exec_lo, s15
	s_and_saveexec_b32 s15, s64
	s_cbranch_execz .LBB77_58
.LBB77_115:                             ;   in Loop: Header=BB77_21 Depth=1
	v_add_nc_u64_e32 v[94:95], 0x300, v[66:67]
	v_mov_b32_e32 v53, v3
	s_delay_alu instid0(VALU_DEP_1) | instskip(NEXT) | instid1(VALU_DEP_1)
	v_add_nc_u64_e32 v[92:93], v[74:75], v[52:53]
	v_add_nc_u64_e32 v[92:93], 0x200, v[92:93]
	s_delay_alu instid0(VALU_DEP_1)
	v_dual_cndmask_b32 v93, v95, v93, s0 :: v_dual_cndmask_b32 v92, v94, v92, s0
	global_load_b64 v[92:93], v[92:93], off
	global_store_b32 v[70:71], v85, off offset:256
	s_wait_loadcnt 0x0
	global_store_b64 v[72:73], v[92:93], off offset:512
	s_wait_xcnt 0x0
	s_or_b32 exec_lo, exec_lo, s15
	s_and_saveexec_b32 s15, s65
	s_cbranch_execz .LBB77_59
.LBB77_116:                             ;   in Loop: Header=BB77_21 Depth=1
	v_mov_b32_e32 v53, v3
	s_delay_alu instid0(VALU_DEP_1) | instskip(NEXT) | instid1(VALU_DEP_1)
	v_add_nc_u64_e32 v[92:93], v[74:75], v[52:53]
	v_dual_cndmask_b32 v93, v65, v93, s0 :: v_dual_cndmask_b32 v92, v64, v92, s0
	global_load_b64 v[92:93], v[92:93], off offset:768
	global_store_b32 v[70:71], v86, off offset:384
	s_wait_loadcnt 0x0
	global_store_b64 v[72:73], v[92:93], off offset:768
	s_wait_xcnt 0x0
	s_or_b32 exec_lo, exec_lo, s15
	s_and_saveexec_b32 s15, s66
	s_cbranch_execz .LBB77_60
.LBB77_117:                             ;   in Loop: Header=BB77_21 Depth=1
	v_add_nc_u64_e32 v[94:95], 0x300, v[62:63]
	v_mov_b32_e32 v53, v3
	s_delay_alu instid0(VALU_DEP_1) | instskip(NEXT) | instid1(VALU_DEP_1)
	v_add_nc_u64_e32 v[92:93], v[74:75], v[52:53]
	v_add_nc_u64_e32 v[92:93], 0x400, v[92:93]
	s_delay_alu instid0(VALU_DEP_1)
	v_dual_cndmask_b32 v93, v95, v93, s0 :: v_dual_cndmask_b32 v92, v94, v92, s0
	global_load_b64 v[92:93], v[92:93], off
	global_store_b32 v[70:71], v87, off offset:512
	s_wait_loadcnt 0x0
	global_store_b64 v[72:73], v[92:93], off offset:1024
	s_wait_xcnt 0x0
	s_or_b32 exec_lo, exec_lo, s15
	s_and_saveexec_b32 s15, s67
	s_cbranch_execz .LBB77_61
.LBB77_118:                             ;   in Loop: Header=BB77_21 Depth=1
	v_add_nc_u64_e32 v[94:95], 0x300, v[60:61]
	v_mov_b32_e32 v53, v3
	s_delay_alu instid0(VALU_DEP_1) | instskip(NEXT) | instid1(VALU_DEP_1)
	v_add_nc_u64_e32 v[92:93], v[74:75], v[52:53]
	v_add_nc_u64_e32 v[92:93], 0x500, v[92:93]
	s_delay_alu instid0(VALU_DEP_1)
	v_dual_cndmask_b32 v93, v95, v93, s0 :: v_dual_cndmask_b32 v92, v94, v92, s0
	global_load_b64 v[92:93], v[92:93], off
	global_store_b32 v[70:71], v88, off offset:640
	s_wait_loadcnt 0x0
	global_store_b64 v[72:73], v[92:93], off offset:1280
	s_wait_xcnt 0x0
	s_or_b32 exec_lo, exec_lo, s15
	s_and_saveexec_b32 s15, s68
	s_cbranch_execz .LBB77_62
.LBB77_119:                             ;   in Loop: Header=BB77_21 Depth=1
	v_add_nc_u64_e32 v[94:95], 0x300, v[58:59]
	v_mov_b32_e32 v53, v3
	s_delay_alu instid0(VALU_DEP_1) | instskip(NEXT) | instid1(VALU_DEP_1)
	v_add_nc_u64_e32 v[92:93], v[74:75], v[52:53]
	v_add_nc_u64_e32 v[92:93], 0x600, v[92:93]
	s_delay_alu instid0(VALU_DEP_1)
	v_dual_cndmask_b32 v93, v95, v93, s0 :: v_dual_cndmask_b32 v92, v94, v92, s0
	global_load_b64 v[92:93], v[92:93], off
	global_store_b32 v[70:71], v89, off offset:768
	s_wait_loadcnt 0x0
	global_store_b64 v[72:73], v[92:93], off offset:1536
	s_wait_xcnt 0x0
	s_or_b32 exec_lo, exec_lo, s15
	s_and_saveexec_b32 s15, s69
	s_cbranch_execnz .LBB77_63
	s_branch .LBB77_64
.LBB77_120:                             ;   in Loop: Header=BB77_21 Depth=1
	v_add_nc_u64_e32 v[92:93], 0x400, v[54:55]
	v_mov_b32_e32 v53, v3
	s_delay_alu instid0(VALU_DEP_1) | instskip(NEXT) | instid1(VALU_DEP_1)
	v_add_nc_u64_e32 v[94:95], v[74:75], v[52:53]
	v_dual_cndmask_b32 v93, v93, v95, s0 :: v_dual_cndmask_b32 v92, v92, v94, s0
	global_load_b64 v[92:93], v[92:93], off
	global_store_b32 v[70:71], v83, off
	s_wait_loadcnt 0x0
	global_store_b64 v[72:73], v[92:93], off
	s_wait_xcnt 0x0
	s_or_b32 exec_lo, exec_lo, s15
	s_and_saveexec_b32 s15, s71
	s_cbranch_execz .LBB77_66
.LBB77_121:                             ;   in Loop: Header=BB77_21 Depth=1
	v_add_nc_u64_e32 v[94:95], 0x400, v[68:69]
	v_mov_b32_e32 v53, v3
	s_delay_alu instid0(VALU_DEP_1) | instskip(NEXT) | instid1(VALU_DEP_1)
	v_add_nc_u64_e32 v[92:93], v[74:75], v[52:53]
	v_add_nc_u64_e32 v[92:93], 0x100, v[92:93]
	s_delay_alu instid0(VALU_DEP_1)
	v_dual_cndmask_b32 v93, v95, v93, s0 :: v_dual_cndmask_b32 v92, v94, v92, s0
	global_load_b64 v[92:93], v[92:93], off
	global_store_b32 v[70:71], v84, off offset:128
	s_wait_loadcnt 0x0
	global_store_b64 v[72:73], v[92:93], off offset:256
	s_wait_xcnt 0x0
	s_or_b32 exec_lo, exec_lo, s15
	s_and_saveexec_b32 s15, s72
	s_cbranch_execz .LBB77_67
.LBB77_122:                             ;   in Loop: Header=BB77_21 Depth=1
	v_add_nc_u64_e32 v[94:95], 0x400, v[66:67]
	v_mov_b32_e32 v53, v3
	s_delay_alu instid0(VALU_DEP_1) | instskip(NEXT) | instid1(VALU_DEP_1)
	v_add_nc_u64_e32 v[92:93], v[74:75], v[52:53]
	v_add_nc_u64_e32 v[92:93], 0x200, v[92:93]
	s_delay_alu instid0(VALU_DEP_1)
	v_dual_cndmask_b32 v93, v95, v93, s0 :: v_dual_cndmask_b32 v92, v94, v92, s0
	global_load_b64 v[92:93], v[92:93], off
	global_store_b32 v[70:71], v85, off offset:256
	s_wait_loadcnt 0x0
	global_store_b64 v[72:73], v[92:93], off offset:512
	s_wait_xcnt 0x0
	s_or_b32 exec_lo, exec_lo, s15
	s_and_saveexec_b32 s15, s73
	s_cbranch_execz .LBB77_68
.LBB77_123:                             ;   in Loop: Header=BB77_21 Depth=1
	v_add_nc_u64_e32 v[94:95], 0x400, v[64:65]
	v_mov_b32_e32 v53, v3
	s_delay_alu instid0(VALU_DEP_1) | instskip(NEXT) | instid1(VALU_DEP_1)
	v_add_nc_u64_e32 v[92:93], v[74:75], v[52:53]
	v_add_nc_u64_e32 v[92:93], 0x300, v[92:93]
	s_delay_alu instid0(VALU_DEP_1)
	v_dual_cndmask_b32 v93, v95, v93, s0 :: v_dual_cndmask_b32 v92, v94, v92, s0
	global_load_b64 v[92:93], v[92:93], off
	global_store_b32 v[70:71], v86, off offset:384
	s_wait_loadcnt 0x0
	global_store_b64 v[72:73], v[92:93], off offset:768
	s_wait_xcnt 0x0
	s_or_b32 exec_lo, exec_lo, s15
	s_and_saveexec_b32 s15, s74
	s_cbranch_execz .LBB77_69
.LBB77_124:                             ;   in Loop: Header=BB77_21 Depth=1
	v_mov_b32_e32 v53, v3
	s_delay_alu instid0(VALU_DEP_1) | instskip(NEXT) | instid1(VALU_DEP_1)
	v_add_nc_u64_e32 v[92:93], v[74:75], v[52:53]
	v_dual_cndmask_b32 v93, v63, v93, s0 :: v_dual_cndmask_b32 v92, v62, v92, s0
	global_load_b64 v[92:93], v[92:93], off offset:1024
	global_store_b32 v[70:71], v87, off offset:512
	s_wait_loadcnt 0x0
	global_store_b64 v[72:73], v[92:93], off offset:1024
	s_wait_xcnt 0x0
	s_or_b32 exec_lo, exec_lo, s15
	s_and_saveexec_b32 s15, s75
	s_cbranch_execz .LBB77_70
.LBB77_125:                             ;   in Loop: Header=BB77_21 Depth=1
	v_add_nc_u64_e32 v[94:95], 0x400, v[60:61]
	v_mov_b32_e32 v53, v3
	s_delay_alu instid0(VALU_DEP_1) | instskip(NEXT) | instid1(VALU_DEP_1)
	v_add_nc_u64_e32 v[92:93], v[74:75], v[52:53]
	v_add_nc_u64_e32 v[92:93], 0x500, v[92:93]
	s_delay_alu instid0(VALU_DEP_1)
	v_dual_cndmask_b32 v93, v95, v93, s0 :: v_dual_cndmask_b32 v92, v94, v92, s0
	global_load_b64 v[92:93], v[92:93], off
	global_store_b32 v[70:71], v88, off offset:640
	s_wait_loadcnt 0x0
	global_store_b64 v[72:73], v[92:93], off offset:1280
	s_wait_xcnt 0x0
	s_or_b32 exec_lo, exec_lo, s15
	s_and_saveexec_b32 s15, s76
	s_cbranch_execz .LBB77_71
.LBB77_126:                             ;   in Loop: Header=BB77_21 Depth=1
	v_add_nc_u64_e32 v[94:95], 0x400, v[58:59]
	v_mov_b32_e32 v53, v3
	s_delay_alu instid0(VALU_DEP_1) | instskip(NEXT) | instid1(VALU_DEP_1)
	v_add_nc_u64_e32 v[92:93], v[74:75], v[52:53]
	v_add_nc_u64_e32 v[92:93], 0x600, v[92:93]
	s_delay_alu instid0(VALU_DEP_1)
	v_dual_cndmask_b32 v93, v95, v93, s0 :: v_dual_cndmask_b32 v92, v94, v92, s0
	global_load_b64 v[92:93], v[92:93], off
	global_store_b32 v[70:71], v89, off offset:768
	s_wait_loadcnt 0x0
	global_store_b64 v[72:73], v[92:93], off offset:1536
	s_wait_xcnt 0x0
	s_or_b32 exec_lo, exec_lo, s15
	s_and_saveexec_b32 s15, s8
	s_cbranch_execnz .LBB77_72
	s_branch .LBB77_73
.LBB77_127:                             ;   in Loop: Header=BB77_21 Depth=1
	v_add_nc_u64_e32 v[92:93], 0x500, v[54:55]
	v_mov_b32_e32 v53, v3
	s_delay_alu instid0(VALU_DEP_1) | instskip(NEXT) | instid1(VALU_DEP_1)
	v_add_nc_u64_e32 v[94:95], v[74:75], v[52:53]
	v_dual_cndmask_b32 v93, v93, v95, s0 :: v_dual_cndmask_b32 v92, v92, v94, s0
	global_load_b64 v[92:93], v[92:93], off
	global_store_b32 v[70:71], v83, off
	s_wait_loadcnt 0x0
	global_store_b64 v[72:73], v[92:93], off
	s_wait_xcnt 0x0
	s_or_b32 exec_lo, exec_lo, s15
	s_and_saveexec_b32 s15, s41
	s_cbranch_execz .LBB77_75
.LBB77_128:                             ;   in Loop: Header=BB77_21 Depth=1
	v_add_nc_u64_e32 v[94:95], 0x500, v[68:69]
	v_mov_b32_e32 v53, v3
	s_delay_alu instid0(VALU_DEP_1) | instskip(NEXT) | instid1(VALU_DEP_1)
	v_add_nc_u64_e32 v[92:93], v[74:75], v[52:53]
	v_add_nc_u64_e32 v[92:93], 0x100, v[92:93]
	s_delay_alu instid0(VALU_DEP_1)
	v_dual_cndmask_b32 v93, v95, v93, s0 :: v_dual_cndmask_b32 v92, v94, v92, s0
	global_load_b64 v[92:93], v[92:93], off
	global_store_b32 v[70:71], v84, off offset:128
	s_wait_loadcnt 0x0
	global_store_b64 v[72:73], v[92:93], off offset:256
	s_wait_xcnt 0x0
	s_or_b32 exec_lo, exec_lo, s15
	s_and_saveexec_b32 s15, s77
	s_cbranch_execz .LBB77_76
.LBB77_129:                             ;   in Loop: Header=BB77_21 Depth=1
	v_add_nc_u64_e32 v[94:95], 0x500, v[66:67]
	v_mov_b32_e32 v53, v3
	s_delay_alu instid0(VALU_DEP_1) | instskip(NEXT) | instid1(VALU_DEP_1)
	v_add_nc_u64_e32 v[92:93], v[74:75], v[52:53]
	v_add_nc_u64_e32 v[92:93], 0x200, v[92:93]
	s_delay_alu instid0(VALU_DEP_1)
	v_dual_cndmask_b32 v93, v95, v93, s0 :: v_dual_cndmask_b32 v92, v94, v92, s0
	global_load_b64 v[92:93], v[92:93], off
	global_store_b32 v[70:71], v85, off offset:256
	s_wait_loadcnt 0x0
	global_store_b64 v[72:73], v[92:93], off offset:512
	s_wait_xcnt 0x0
	s_or_b32 exec_lo, exec_lo, s15
	s_and_saveexec_b32 s15, s78
	s_cbranch_execz .LBB77_77
.LBB77_130:                             ;   in Loop: Header=BB77_21 Depth=1
	v_add_nc_u64_e32 v[94:95], 0x500, v[64:65]
	v_mov_b32_e32 v53, v3
	s_delay_alu instid0(VALU_DEP_1) | instskip(NEXT) | instid1(VALU_DEP_1)
	v_add_nc_u64_e32 v[92:93], v[74:75], v[52:53]
	v_add_nc_u64_e32 v[92:93], 0x300, v[92:93]
	s_delay_alu instid0(VALU_DEP_1)
	v_dual_cndmask_b32 v93, v95, v93, s0 :: v_dual_cndmask_b32 v92, v94, v92, s0
	global_load_b64 v[92:93], v[92:93], off
	global_store_b32 v[70:71], v86, off offset:384
	s_wait_loadcnt 0x0
	global_store_b64 v[72:73], v[92:93], off offset:768
	s_wait_xcnt 0x0
	s_or_b32 exec_lo, exec_lo, s15
	s_and_saveexec_b32 s15, s79
	s_cbranch_execz .LBB77_78
.LBB77_131:                             ;   in Loop: Header=BB77_21 Depth=1
	v_add_nc_u64_e32 v[94:95], 0x500, v[62:63]
	v_mov_b32_e32 v53, v3
	s_delay_alu instid0(VALU_DEP_1) | instskip(NEXT) | instid1(VALU_DEP_1)
	v_add_nc_u64_e32 v[92:93], v[74:75], v[52:53]
	v_add_nc_u64_e32 v[92:93], 0x400, v[92:93]
	s_delay_alu instid0(VALU_DEP_1)
	v_dual_cndmask_b32 v93, v95, v93, s0 :: v_dual_cndmask_b32 v92, v94, v92, s0
	global_load_b64 v[92:93], v[92:93], off
	global_store_b32 v[70:71], v87, off offset:512
	s_wait_loadcnt 0x0
	global_store_b64 v[72:73], v[92:93], off offset:1024
	s_wait_xcnt 0x0
	s_or_b32 exec_lo, exec_lo, s15
	s_and_saveexec_b32 s15, s80
	s_cbranch_execz .LBB77_79
.LBB77_132:                             ;   in Loop: Header=BB77_21 Depth=1
	v_mov_b32_e32 v53, v3
	s_delay_alu instid0(VALU_DEP_1) | instskip(NEXT) | instid1(VALU_DEP_1)
	v_add_nc_u64_e32 v[92:93], v[74:75], v[52:53]
	v_dual_cndmask_b32 v93, v61, v93, s0 :: v_dual_cndmask_b32 v92, v60, v92, s0
	global_load_b64 v[92:93], v[92:93], off offset:1280
	global_store_b32 v[70:71], v88, off offset:640
	s_wait_loadcnt 0x0
	global_store_b64 v[72:73], v[92:93], off offset:1280
	s_wait_xcnt 0x0
	s_or_b32 exec_lo, exec_lo, s15
	s_and_saveexec_b32 s15, s81
	s_cbranch_execz .LBB77_80
.LBB77_133:                             ;   in Loop: Header=BB77_21 Depth=1
	v_add_nc_u64_e32 v[94:95], 0x500, v[58:59]
	v_mov_b32_e32 v53, v3
	s_delay_alu instid0(VALU_DEP_1) | instskip(NEXT) | instid1(VALU_DEP_1)
	v_add_nc_u64_e32 v[92:93], v[74:75], v[52:53]
	v_add_nc_u64_e32 v[92:93], 0x600, v[92:93]
	s_delay_alu instid0(VALU_DEP_1)
	v_dual_cndmask_b32 v93, v95, v93, s0 :: v_dual_cndmask_b32 v92, v94, v92, s0
	global_load_b64 v[92:93], v[92:93], off
	global_store_b32 v[70:71], v89, off offset:768
	s_wait_loadcnt 0x0
	global_store_b64 v[72:73], v[92:93], off offset:1536
	s_wait_xcnt 0x0
	s_or_b32 exec_lo, exec_lo, s15
	s_and_saveexec_b32 s15, s82
	s_cbranch_execnz .LBB77_81
	s_branch .LBB77_82
.LBB77_134:                             ;   in Loop: Header=BB77_21 Depth=1
	v_add_nc_u64_e32 v[92:93], 0x600, v[54:55]
	v_mov_b32_e32 v53, v3
	s_delay_alu instid0(VALU_DEP_1) | instskip(NEXT) | instid1(VALU_DEP_1)
	v_add_nc_u64_e32 v[94:95], v[74:75], v[52:53]
	v_dual_cndmask_b32 v93, v93, v95, s0 :: v_dual_cndmask_b32 v92, v92, v94, s0
	global_load_b64 v[92:93], v[92:93], off
	global_store_b32 v[70:71], v83, off
	s_wait_loadcnt 0x0
	global_store_b64 v[72:73], v[92:93], off
	s_wait_xcnt 0x0
	s_or_b32 exec_lo, exec_lo, s15
	s_and_saveexec_b32 s15, s84
	s_cbranch_execz .LBB77_84
.LBB77_135:                             ;   in Loop: Header=BB77_21 Depth=1
	v_add_nc_u64_e32 v[94:95], 0x600, v[68:69]
	v_mov_b32_e32 v53, v3
	s_delay_alu instid0(VALU_DEP_1) | instskip(NEXT) | instid1(VALU_DEP_1)
	v_add_nc_u64_e32 v[92:93], v[74:75], v[52:53]
	v_add_nc_u64_e32 v[92:93], 0x100, v[92:93]
	s_delay_alu instid0(VALU_DEP_1)
	v_dual_cndmask_b32 v93, v95, v93, s0 :: v_dual_cndmask_b32 v92, v94, v92, s0
	global_load_b64 v[92:93], v[92:93], off
	global_store_b32 v[70:71], v84, off offset:128
	s_wait_loadcnt 0x0
	global_store_b64 v[72:73], v[92:93], off offset:256
	s_wait_xcnt 0x0
	s_or_b32 exec_lo, exec_lo, s15
	s_and_saveexec_b32 s15, s85
	s_cbranch_execz .LBB77_85
.LBB77_136:                             ;   in Loop: Header=BB77_21 Depth=1
	v_add_nc_u64_e32 v[94:95], 0x600, v[66:67]
	v_mov_b32_e32 v53, v3
	s_delay_alu instid0(VALU_DEP_1) | instskip(NEXT) | instid1(VALU_DEP_1)
	v_add_nc_u64_e32 v[92:93], v[74:75], v[52:53]
	v_add_nc_u64_e32 v[92:93], 0x200, v[92:93]
	s_delay_alu instid0(VALU_DEP_1)
	v_dual_cndmask_b32 v93, v95, v93, s0 :: v_dual_cndmask_b32 v92, v94, v92, s0
	global_load_b64 v[92:93], v[92:93], off
	global_store_b32 v[70:71], v85, off offset:256
	s_wait_loadcnt 0x0
	global_store_b64 v[72:73], v[92:93], off offset:512
	s_wait_xcnt 0x0
	s_or_b32 exec_lo, exec_lo, s15
	s_and_saveexec_b32 s15, s86
	s_cbranch_execz .LBB77_86
.LBB77_137:                             ;   in Loop: Header=BB77_21 Depth=1
	v_add_nc_u64_e32 v[94:95], 0x600, v[64:65]
	v_mov_b32_e32 v53, v3
	s_delay_alu instid0(VALU_DEP_1) | instskip(NEXT) | instid1(VALU_DEP_1)
	v_add_nc_u64_e32 v[92:93], v[74:75], v[52:53]
	v_add_nc_u64_e32 v[92:93], 0x300, v[92:93]
	s_delay_alu instid0(VALU_DEP_1)
	v_dual_cndmask_b32 v93, v95, v93, s0 :: v_dual_cndmask_b32 v92, v94, v92, s0
	global_load_b64 v[92:93], v[92:93], off
	global_store_b32 v[70:71], v86, off offset:384
	s_wait_loadcnt 0x0
	global_store_b64 v[72:73], v[92:93], off offset:768
	s_wait_xcnt 0x0
	s_or_b32 exec_lo, exec_lo, s15
	s_and_saveexec_b32 s15, s87
	s_cbranch_execz .LBB77_87
.LBB77_138:                             ;   in Loop: Header=BB77_21 Depth=1
	v_add_nc_u64_e32 v[94:95], 0x600, v[62:63]
	v_mov_b32_e32 v53, v3
	s_delay_alu instid0(VALU_DEP_1) | instskip(NEXT) | instid1(VALU_DEP_1)
	v_add_nc_u64_e32 v[92:93], v[74:75], v[52:53]
	v_add_nc_u64_e32 v[92:93], 0x400, v[92:93]
	s_delay_alu instid0(VALU_DEP_1)
	v_dual_cndmask_b32 v93, v95, v93, s0 :: v_dual_cndmask_b32 v92, v94, v92, s0
	global_load_b64 v[92:93], v[92:93], off
	global_store_b32 v[70:71], v87, off offset:512
	s_wait_loadcnt 0x0
	global_store_b64 v[72:73], v[92:93], off offset:1024
	s_wait_xcnt 0x0
	s_or_b32 exec_lo, exec_lo, s15
	s_and_saveexec_b32 s15, s88
	s_cbranch_execz .LBB77_88
.LBB77_139:                             ;   in Loop: Header=BB77_21 Depth=1
	v_add_nc_u64_e32 v[94:95], 0x600, v[60:61]
	v_mov_b32_e32 v53, v3
	s_delay_alu instid0(VALU_DEP_1) | instskip(NEXT) | instid1(VALU_DEP_1)
	v_add_nc_u64_e32 v[92:93], v[74:75], v[52:53]
	v_add_nc_u64_e32 v[92:93], 0x500, v[92:93]
	s_delay_alu instid0(VALU_DEP_1)
	v_dual_cndmask_b32 v93, v95, v93, s0 :: v_dual_cndmask_b32 v92, v94, v92, s0
	global_load_b64 v[92:93], v[92:93], off
	global_store_b32 v[70:71], v88, off offset:640
	s_wait_loadcnt 0x0
	global_store_b64 v[72:73], v[92:93], off offset:1280
	s_wait_xcnt 0x0
	s_or_b32 exec_lo, exec_lo, s15
	s_and_saveexec_b32 s15, s89
	s_cbranch_execz .LBB77_89
.LBB77_140:                             ;   in Loop: Header=BB77_21 Depth=1
	v_mov_b32_e32 v53, v3
	s_delay_alu instid0(VALU_DEP_1) | instskip(NEXT) | instid1(VALU_DEP_1)
	v_add_nc_u64_e32 v[92:93], v[74:75], v[52:53]
	v_dual_cndmask_b32 v93, v59, v93, s0 :: v_dual_cndmask_b32 v92, v58, v92, s0
	global_load_b64 v[92:93], v[92:93], off offset:1536
	global_store_b32 v[70:71], v89, off offset:768
	s_wait_loadcnt 0x0
	global_store_b64 v[72:73], v[92:93], off offset:1536
	s_wait_xcnt 0x0
	s_or_b32 exec_lo, exec_lo, s15
	s_and_saveexec_b32 s15, s90
	s_cbranch_execnz .LBB77_90
	s_branch .LBB77_91
.LBB77_141:                             ;   in Loop: Header=BB77_21 Depth=1
	v_add_nc_u64_e32 v[54:55], 0x700, v[54:55]
	v_mov_b32_e32 v53, v3
	s_delay_alu instid0(VALU_DEP_1) | instskip(NEXT) | instid1(VALU_DEP_1)
	v_add_nc_u64_e32 v[92:93], v[74:75], v[52:53]
	v_dual_cndmask_b32 v55, v55, v93, s0 :: v_dual_cndmask_b32 v54, v54, v92, s0
	global_load_b64 v[54:55], v[54:55], off
	global_store_b32 v[70:71], v83, off
	s_wait_loadcnt 0x0
	global_store_b64 v[72:73], v[54:55], off
	s_wait_xcnt 0x0
	s_or_b32 exec_lo, exec_lo, s4
	s_and_saveexec_b32 s4, s1
	s_cbranch_execz .LBB77_93
.LBB77_142:                             ;   in Loop: Header=BB77_21 Depth=1
	v_add_nc_u64_e32 v[68:69], 0x700, v[68:69]
	v_mov_b32_e32 v53, v3
	s_delay_alu instid0(VALU_DEP_1) | instskip(NEXT) | instid1(VALU_DEP_1)
	v_add_nc_u64_e32 v[54:55], v[74:75], v[52:53]
	v_add_nc_u64_e32 v[54:55], 0x100, v[54:55]
	s_delay_alu instid0(VALU_DEP_1)
	v_dual_cndmask_b32 v55, v69, v55, s0 :: v_dual_cndmask_b32 v54, v68, v54, s0
	global_load_b64 v[54:55], v[54:55], off
	global_store_b32 v[70:71], v84, off offset:128
	s_wait_loadcnt 0x0
	global_store_b64 v[72:73], v[54:55], off offset:256
	s_wait_xcnt 0x0
	s_or_b32 exec_lo, exec_lo, s4
	s_and_saveexec_b32 s4, s10
	s_cbranch_execz .LBB77_94
.LBB77_143:                             ;   in Loop: Header=BB77_21 Depth=1
	v_add_nc_u64_e32 v[66:67], 0x700, v[66:67]
	v_mov_b32_e32 v53, v3
	s_delay_alu instid0(VALU_DEP_1) | instskip(NEXT) | instid1(VALU_DEP_1)
	v_add_nc_u64_e32 v[54:55], v[74:75], v[52:53]
	v_add_nc_u64_e32 v[54:55], 0x200, v[54:55]
	s_delay_alu instid0(VALU_DEP_1)
	v_dual_cndmask_b32 v55, v67, v55, s0 :: v_dual_cndmask_b32 v54, v66, v54, s0
	global_load_b64 v[54:55], v[54:55], off
	global_store_b32 v[70:71], v85, off offset:256
	s_wait_loadcnt 0x0
	global_store_b64 v[72:73], v[54:55], off offset:512
	s_wait_xcnt 0x0
	s_or_b32 exec_lo, exec_lo, s4
	s_and_saveexec_b32 s4, s11
	s_cbranch_execz .LBB77_95
.LBB77_144:                             ;   in Loop: Header=BB77_21 Depth=1
	v_add_nc_u64_e32 v[64:65], 0x700, v[64:65]
	v_mov_b32_e32 v53, v3
	s_delay_alu instid0(VALU_DEP_1) | instskip(NEXT) | instid1(VALU_DEP_1)
	v_add_nc_u64_e32 v[54:55], v[74:75], v[52:53]
	v_add_nc_u64_e32 v[54:55], 0x300, v[54:55]
	s_delay_alu instid0(VALU_DEP_1)
	v_dual_cndmask_b32 v55, v65, v55, s0 :: v_dual_cndmask_b32 v54, v64, v54, s0
	global_load_b64 v[54:55], v[54:55], off
	global_store_b32 v[70:71], v86, off offset:384
	s_wait_loadcnt 0x0
	global_store_b64 v[72:73], v[54:55], off offset:768
	s_wait_xcnt 0x0
	s_or_b32 exec_lo, exec_lo, s4
	s_and_saveexec_b32 s4, s12
	s_cbranch_execz .LBB77_96
.LBB77_145:                             ;   in Loop: Header=BB77_21 Depth=1
	v_add_nc_u64_e32 v[62:63], 0x700, v[62:63]
	v_mov_b32_e32 v53, v3
	s_delay_alu instid0(VALU_DEP_1) | instskip(NEXT) | instid1(VALU_DEP_1)
	v_add_nc_u64_e32 v[54:55], v[74:75], v[52:53]
	v_add_nc_u64_e32 v[54:55], 0x400, v[54:55]
	s_delay_alu instid0(VALU_DEP_1)
	v_dual_cndmask_b32 v55, v63, v55, s0 :: v_dual_cndmask_b32 v54, v62, v54, s0
	global_load_b64 v[54:55], v[54:55], off
	global_store_b32 v[70:71], v87, off offset:512
	s_wait_loadcnt 0x0
	global_store_b64 v[72:73], v[54:55], off offset:1024
	s_wait_xcnt 0x0
	s_or_b32 exec_lo, exec_lo, s4
	s_and_saveexec_b32 s4, s13
	s_cbranch_execz .LBB77_97
.LBB77_146:                             ;   in Loop: Header=BB77_21 Depth=1
	v_add_nc_u64_e32 v[60:61], 0x700, v[60:61]
	v_mov_b32_e32 v53, v3
	s_delay_alu instid0(VALU_DEP_1) | instskip(NEXT) | instid1(VALU_DEP_1)
	v_add_nc_u64_e32 v[54:55], v[74:75], v[52:53]
	v_add_nc_u64_e32 v[54:55], 0x500, v[54:55]
	s_delay_alu instid0(VALU_DEP_1)
	v_dual_cndmask_b32 v55, v61, v55, s0 :: v_dual_cndmask_b32 v54, v60, v54, s0
	global_load_b64 v[54:55], v[54:55], off
	global_store_b32 v[70:71], v88, off offset:640
	s_wait_loadcnt 0x0
	global_store_b64 v[72:73], v[54:55], off offset:1280
	s_wait_xcnt 0x0
	s_or_b32 exec_lo, exec_lo, s4
	s_and_saveexec_b32 s4, s14
	s_cbranch_execz .LBB77_98
.LBB77_147:                             ;   in Loop: Header=BB77_21 Depth=1
	v_add_nc_u64_e32 v[58:59], 0x700, v[58:59]
	v_mov_b32_e32 v53, v3
	s_delay_alu instid0(VALU_DEP_1) | instskip(NEXT) | instid1(VALU_DEP_1)
	v_add_nc_u64_e32 v[54:55], v[74:75], v[52:53]
	v_add_nc_u64_e32 v[54:55], 0x600, v[54:55]
	s_delay_alu instid0(VALU_DEP_1)
	v_dual_cndmask_b32 v55, v59, v55, s0 :: v_dual_cndmask_b32 v54, v58, v54, s0
	global_load_b64 v[54:55], v[54:55], off
	global_store_b32 v[70:71], v89, off offset:768
	s_wait_loadcnt 0x0
	global_store_b64 v[72:73], v[54:55], off offset:1536
	s_wait_xcnt 0x0
	s_or_b32 exec_lo, exec_lo, s4
	s_and_saveexec_b32 s4, s9
	s_cbranch_execz .LBB77_20
.LBB77_148:                             ;   in Loop: Header=BB77_21 Depth=1
	v_mov_b32_e32 v53, v3
	s_delay_alu instid0(VALU_DEP_1) | instskip(NEXT) | instid1(VALU_DEP_1)
	v_add_nc_u64_e32 v[52:53], v[74:75], v[52:53]
	v_dual_cndmask_b32 v53, v57, v53, s0 :: v_dual_cndmask_b32 v52, v56, v52, s0
	global_load_b64 v[52:53], v[52:53], off offset:1792
	global_store_b32 v[70:71], v90, off offset:896
	s_wait_loadcnt 0x0
	global_store_b64 v[72:73], v[52:53], off offset:1792
	s_branch .LBB77_20
.LBB77_149:
	s_sendmsg sendmsg(MSG_DEALLOC_VGPRS)
	s_endpgm
	.section	.rodata,"a",@progbits
	.p2align	6, 0x0
	.amdhsa_kernel _ZN9rocsparseL35bsr2csr_block_per_row_33_256_kernelILj1024ELj256ELj32ElliEEv20rocsparse_direction_T4_S2_21rocsparse_index_base_PKT2_PKT3_PKS2_S2_S3_PS4_PS7_PS2_
		.amdhsa_group_segment_fixed_size 0
		.amdhsa_private_segment_fixed_size 0
		.amdhsa_kernarg_size 72
		.amdhsa_user_sgpr_count 2
		.amdhsa_user_sgpr_dispatch_ptr 0
		.amdhsa_user_sgpr_queue_ptr 0
		.amdhsa_user_sgpr_kernarg_segment_ptr 1
		.amdhsa_user_sgpr_dispatch_id 0
		.amdhsa_user_sgpr_kernarg_preload_length 0
		.amdhsa_user_sgpr_kernarg_preload_offset 0
		.amdhsa_user_sgpr_private_segment_size 0
		.amdhsa_wavefront_size32 1
		.amdhsa_uses_dynamic_stack 0
		.amdhsa_enable_private_segment 0
		.amdhsa_system_sgpr_workgroup_id_x 1
		.amdhsa_system_sgpr_workgroup_id_y 0
		.amdhsa_system_sgpr_workgroup_id_z 0
		.amdhsa_system_sgpr_workgroup_info 0
		.amdhsa_system_vgpr_workitem_id 0
		.amdhsa_next_free_vgpr 96
		.amdhsa_next_free_sgpr 93
		.amdhsa_named_barrier_count 0
		.amdhsa_reserve_vcc 1
		.amdhsa_float_round_mode_32 0
		.amdhsa_float_round_mode_16_64 0
		.amdhsa_float_denorm_mode_32 3
		.amdhsa_float_denorm_mode_16_64 3
		.amdhsa_fp16_overflow 0
		.amdhsa_memory_ordered 1
		.amdhsa_forward_progress 1
		.amdhsa_inst_pref_size 71
		.amdhsa_round_robin_scheduling 0
		.amdhsa_exception_fp_ieee_invalid_op 0
		.amdhsa_exception_fp_denorm_src 0
		.amdhsa_exception_fp_ieee_div_zero 0
		.amdhsa_exception_fp_ieee_overflow 0
		.amdhsa_exception_fp_ieee_underflow 0
		.amdhsa_exception_fp_ieee_inexact 0
		.amdhsa_exception_int_div_zero 0
	.end_amdhsa_kernel
	.section	.text._ZN9rocsparseL35bsr2csr_block_per_row_33_256_kernelILj1024ELj256ELj32ElliEEv20rocsparse_direction_T4_S2_21rocsparse_index_base_PKT2_PKT3_PKS2_S2_S3_PS4_PS7_PS2_,"axG",@progbits,_ZN9rocsparseL35bsr2csr_block_per_row_33_256_kernelILj1024ELj256ELj32ElliEEv20rocsparse_direction_T4_S2_21rocsparse_index_base_PKT2_PKT3_PKS2_S2_S3_PS4_PS7_PS2_,comdat
.Lfunc_end77:
	.size	_ZN9rocsparseL35bsr2csr_block_per_row_33_256_kernelILj1024ELj256ELj32ElliEEv20rocsparse_direction_T4_S2_21rocsparse_index_base_PKT2_PKT3_PKS2_S2_S3_PS4_PS7_PS2_, .Lfunc_end77-_ZN9rocsparseL35bsr2csr_block_per_row_33_256_kernelILj1024ELj256ELj32ElliEEv20rocsparse_direction_T4_S2_21rocsparse_index_base_PKT2_PKT3_PKS2_S2_S3_PS4_PS7_PS2_
                                        ; -- End function
	.set _ZN9rocsparseL35bsr2csr_block_per_row_33_256_kernelILj1024ELj256ELj32ElliEEv20rocsparse_direction_T4_S2_21rocsparse_index_base_PKT2_PKT3_PKS2_S2_S3_PS4_PS7_PS2_.num_vgpr, 96
	.set _ZN9rocsparseL35bsr2csr_block_per_row_33_256_kernelILj1024ELj256ELj32ElliEEv20rocsparse_direction_T4_S2_21rocsparse_index_base_PKT2_PKT3_PKS2_S2_S3_PS4_PS7_PS2_.num_agpr, 0
	.set _ZN9rocsparseL35bsr2csr_block_per_row_33_256_kernelILj1024ELj256ELj32ElliEEv20rocsparse_direction_T4_S2_21rocsparse_index_base_PKT2_PKT3_PKS2_S2_S3_PS4_PS7_PS2_.numbered_sgpr, 93
	.set _ZN9rocsparseL35bsr2csr_block_per_row_33_256_kernelILj1024ELj256ELj32ElliEEv20rocsparse_direction_T4_S2_21rocsparse_index_base_PKT2_PKT3_PKS2_S2_S3_PS4_PS7_PS2_.num_named_barrier, 0
	.set _ZN9rocsparseL35bsr2csr_block_per_row_33_256_kernelILj1024ELj256ELj32ElliEEv20rocsparse_direction_T4_S2_21rocsparse_index_base_PKT2_PKT3_PKS2_S2_S3_PS4_PS7_PS2_.private_seg_size, 0
	.set _ZN9rocsparseL35bsr2csr_block_per_row_33_256_kernelILj1024ELj256ELj32ElliEEv20rocsparse_direction_T4_S2_21rocsparse_index_base_PKT2_PKT3_PKS2_S2_S3_PS4_PS7_PS2_.uses_vcc, 1
	.set _ZN9rocsparseL35bsr2csr_block_per_row_33_256_kernelILj1024ELj256ELj32ElliEEv20rocsparse_direction_T4_S2_21rocsparse_index_base_PKT2_PKT3_PKS2_S2_S3_PS4_PS7_PS2_.uses_flat_scratch, 0
	.set _ZN9rocsparseL35bsr2csr_block_per_row_33_256_kernelILj1024ELj256ELj32ElliEEv20rocsparse_direction_T4_S2_21rocsparse_index_base_PKT2_PKT3_PKS2_S2_S3_PS4_PS7_PS2_.has_dyn_sized_stack, 0
	.set _ZN9rocsparseL35bsr2csr_block_per_row_33_256_kernelILj1024ELj256ELj32ElliEEv20rocsparse_direction_T4_S2_21rocsparse_index_base_PKT2_PKT3_PKS2_S2_S3_PS4_PS7_PS2_.has_recursion, 0
	.set _ZN9rocsparseL35bsr2csr_block_per_row_33_256_kernelILj1024ELj256ELj32ElliEEv20rocsparse_direction_T4_S2_21rocsparse_index_base_PKT2_PKT3_PKS2_S2_S3_PS4_PS7_PS2_.has_indirect_call, 0
	.section	.AMDGPU.csdata,"",@progbits
; Kernel info:
; codeLenInByte = 9012
; TotalNumSgprs: 95
; NumVgprs: 96
; ScratchSize: 0
; MemoryBound: 0
; FloatMode: 240
; IeeeMode: 1
; LDSByteSize: 0 bytes/workgroup (compile time only)
; SGPRBlocks: 0
; VGPRBlocks: 5
; NumSGPRsForWavesPerEU: 95
; NumVGPRsForWavesPerEU: 96
; NamedBarCnt: 0
; Occupancy: 10
; WaveLimiterHint : 1
; COMPUTE_PGM_RSRC2:SCRATCH_EN: 0
; COMPUTE_PGM_RSRC2:USER_SGPR: 2
; COMPUTE_PGM_RSRC2:TRAP_HANDLER: 0
; COMPUTE_PGM_RSRC2:TGID_X_EN: 1
; COMPUTE_PGM_RSRC2:TGID_Y_EN: 0
; COMPUTE_PGM_RSRC2:TGID_Z_EN: 0
; COMPUTE_PGM_RSRC2:TIDIG_COMP_CNT: 0
	.section	.text._ZN9rocsparseL35bsr2csr_block_dim_equals_one_kernelILj1024ElilEEvT2_S1_21rocsparse_index_base_PKT0_PKT1_PKS1_S2_PS3_PS6_PS1_,"axG",@progbits,_ZN9rocsparseL35bsr2csr_block_dim_equals_one_kernelILj1024ElilEEvT2_S1_21rocsparse_index_base_PKT0_PKT1_PKS1_S2_PS3_PS6_PS1_,comdat
	.globl	_ZN9rocsparseL35bsr2csr_block_dim_equals_one_kernelILj1024ElilEEvT2_S1_21rocsparse_index_base_PKT0_PKT1_PKS1_S2_PS3_PS6_PS1_ ; -- Begin function _ZN9rocsparseL35bsr2csr_block_dim_equals_one_kernelILj1024ElilEEvT2_S1_21rocsparse_index_base_PKT0_PKT1_PKS1_S2_PS3_PS6_PS1_
	.p2align	8
	.type	_ZN9rocsparseL35bsr2csr_block_dim_equals_one_kernelILj1024ElilEEvT2_S1_21rocsparse_index_base_PKT0_PKT1_PKS1_S2_PS3_PS6_PS1_,@function
_ZN9rocsparseL35bsr2csr_block_dim_equals_one_kernelILj1024ElilEEvT2_S1_21rocsparse_index_base_PKT0_PKT1_PKS1_S2_PS3_PS6_PS1_: ; @_ZN9rocsparseL35bsr2csr_block_dim_equals_one_kernelILj1024ElilEEvT2_S1_21rocsparse_index_base_PKT0_PKT1_PKS1_S2_PS3_PS6_PS1_
; %bb.0:
	s_clause 0x3
	s_load_b32 s2, s[0:1], 0x10
	s_load_b64 s[8:9], s[0:1], 0x20
	s_load_b32 s4, s[0:1], 0x30
	s_load_b64 s[6:7], s[0:1], 0x0
	s_bfe_u32 s3, ttmp6, 0x4000c
	s_and_b32 s5, ttmp6, 15
	s_add_co_i32 s3, s3, 1
	s_getreg_b32 s10, hwreg(HW_REG_IB_STS2, 6, 4)
	s_mul_i32 s3, ttmp9, s3
	v_mov_b32_e32 v1, 0
	s_add_co_i32 s5, s5, s3
	s_cmp_eq_u32 s10, 0
	s_cselect_b32 s3, ttmp9, s5
	s_delay_alu instid0(SALU_CYCLE_1) | instskip(SKIP_2) | instid1(VALU_DEP_1)
	v_lshl_or_b32 v0, s3, 10, v0
	s_mov_b32 s3, exec_lo
	s_wait_kmcnt 0x0
	v_cmpx_gt_i64_e64 s[6:7], v[0:1]
	s_cbranch_execz .LBB78_6
; %bb.1:
	s_mov_b32 s5, exec_lo
                                        ; implicit-def: $sgpr12
	v_cmpx_ne_u32_e32 0, v0
	s_xor_b32 s5, exec_lo, s5
; %bb.2:
	s_sub_co_i32 s12, s4, s2
; %bb.3:
	s_or_saveexec_b32 s5, s5
	s_load_b64 s[10:11], s[0:1], 0x40
	v_mov_b32_e32 v2, s12
	s_xor_b32 exec_lo, exec_lo, s5
	s_cbranch_execz .LBB78_5
; %bb.4:
	s_load_b32 s12, s[8:9], 0x0
	s_sub_co_i32 s13, s4, s2
	s_delay_alu instid0(SALU_CYCLE_1) | instskip(SKIP_2) | instid1(SALU_CYCLE_1)
	v_mov_b32_e32 v2, s13
	s_wait_kmcnt 0x0
	s_add_co_i32 s12, s13, s12
	v_dual_mov_b32 v3, 0 :: v_dual_mov_b32 v4, s12
	global_store_b32 v3, v4, s[10:11]
.LBB78_5:
	s_wait_xcnt 0x0
	s_or_b32 exec_lo, exec_lo, s5
	v_lshlrev_b64_e32 v[4:5], 2, v[0:1]
	s_delay_alu instid0(VALU_DEP_1)
	v_add_nc_u64_e32 v[6:7], s[8:9], v[4:5]
	s_wait_kmcnt 0x0
	v_add_nc_u64_e32 v[4:5], s[10:11], v[4:5]
	global_load_b32 v3, v[6:7], off offset:4
	s_wait_loadcnt 0x0
	v_add_nc_u32_e32 v2, v2, v3
	global_store_b32 v[4:5], v2, off offset:4
.LBB78_6:
	s_wait_xcnt 0x0
	s_or_b32 exec_lo, exec_lo, s3
	s_lshl_b64 s[6:7], s[6:7], 2
	s_clause 0x3
	s_load_b64 s[10:11], s[0:1], 0x48
	s_load_b64 s[12:13], s[0:1], 0x18
	;; [unrolled: 1-line block ×4, first 2 shown]
	s_add_nc_u64 s[6:7], s[8:9], s[6:7]
	s_clause 0x1
	s_load_b32 s3, s[6:7], 0x0
	s_load_b32 s5, s[8:9], 0x0
	s_wait_kmcnt 0x0
	s_sub_co_i32 s6, s3, s5
	s_mov_b32 s3, exec_lo
	s_ashr_i32 s7, s6, 31
	s_delay_alu instid0(SALU_CYCLE_1)
	v_cmpx_gt_i64_e64 s[6:7], v[0:1]
	s_cbranch_execz .LBB78_9
; %bb.7:
	s_load_b32 s8, s[0:1], 0x50
	s_mov_b32 s3, 0
	v_lshlrev_b64_e32 v[2:3], 3, v[0:1]
	s_mov_b32 s5, s3
	s_wait_xcnt 0x0
	s_sub_nc_u64 s[0:1], s[4:5], s[2:3]
	s_wait_kmcnt 0x0
	s_lshl_b32 s2, s8, 10
	s_mov_b32 s8, s3
	s_lshl_b64 s[4:5], s[2:3], 3
.LBB78_8:                               ; =>This Inner Loop Header: Depth=1
	v_add_nc_u64_e32 v[4:5], s[14:15], v[2:3]
	v_add_nc_u64_e32 v[6:7], s[12:13], v[2:3]
	;; [unrolled: 1-line block ×3, first 2 shown]
	global_load_b64 v[8:9], v[4:5], off
	global_load_b64 v[10:11], v[6:7], off
	s_wait_xcnt 0x1
	v_add_nc_u64_e32 v[4:5], s[10:11], v[2:3]
	v_cmp_le_i64_e32 vcc_lo, s[6:7], v[0:1]
	s_wait_xcnt 0x0
	v_add_nc_u64_e32 v[6:7], s[16:17], v[2:3]
	v_add_nc_u64_e32 v[2:3], s[4:5], v[2:3]
	s_or_b32 s8, vcc_lo, s8
	s_wait_loadcnt 0x1
	v_add_nc_u64_e32 v[8:9], s[0:1], v[8:9]
	s_wait_loadcnt 0x0
	global_store_b64 v[6:7], v[10:11], off
	global_store_b64 v[4:5], v[8:9], off
	s_wait_xcnt 0x0
	s_and_not1_b32 exec_lo, exec_lo, s8
	s_cbranch_execnz .LBB78_8
.LBB78_9:
	s_endpgm
	.section	.rodata,"a",@progbits
	.p2align	6, 0x0
	.amdhsa_kernel _ZN9rocsparseL35bsr2csr_block_dim_equals_one_kernelILj1024ElilEEvT2_S1_21rocsparse_index_base_PKT0_PKT1_PKS1_S2_PS3_PS6_PS1_
		.amdhsa_group_segment_fixed_size 0
		.amdhsa_private_segment_fixed_size 0
		.amdhsa_kernarg_size 336
		.amdhsa_user_sgpr_count 2
		.amdhsa_user_sgpr_dispatch_ptr 0
		.amdhsa_user_sgpr_queue_ptr 0
		.amdhsa_user_sgpr_kernarg_segment_ptr 1
		.amdhsa_user_sgpr_dispatch_id 0
		.amdhsa_user_sgpr_kernarg_preload_length 0
		.amdhsa_user_sgpr_kernarg_preload_offset 0
		.amdhsa_user_sgpr_private_segment_size 0
		.amdhsa_wavefront_size32 1
		.amdhsa_uses_dynamic_stack 0
		.amdhsa_enable_private_segment 0
		.amdhsa_system_sgpr_workgroup_id_x 1
		.amdhsa_system_sgpr_workgroup_id_y 0
		.amdhsa_system_sgpr_workgroup_id_z 0
		.amdhsa_system_sgpr_workgroup_info 0
		.amdhsa_system_vgpr_workitem_id 0
		.amdhsa_next_free_vgpr 12
		.amdhsa_next_free_sgpr 18
		.amdhsa_named_barrier_count 0
		.amdhsa_reserve_vcc 1
		.amdhsa_float_round_mode_32 0
		.amdhsa_float_round_mode_16_64 0
		.amdhsa_float_denorm_mode_32 3
		.amdhsa_float_denorm_mode_16_64 3
		.amdhsa_fp16_overflow 0
		.amdhsa_memory_ordered 1
		.amdhsa_forward_progress 1
		.amdhsa_inst_pref_size 5
		.amdhsa_round_robin_scheduling 0
		.amdhsa_exception_fp_ieee_invalid_op 0
		.amdhsa_exception_fp_denorm_src 0
		.amdhsa_exception_fp_ieee_div_zero 0
		.amdhsa_exception_fp_ieee_overflow 0
		.amdhsa_exception_fp_ieee_underflow 0
		.amdhsa_exception_fp_ieee_inexact 0
		.amdhsa_exception_int_div_zero 0
	.end_amdhsa_kernel
	.section	.text._ZN9rocsparseL35bsr2csr_block_dim_equals_one_kernelILj1024ElilEEvT2_S1_21rocsparse_index_base_PKT0_PKT1_PKS1_S2_PS3_PS6_PS1_,"axG",@progbits,_ZN9rocsparseL35bsr2csr_block_dim_equals_one_kernelILj1024ElilEEvT2_S1_21rocsparse_index_base_PKT0_PKT1_PKS1_S2_PS3_PS6_PS1_,comdat
.Lfunc_end78:
	.size	_ZN9rocsparseL35bsr2csr_block_dim_equals_one_kernelILj1024ElilEEvT2_S1_21rocsparse_index_base_PKT0_PKT1_PKS1_S2_PS3_PS6_PS1_, .Lfunc_end78-_ZN9rocsparseL35bsr2csr_block_dim_equals_one_kernelILj1024ElilEEvT2_S1_21rocsparse_index_base_PKT0_PKT1_PKS1_S2_PS3_PS6_PS1_
                                        ; -- End function
	.set _ZN9rocsparseL35bsr2csr_block_dim_equals_one_kernelILj1024ElilEEvT2_S1_21rocsparse_index_base_PKT0_PKT1_PKS1_S2_PS3_PS6_PS1_.num_vgpr, 12
	.set _ZN9rocsparseL35bsr2csr_block_dim_equals_one_kernelILj1024ElilEEvT2_S1_21rocsparse_index_base_PKT0_PKT1_PKS1_S2_PS3_PS6_PS1_.num_agpr, 0
	.set _ZN9rocsparseL35bsr2csr_block_dim_equals_one_kernelILj1024ElilEEvT2_S1_21rocsparse_index_base_PKT0_PKT1_PKS1_S2_PS3_PS6_PS1_.numbered_sgpr, 18
	.set _ZN9rocsparseL35bsr2csr_block_dim_equals_one_kernelILj1024ElilEEvT2_S1_21rocsparse_index_base_PKT0_PKT1_PKS1_S2_PS3_PS6_PS1_.num_named_barrier, 0
	.set _ZN9rocsparseL35bsr2csr_block_dim_equals_one_kernelILj1024ElilEEvT2_S1_21rocsparse_index_base_PKT0_PKT1_PKS1_S2_PS3_PS6_PS1_.private_seg_size, 0
	.set _ZN9rocsparseL35bsr2csr_block_dim_equals_one_kernelILj1024ElilEEvT2_S1_21rocsparse_index_base_PKT0_PKT1_PKS1_S2_PS3_PS6_PS1_.uses_vcc, 1
	.set _ZN9rocsparseL35bsr2csr_block_dim_equals_one_kernelILj1024ElilEEvT2_S1_21rocsparse_index_base_PKT0_PKT1_PKS1_S2_PS3_PS6_PS1_.uses_flat_scratch, 0
	.set _ZN9rocsparseL35bsr2csr_block_dim_equals_one_kernelILj1024ElilEEvT2_S1_21rocsparse_index_base_PKT0_PKT1_PKS1_S2_PS3_PS6_PS1_.has_dyn_sized_stack, 0
	.set _ZN9rocsparseL35bsr2csr_block_dim_equals_one_kernelILj1024ElilEEvT2_S1_21rocsparse_index_base_PKT0_PKT1_PKS1_S2_PS3_PS6_PS1_.has_recursion, 0
	.set _ZN9rocsparseL35bsr2csr_block_dim_equals_one_kernelILj1024ElilEEvT2_S1_21rocsparse_index_base_PKT0_PKT1_PKS1_S2_PS3_PS6_PS1_.has_indirect_call, 0
	.section	.AMDGPU.csdata,"",@progbits
; Kernel info:
; codeLenInByte = 520
; TotalNumSgprs: 20
; NumVgprs: 12
; ScratchSize: 0
; MemoryBound: 0
; FloatMode: 240
; IeeeMode: 1
; LDSByteSize: 0 bytes/workgroup (compile time only)
; SGPRBlocks: 0
; VGPRBlocks: 0
; NumSGPRsForWavesPerEU: 20
; NumVGPRsForWavesPerEU: 12
; NamedBarCnt: 0
; Occupancy: 16
; WaveLimiterHint : 0
; COMPUTE_PGM_RSRC2:SCRATCH_EN: 0
; COMPUTE_PGM_RSRC2:USER_SGPR: 2
; COMPUTE_PGM_RSRC2:TRAP_HANDLER: 0
; COMPUTE_PGM_RSRC2:TGID_X_EN: 1
; COMPUTE_PGM_RSRC2:TGID_Y_EN: 0
; COMPUTE_PGM_RSRC2:TGID_Z_EN: 0
; COMPUTE_PGM_RSRC2:TIDIG_COMP_CNT: 0
	.section	.text._ZN9rocsparseL32bsr2csr_block_per_row_2_7_kernelILj256ELj2ElilEEv20rocsparse_direction_T3_S2_21rocsparse_index_base_PKT1_PKT2_PKS2_S2_S3_PS4_PS7_PS2_,"axG",@progbits,_ZN9rocsparseL32bsr2csr_block_per_row_2_7_kernelILj256ELj2ElilEEv20rocsparse_direction_T3_S2_21rocsparse_index_base_PKT1_PKT2_PKS2_S2_S3_PS4_PS7_PS2_,comdat
	.globl	_ZN9rocsparseL32bsr2csr_block_per_row_2_7_kernelILj256ELj2ElilEEv20rocsparse_direction_T3_S2_21rocsparse_index_base_PKT1_PKT2_PKS2_S2_S3_PS4_PS7_PS2_ ; -- Begin function _ZN9rocsparseL32bsr2csr_block_per_row_2_7_kernelILj256ELj2ElilEEv20rocsparse_direction_T3_S2_21rocsparse_index_base_PKT1_PKT2_PKS2_S2_S3_PS4_PS7_PS2_
	.p2align	8
	.type	_ZN9rocsparseL32bsr2csr_block_per_row_2_7_kernelILj256ELj2ElilEEv20rocsparse_direction_T3_S2_21rocsparse_index_base_PKT1_PKT2_PKS2_S2_S3_PS4_PS7_PS2_,@function
_ZN9rocsparseL32bsr2csr_block_per_row_2_7_kernelILj256ELj2ElilEEv20rocsparse_direction_T3_S2_21rocsparse_index_base_PKT1_PKT2_PKS2_S2_S3_PS4_PS7_PS2_: ; @_ZN9rocsparseL32bsr2csr_block_per_row_2_7_kernelILj256ELj2ElilEEv20rocsparse_direction_T3_S2_21rocsparse_index_base_PKT1_PKT2_PKS2_S2_S3_PS4_PS7_PS2_
; %bb.0:
	s_load_b64 s[4:5], s[0:1], 0x28
	s_bfe_u32 s2, ttmp6, 0x4000c
	s_and_b32 s3, ttmp6, 15
	s_add_co_i32 s2, s2, 1
	s_getreg_b32 s6, hwreg(HW_REG_IB_STS2, 6, 4)
	s_mul_i32 s2, ttmp9, s2
	s_mov_b32 s7, 0
	s_add_co_i32 s3, s3, s2
	s_cmp_eq_u32 s6, 0
	s_clause 0x1
	s_load_b32 s2, s[0:1], 0x40
	s_load_b64 s[8:9], s[0:1], 0x50
	s_cselect_b32 s6, ttmp9, s3
	s_mov_b32 s3, exec_lo
	s_lshl_b64 s[10:11], s[6:7], 2
	v_or_b32_e32 v1, s6, v0
	s_wait_kmcnt 0x0
	s_add_nc_u64 s[4:5], s[4:5], s[10:11]
	s_load_b64 s[14:15], s[4:5], 0x0
	s_delay_alu instid0(VALU_DEP_1)
	v_cmpx_eq_u32_e32 0, v1
	s_cbranch_execz .LBB79_2
; %bb.1:
	v_dual_mov_b32 v1, 0 :: v_dual_mov_b32 v2, s2
	global_store_b32 v1, v2, s[8:9]
.LBB79_2:
	s_wait_xcnt 0x0
	s_or_b32 exec_lo, exec_lo, s3
	s_load_b32 s4, s[0:1], 0x18
	v_dual_lshrrev_b32 v0, 1, v0 :: v_dual_bitop2_b32 v8, 1, v0 bitop3:0x40
	s_lshl_b64 s[6:7], s[6:7], 3
	s_delay_alu instid0(SALU_CYCLE_1)
	s_add_nc_u64 s[6:7], s[8:9], s[6:7]
	s_wait_kmcnt 0x0
	s_sub_co_i32 s3, s14, s4
	s_sub_co_i32 s15, s15, s4
	s_lshl_b32 s10, s3, 2
	s_sub_co_i32 s5, s15, s3
	v_add_nc_u32_e32 v9, s3, v0
	s_lshl_b32 s5, s5, 1
	s_mov_b32 s3, exec_lo
	v_mul_lo_u32 v2, s5, v8
	s_add_co_i32 s5, s5, s2
	s_delay_alu instid0(VALU_DEP_1) | instid1(SALU_CYCLE_1)
	v_add3_u32 v1, s5, s10, v2
	global_store_b32 v8, v1, s[6:7] offset:4 scale_offset
	s_wait_xcnt 0x0
	v_cmpx_gt_i32_e64 s15, v9
	s_cbranch_execz .LBB79_5
; %bb.3:
	s_clause 0x4
	s_load_b64 s[6:7], s[0:1], 0x30
	s_load_b64 s[8:9], s[0:1], 0x48
	s_load_b32 s3, s[0:1], 0x0
	s_load_b64 s[10:11], s[0:1], 0x20
	s_load_b64 s[12:13], s[0:1], 0x58
	v_dual_lshlrev_b32 v3, 1, v0 :: v_dual_mov_b32 v1, 0
	v_dual_lshlrev_b32 v0, 4, v8 :: v_dual_lshlrev_b32 v6, 2, v9
	s_mov_b32 s5, 0
	s_wait_xcnt 0x0
	s_mov_b32 s1, s5
	s_wait_kmcnt 0x0
	s_cmp_eq_u32 s3, 0
	s_mov_b32 s3, s5
	s_cselect_b32 vcc_lo, -1, 0
	s_lshl_b32 s0, s14, 2
	s_delay_alu instid0(SALU_CYCLE_1) | instskip(SKIP_2) | instid1(VALU_DEP_2)
	v_add3_u32 v4, v2, s0, v3
	s_lshl_b32 s0, s4, 2
	v_add_nc_u64_e32 v[2:3], s[10:11], v[0:1]
	v_subrev_nc_u32_e32 v4, s0, v4
.LBB79_4:                               ; =>This Inner Loop Header: Depth=1
	v_dual_mov_b32 v7, v1 :: v_dual_add_nc_u32 v0, v8, v6
	global_load_b64 v[14:15], v9, s[6:7] scale_offset
	v_ashrrev_i32_e32 v5, 31, v4
	s_wait_xcnt 0x0
	v_add_nc_u32_e32 v9, 0x80, v9
	v_lshl_add_u64 v[10:11], v[6:7], 3, v[2:3]
	v_lshl_add_u64 v[12:13], v[0:1], 3, s[10:11]
	v_add_nc_u32_e32 v6, 0x200, v6
	s_delay_alu instid0(VALU_DEP_4) | instskip(NEXT) | instid1(VALU_DEP_4)
	v_cmp_le_i32_e64 s0, s15, v9
	v_add_nc_u64_e32 v[16:17], 8, v[10:11]
	s_delay_alu instid0(VALU_DEP_4) | instskip(SKIP_2) | instid1(VALU_DEP_2)
	v_add_nc_u64_e32 v[18:19], 16, v[12:13]
	v_dual_cndmask_b32 v21, v13, v11 :: v_dual_cndmask_b32 v20, v12, v10
	s_or_b32 s1, s0, s1
	v_dual_cndmask_b32 v17, v19, v17 :: v_dual_cndmask_b32 v16, v18, v16
	global_load_b64 v[10:11], v[20:21], off
	global_load_b64 v[12:13], v[16:17], off
	s_wait_xcnt 0x0
	v_lshlrev_b64_e32 v[16:17], 3, v[4:5]
	v_add_nc_u32_e32 v4, 0x100, v4
	s_delay_alu instid0(VALU_DEP_2) | instskip(SKIP_3) | instid1(VALU_DEP_1)
	v_add_nc_u64_e32 v[18:19], s[12:13], v[16:17]
	v_add_nc_u64_e32 v[20:21], s[8:9], v[16:17]
	s_wait_loadcnt 0x2
	v_sub_nc_u64_e64 v[14:15], v[14:15], s[4:5]
	v_lshl_add_u64 v[14:15], v[14:15], 1, s[2:3]
	s_delay_alu instid0(VALU_DEP_1)
	v_add_nc_u64_e32 v[16:17], 1, v[14:15]
	global_store_b128 v[18:19], v[14:17], off
	s_wait_loadcnt 0x0
	global_store_b128 v[20:21], v[10:13], off
	s_wait_xcnt 0x0
	s_and_not1_b32 exec_lo, exec_lo, s1
	s_cbranch_execnz .LBB79_4
.LBB79_5:
	s_endpgm
	.section	.rodata,"a",@progbits
	.p2align	6, 0x0
	.amdhsa_kernel _ZN9rocsparseL32bsr2csr_block_per_row_2_7_kernelILj256ELj2ElilEEv20rocsparse_direction_T3_S2_21rocsparse_index_base_PKT1_PKT2_PKS2_S2_S3_PS4_PS7_PS2_
		.amdhsa_group_segment_fixed_size 0
		.amdhsa_private_segment_fixed_size 0
		.amdhsa_kernarg_size 96
		.amdhsa_user_sgpr_count 2
		.amdhsa_user_sgpr_dispatch_ptr 0
		.amdhsa_user_sgpr_queue_ptr 0
		.amdhsa_user_sgpr_kernarg_segment_ptr 1
		.amdhsa_user_sgpr_dispatch_id 0
		.amdhsa_user_sgpr_kernarg_preload_length 0
		.amdhsa_user_sgpr_kernarg_preload_offset 0
		.amdhsa_user_sgpr_private_segment_size 0
		.amdhsa_wavefront_size32 1
		.amdhsa_uses_dynamic_stack 0
		.amdhsa_enable_private_segment 0
		.amdhsa_system_sgpr_workgroup_id_x 1
		.amdhsa_system_sgpr_workgroup_id_y 0
		.amdhsa_system_sgpr_workgroup_id_z 0
		.amdhsa_system_sgpr_workgroup_info 0
		.amdhsa_system_vgpr_workitem_id 0
		.amdhsa_next_free_vgpr 22
		.amdhsa_next_free_sgpr 16
		.amdhsa_named_barrier_count 0
		.amdhsa_reserve_vcc 1
		.amdhsa_float_round_mode_32 0
		.amdhsa_float_round_mode_16_64 0
		.amdhsa_float_denorm_mode_32 3
		.amdhsa_float_denorm_mode_16_64 3
		.amdhsa_fp16_overflow 0
		.amdhsa_memory_ordered 1
		.amdhsa_forward_progress 1
		.amdhsa_inst_pref_size 5
		.amdhsa_round_robin_scheduling 0
		.amdhsa_exception_fp_ieee_invalid_op 0
		.amdhsa_exception_fp_denorm_src 0
		.amdhsa_exception_fp_ieee_div_zero 0
		.amdhsa_exception_fp_ieee_overflow 0
		.amdhsa_exception_fp_ieee_underflow 0
		.amdhsa_exception_fp_ieee_inexact 0
		.amdhsa_exception_int_div_zero 0
	.end_amdhsa_kernel
	.section	.text._ZN9rocsparseL32bsr2csr_block_per_row_2_7_kernelILj256ELj2ElilEEv20rocsparse_direction_T3_S2_21rocsparse_index_base_PKT1_PKT2_PKS2_S2_S3_PS4_PS7_PS2_,"axG",@progbits,_ZN9rocsparseL32bsr2csr_block_per_row_2_7_kernelILj256ELj2ElilEEv20rocsparse_direction_T3_S2_21rocsparse_index_base_PKT1_PKT2_PKS2_S2_S3_PS4_PS7_PS2_,comdat
.Lfunc_end79:
	.size	_ZN9rocsparseL32bsr2csr_block_per_row_2_7_kernelILj256ELj2ElilEEv20rocsparse_direction_T3_S2_21rocsparse_index_base_PKT1_PKT2_PKS2_S2_S3_PS4_PS7_PS2_, .Lfunc_end79-_ZN9rocsparseL32bsr2csr_block_per_row_2_7_kernelILj256ELj2ElilEEv20rocsparse_direction_T3_S2_21rocsparse_index_base_PKT1_PKT2_PKS2_S2_S3_PS4_PS7_PS2_
                                        ; -- End function
	.set _ZN9rocsparseL32bsr2csr_block_per_row_2_7_kernelILj256ELj2ElilEEv20rocsparse_direction_T3_S2_21rocsparse_index_base_PKT1_PKT2_PKS2_S2_S3_PS4_PS7_PS2_.num_vgpr, 22
	.set _ZN9rocsparseL32bsr2csr_block_per_row_2_7_kernelILj256ELj2ElilEEv20rocsparse_direction_T3_S2_21rocsparse_index_base_PKT1_PKT2_PKS2_S2_S3_PS4_PS7_PS2_.num_agpr, 0
	.set _ZN9rocsparseL32bsr2csr_block_per_row_2_7_kernelILj256ELj2ElilEEv20rocsparse_direction_T3_S2_21rocsparse_index_base_PKT1_PKT2_PKS2_S2_S3_PS4_PS7_PS2_.numbered_sgpr, 16
	.set _ZN9rocsparseL32bsr2csr_block_per_row_2_7_kernelILj256ELj2ElilEEv20rocsparse_direction_T3_S2_21rocsparse_index_base_PKT1_PKT2_PKS2_S2_S3_PS4_PS7_PS2_.num_named_barrier, 0
	.set _ZN9rocsparseL32bsr2csr_block_per_row_2_7_kernelILj256ELj2ElilEEv20rocsparse_direction_T3_S2_21rocsparse_index_base_PKT1_PKT2_PKS2_S2_S3_PS4_PS7_PS2_.private_seg_size, 0
	.set _ZN9rocsparseL32bsr2csr_block_per_row_2_7_kernelILj256ELj2ElilEEv20rocsparse_direction_T3_S2_21rocsparse_index_base_PKT1_PKT2_PKS2_S2_S3_PS4_PS7_PS2_.uses_vcc, 1
	.set _ZN9rocsparseL32bsr2csr_block_per_row_2_7_kernelILj256ELj2ElilEEv20rocsparse_direction_T3_S2_21rocsparse_index_base_PKT1_PKT2_PKS2_S2_S3_PS4_PS7_PS2_.uses_flat_scratch, 0
	.set _ZN9rocsparseL32bsr2csr_block_per_row_2_7_kernelILj256ELj2ElilEEv20rocsparse_direction_T3_S2_21rocsparse_index_base_PKT1_PKT2_PKS2_S2_S3_PS4_PS7_PS2_.has_dyn_sized_stack, 0
	.set _ZN9rocsparseL32bsr2csr_block_per_row_2_7_kernelILj256ELj2ElilEEv20rocsparse_direction_T3_S2_21rocsparse_index_base_PKT1_PKT2_PKS2_S2_S3_PS4_PS7_PS2_.has_recursion, 0
	.set _ZN9rocsparseL32bsr2csr_block_per_row_2_7_kernelILj256ELj2ElilEEv20rocsparse_direction_T3_S2_21rocsparse_index_base_PKT1_PKT2_PKS2_S2_S3_PS4_PS7_PS2_.has_indirect_call, 0
	.section	.AMDGPU.csdata,"",@progbits
; Kernel info:
; codeLenInByte = 604
; TotalNumSgprs: 18
; NumVgprs: 22
; ScratchSize: 0
; MemoryBound: 0
; FloatMode: 240
; IeeeMode: 1
; LDSByteSize: 0 bytes/workgroup (compile time only)
; SGPRBlocks: 0
; VGPRBlocks: 1
; NumSGPRsForWavesPerEU: 18
; NumVGPRsForWavesPerEU: 22
; NamedBarCnt: 0
; Occupancy: 16
; WaveLimiterHint : 0
; COMPUTE_PGM_RSRC2:SCRATCH_EN: 0
; COMPUTE_PGM_RSRC2:USER_SGPR: 2
; COMPUTE_PGM_RSRC2:TRAP_HANDLER: 0
; COMPUTE_PGM_RSRC2:TGID_X_EN: 1
; COMPUTE_PGM_RSRC2:TGID_Y_EN: 0
; COMPUTE_PGM_RSRC2:TGID_Z_EN: 0
; COMPUTE_PGM_RSRC2:TIDIG_COMP_CNT: 0
	.section	.text._ZN9rocsparseL32bsr2csr_block_per_row_2_7_kernelILj256ELj3ElilEEv20rocsparse_direction_T3_S2_21rocsparse_index_base_PKT1_PKT2_PKS2_S2_S3_PS4_PS7_PS2_,"axG",@progbits,_ZN9rocsparseL32bsr2csr_block_per_row_2_7_kernelILj256ELj3ElilEEv20rocsparse_direction_T3_S2_21rocsparse_index_base_PKT1_PKT2_PKS2_S2_S3_PS4_PS7_PS2_,comdat
	.globl	_ZN9rocsparseL32bsr2csr_block_per_row_2_7_kernelILj256ELj3ElilEEv20rocsparse_direction_T3_S2_21rocsparse_index_base_PKT1_PKT2_PKS2_S2_S3_PS4_PS7_PS2_ ; -- Begin function _ZN9rocsparseL32bsr2csr_block_per_row_2_7_kernelILj256ELj3ElilEEv20rocsparse_direction_T3_S2_21rocsparse_index_base_PKT1_PKT2_PKS2_S2_S3_PS4_PS7_PS2_
	.p2align	8
	.type	_ZN9rocsparseL32bsr2csr_block_per_row_2_7_kernelILj256ELj3ElilEEv20rocsparse_direction_T3_S2_21rocsparse_index_base_PKT1_PKT2_PKS2_S2_S3_PS4_PS7_PS2_,@function
_ZN9rocsparseL32bsr2csr_block_per_row_2_7_kernelILj256ELj3ElilEEv20rocsparse_direction_T3_S2_21rocsparse_index_base_PKT1_PKT2_PKS2_S2_S3_PS4_PS7_PS2_: ; @_ZN9rocsparseL32bsr2csr_block_per_row_2_7_kernelILj256ELj3ElilEEv20rocsparse_direction_T3_S2_21rocsparse_index_base_PKT1_PKT2_PKS2_S2_S3_PS4_PS7_PS2_
; %bb.0:
	s_clause 0x1
	s_load_b32 s2, s[0:1], 0x40
	s_load_b64 s[6:7], s[0:1], 0x50
	s_bfe_u32 s3, ttmp6, 0x4000c
	s_and_b32 s4, ttmp6, 15
	s_add_co_i32 s3, s3, 1
	s_getreg_b32 s5, hwreg(HW_REG_IB_STS2, 6, 4)
	s_mul_i32 s3, ttmp9, s3
	s_mov_b32 s9, 0
	s_add_co_i32 s4, s4, s3
	s_cmp_eq_u32 s5, 0
	s_mov_b32 s3, exec_lo
	s_cselect_b32 s8, ttmp9, s4
	s_delay_alu instid0(SALU_CYCLE_1) | instskip(NEXT) | instid1(VALU_DEP_1)
	v_or_b32_e32 v1, s8, v0
	v_cmpx_eq_u32_e32 0, v1
	s_cbranch_execz .LBB80_2
; %bb.1:
	s_wait_kmcnt 0x0
	v_dual_mov_b32 v1, 0 :: v_dual_mov_b32 v2, s2
	global_store_b32 v1, v2, s[6:7]
.LBB80_2:
	s_wait_xcnt 0x0
	s_or_b32 exec_lo, exec_lo, s3
	v_and_b32_e32 v4, 3, v0
	s_mov_b32 s3, exec_lo
	s_delay_alu instid0(VALU_DEP_1)
	v_cmpx_ne_u32_e32 3, v4
	s_cbranch_execz .LBB80_6
; %bb.3:
	s_clause 0x1
	s_load_b64 s[10:11], s[0:1], 0x28
	s_load_b32 s4, s[0:1], 0x18
	s_lshl_b64 s[12:13], s[8:9], 2
	v_lshrrev_b32_e32 v2, 2, v0
	s_mul_u64 s[8:9], s[8:9], 12
	s_wait_kmcnt 0x0
	s_add_nc_u64 s[6:7], s[6:7], s[8:9]
	s_add_nc_u64 s[10:11], s[10:11], s[12:13]
	s_load_b64 s[12:13], s[10:11], 0x0
	s_wait_kmcnt 0x0
	s_sub_co_i32 s3, s12, s4
	s_sub_co_i32 s13, s13, s4
	v_add_nc_u32_e32 v8, s3, v2
	s_sub_co_i32 s5, s13, s3
	s_mul_i32 s10, s3, 9
	s_mul_i32 s5, s5, 3
	s_delay_alu instid0(SALU_CYCLE_1) | instskip(SKIP_2) | instid1(VALU_DEP_2)
	v_mul_lo_u32 v5, s5, v4
	s_add_co_i32 s5, s5, s2
	v_cmp_gt_i32_e32 vcc_lo, s13, v8
	v_add3_u32 v0, s5, s10, v5
	global_store_b32 v4, v0, s[6:7] offset:4 scale_offset
	s_wait_xcnt 0x0
	s_and_b32 exec_lo, exec_lo, vcc_lo
	s_cbranch_execz .LBB80_6
; %bb.4:
	s_clause 0x4
	s_load_b64 s[6:7], s[0:1], 0x48
	s_load_b64 s[14:15], s[0:1], 0x20
	s_load_b32 s3, s[0:1], 0x0
	s_load_b64 s[8:9], s[0:1], 0x30
	s_load_b64 s[10:11], s[0:1], 0x58
	v_dual_mov_b32 v1, 0 :: v_dual_lshlrev_b32 v0, 3, v4
	v_mul_u32_u24_e32 v6, 3, v2
	s_wait_xcnt 0x0
	s_mul_i32 s0, s12, 9
	s_mov_b32 s5, 0
	s_delay_alu instid0(SALU_CYCLE_1)
	s_mov_b32 s1, s5
	v_add3_u32 v6, v5, s0, v6
	s_mul_i32 s0, s4, 9
	s_delay_alu instid0(VALU_DEP_1) | instid1(SALU_CYCLE_1)
	v_subrev_nc_u32_e32 v6, s0, v6
	s_wait_kmcnt 0x0
	v_add_nc_u64_e32 v[2:3], s[14:15], v[0:1]
	v_lshlrev_b32_e32 v0, 4, v4
	s_cmp_eq_u32 s3, 0
	s_mov_b32 s3, s5
	s_cselect_b32 vcc_lo, -1, 0
	s_delay_alu instid0(VALU_DEP_1)
	v_add_nc_u64_e32 v[4:5], v[2:3], v[0:1]
	v_lshl_add_u32 v0, v8, 3, v8
.LBB80_5:                               ; =>This Inner Loop Header: Depth=1
	global_load_b64 v[14:15], v8, s[8:9] scale_offset
	v_lshlrev_b64_e32 v[10:11], 3, v[0:1]
	s_wait_xcnt 0x0
	v_dual_ashrrev_i32 v7, 31, v6 :: v_dual_add_nc_u32 v8, 64, v8
	v_add_nc_u32_e32 v0, 0x240, v0
	s_delay_alu instid0(VALU_DEP_2) | instskip(NEXT) | instid1(VALU_DEP_4)
	v_cmp_le_i32_e64 s0, s13, v8
	v_add_nc_u64_e32 v[12:13], v[4:5], v[10:11]
	v_add_nc_u64_e32 v[10:11], v[2:3], v[10:11]
	s_or_b32 s1, s0, s1
	s_delay_alu instid0(VALU_DEP_2) | instskip(NEXT) | instid1(VALU_DEP_2)
	v_add_nc_u64_e32 v[16:17], 16, v[12:13]
	v_add_nc_u64_e32 v[18:19], 48, v[10:11]
	;; [unrolled: 1-line block ×4, first 2 shown]
	v_dual_cndmask_b32 v25, v11, v13 :: v_dual_cndmask_b32 v24, v10, v12
	s_delay_alu instid0(VALU_DEP_4) | instskip(NEXT) | instid1(VALU_DEP_3)
	v_dual_cndmask_b32 v17, v19, v17 :: v_dual_cndmask_b32 v16, v18, v16
	v_dual_cndmask_b32 v19, v23, v21 :: v_dual_cndmask_b32 v18, v22, v20
	global_load_b64 v[20:21], v[16:17], off
	global_load_b64 v[10:11], v[24:25], off
	global_load_b64 v[12:13], v[18:19], off
	s_wait_loadcnt 0x3
	s_wait_xcnt 0x2
	v_sub_nc_u64_e64 v[16:17], v[14:15], s[4:5]
	s_delay_alu instid0(VALU_DEP_1) | instskip(NEXT) | instid1(VALU_DEP_1)
	v_mad_nc_u64_u32 v[14:15], v16, 3, s[2:3]
	v_mad_u32 v15, v17, 3, v15
	v_lshlrev_b64_e32 v[16:17], 3, v[6:7]
	s_wait_xcnt 0x1
	s_delay_alu instid0(VALU_DEP_1) | instskip(SKIP_2) | instid1(VALU_DEP_4)
	v_add_nc_u64_e32 v[24:25], s[6:7], v[16:17]
	v_add_nc_u64_e32 v[22:23], s[10:11], v[16:17]
	s_wait_xcnt 0x0
	v_add_nc_u64_e32 v[18:19], 2, v[14:15]
	v_add_nc_u64_e32 v[16:17], 1, v[14:15]
	global_store_b64 v6, v[18:19], s[10:11] offset:16 scale_offset
	s_wait_loadcnt 0x2
	global_store_b64 v6, v[20:21], s[6:7] offset:16 scale_offset
	s_wait_xcnt 0x0
	v_add_nc_u32_e32 v6, 0xc0, v6
	s_wait_loadcnt 0x0
	global_store_b128 v[24:25], v[10:13], off
	global_store_b128 v[22:23], v[14:17], off
	s_wait_xcnt 0x0
	s_and_not1_b32 exec_lo, exec_lo, s1
	s_cbranch_execnz .LBB80_5
.LBB80_6:
	s_endpgm
	.section	.rodata,"a",@progbits
	.p2align	6, 0x0
	.amdhsa_kernel _ZN9rocsparseL32bsr2csr_block_per_row_2_7_kernelILj256ELj3ElilEEv20rocsparse_direction_T3_S2_21rocsparse_index_base_PKT1_PKT2_PKS2_S2_S3_PS4_PS7_PS2_
		.amdhsa_group_segment_fixed_size 0
		.amdhsa_private_segment_fixed_size 0
		.amdhsa_kernarg_size 96
		.amdhsa_user_sgpr_count 2
		.amdhsa_user_sgpr_dispatch_ptr 0
		.amdhsa_user_sgpr_queue_ptr 0
		.amdhsa_user_sgpr_kernarg_segment_ptr 1
		.amdhsa_user_sgpr_dispatch_id 0
		.amdhsa_user_sgpr_kernarg_preload_length 0
		.amdhsa_user_sgpr_kernarg_preload_offset 0
		.amdhsa_user_sgpr_private_segment_size 0
		.amdhsa_wavefront_size32 1
		.amdhsa_uses_dynamic_stack 0
		.amdhsa_enable_private_segment 0
		.amdhsa_system_sgpr_workgroup_id_x 1
		.amdhsa_system_sgpr_workgroup_id_y 0
		.amdhsa_system_sgpr_workgroup_id_z 0
		.amdhsa_system_sgpr_workgroup_info 0
		.amdhsa_system_vgpr_workitem_id 0
		.amdhsa_next_free_vgpr 26
		.amdhsa_next_free_sgpr 16
		.amdhsa_named_barrier_count 0
		.amdhsa_reserve_vcc 1
		.amdhsa_float_round_mode_32 0
		.amdhsa_float_round_mode_16_64 0
		.amdhsa_float_denorm_mode_32 3
		.amdhsa_float_denorm_mode_16_64 3
		.amdhsa_fp16_overflow 0
		.amdhsa_memory_ordered 1
		.amdhsa_forward_progress 1
		.amdhsa_inst_pref_size 6
		.amdhsa_round_robin_scheduling 0
		.amdhsa_exception_fp_ieee_invalid_op 0
		.amdhsa_exception_fp_denorm_src 0
		.amdhsa_exception_fp_ieee_div_zero 0
		.amdhsa_exception_fp_ieee_overflow 0
		.amdhsa_exception_fp_ieee_underflow 0
		.amdhsa_exception_fp_ieee_inexact 0
		.amdhsa_exception_int_div_zero 0
	.end_amdhsa_kernel
	.section	.text._ZN9rocsparseL32bsr2csr_block_per_row_2_7_kernelILj256ELj3ElilEEv20rocsparse_direction_T3_S2_21rocsparse_index_base_PKT1_PKT2_PKS2_S2_S3_PS4_PS7_PS2_,"axG",@progbits,_ZN9rocsparseL32bsr2csr_block_per_row_2_7_kernelILj256ELj3ElilEEv20rocsparse_direction_T3_S2_21rocsparse_index_base_PKT1_PKT2_PKS2_S2_S3_PS4_PS7_PS2_,comdat
.Lfunc_end80:
	.size	_ZN9rocsparseL32bsr2csr_block_per_row_2_7_kernelILj256ELj3ElilEEv20rocsparse_direction_T3_S2_21rocsparse_index_base_PKT1_PKT2_PKS2_S2_S3_PS4_PS7_PS2_, .Lfunc_end80-_ZN9rocsparseL32bsr2csr_block_per_row_2_7_kernelILj256ELj3ElilEEv20rocsparse_direction_T3_S2_21rocsparse_index_base_PKT1_PKT2_PKS2_S2_S3_PS4_PS7_PS2_
                                        ; -- End function
	.set _ZN9rocsparseL32bsr2csr_block_per_row_2_7_kernelILj256ELj3ElilEEv20rocsparse_direction_T3_S2_21rocsparse_index_base_PKT1_PKT2_PKS2_S2_S3_PS4_PS7_PS2_.num_vgpr, 26
	.set _ZN9rocsparseL32bsr2csr_block_per_row_2_7_kernelILj256ELj3ElilEEv20rocsparse_direction_T3_S2_21rocsparse_index_base_PKT1_PKT2_PKS2_S2_S3_PS4_PS7_PS2_.num_agpr, 0
	.set _ZN9rocsparseL32bsr2csr_block_per_row_2_7_kernelILj256ELj3ElilEEv20rocsparse_direction_T3_S2_21rocsparse_index_base_PKT1_PKT2_PKS2_S2_S3_PS4_PS7_PS2_.numbered_sgpr, 16
	.set _ZN9rocsparseL32bsr2csr_block_per_row_2_7_kernelILj256ELj3ElilEEv20rocsparse_direction_T3_S2_21rocsparse_index_base_PKT1_PKT2_PKS2_S2_S3_PS4_PS7_PS2_.num_named_barrier, 0
	.set _ZN9rocsparseL32bsr2csr_block_per_row_2_7_kernelILj256ELj3ElilEEv20rocsparse_direction_T3_S2_21rocsparse_index_base_PKT1_PKT2_PKS2_S2_S3_PS4_PS7_PS2_.private_seg_size, 0
	.set _ZN9rocsparseL32bsr2csr_block_per_row_2_7_kernelILj256ELj3ElilEEv20rocsparse_direction_T3_S2_21rocsparse_index_base_PKT1_PKT2_PKS2_S2_S3_PS4_PS7_PS2_.uses_vcc, 1
	.set _ZN9rocsparseL32bsr2csr_block_per_row_2_7_kernelILj256ELj3ElilEEv20rocsparse_direction_T3_S2_21rocsparse_index_base_PKT1_PKT2_PKS2_S2_S3_PS4_PS7_PS2_.uses_flat_scratch, 0
	.set _ZN9rocsparseL32bsr2csr_block_per_row_2_7_kernelILj256ELj3ElilEEv20rocsparse_direction_T3_S2_21rocsparse_index_base_PKT1_PKT2_PKS2_S2_S3_PS4_PS7_PS2_.has_dyn_sized_stack, 0
	.set _ZN9rocsparseL32bsr2csr_block_per_row_2_7_kernelILj256ELj3ElilEEv20rocsparse_direction_T3_S2_21rocsparse_index_base_PKT1_PKT2_PKS2_S2_S3_PS4_PS7_PS2_.has_recursion, 0
	.set _ZN9rocsparseL32bsr2csr_block_per_row_2_7_kernelILj256ELj3ElilEEv20rocsparse_direction_T3_S2_21rocsparse_index_base_PKT1_PKT2_PKS2_S2_S3_PS4_PS7_PS2_.has_indirect_call, 0
	.section	.AMDGPU.csdata,"",@progbits
; Kernel info:
; codeLenInByte = 700
; TotalNumSgprs: 18
; NumVgprs: 26
; ScratchSize: 0
; MemoryBound: 0
; FloatMode: 240
; IeeeMode: 1
; LDSByteSize: 0 bytes/workgroup (compile time only)
; SGPRBlocks: 0
; VGPRBlocks: 1
; NumSGPRsForWavesPerEU: 18
; NumVGPRsForWavesPerEU: 26
; NamedBarCnt: 0
; Occupancy: 16
; WaveLimiterHint : 0
; COMPUTE_PGM_RSRC2:SCRATCH_EN: 0
; COMPUTE_PGM_RSRC2:USER_SGPR: 2
; COMPUTE_PGM_RSRC2:TRAP_HANDLER: 0
; COMPUTE_PGM_RSRC2:TGID_X_EN: 1
; COMPUTE_PGM_RSRC2:TGID_Y_EN: 0
; COMPUTE_PGM_RSRC2:TGID_Z_EN: 0
; COMPUTE_PGM_RSRC2:TIDIG_COMP_CNT: 0
	.section	.text._ZN9rocsparseL32bsr2csr_block_per_row_2_7_kernelILj256ELj4ElilEEv20rocsparse_direction_T3_S2_21rocsparse_index_base_PKT1_PKT2_PKS2_S2_S3_PS4_PS7_PS2_,"axG",@progbits,_ZN9rocsparseL32bsr2csr_block_per_row_2_7_kernelILj256ELj4ElilEEv20rocsparse_direction_T3_S2_21rocsparse_index_base_PKT1_PKT2_PKS2_S2_S3_PS4_PS7_PS2_,comdat
	.globl	_ZN9rocsparseL32bsr2csr_block_per_row_2_7_kernelILj256ELj4ElilEEv20rocsparse_direction_T3_S2_21rocsparse_index_base_PKT1_PKT2_PKS2_S2_S3_PS4_PS7_PS2_ ; -- Begin function _ZN9rocsparseL32bsr2csr_block_per_row_2_7_kernelILj256ELj4ElilEEv20rocsparse_direction_T3_S2_21rocsparse_index_base_PKT1_PKT2_PKS2_S2_S3_PS4_PS7_PS2_
	.p2align	8
	.type	_ZN9rocsparseL32bsr2csr_block_per_row_2_7_kernelILj256ELj4ElilEEv20rocsparse_direction_T3_S2_21rocsparse_index_base_PKT1_PKT2_PKS2_S2_S3_PS4_PS7_PS2_,@function
_ZN9rocsparseL32bsr2csr_block_per_row_2_7_kernelILj256ELj4ElilEEv20rocsparse_direction_T3_S2_21rocsparse_index_base_PKT1_PKT2_PKS2_S2_S3_PS4_PS7_PS2_: ; @_ZN9rocsparseL32bsr2csr_block_per_row_2_7_kernelILj256ELj4ElilEEv20rocsparse_direction_T3_S2_21rocsparse_index_base_PKT1_PKT2_PKS2_S2_S3_PS4_PS7_PS2_
; %bb.0:
	s_load_b64 s[4:5], s[0:1], 0x28
	s_bfe_u32 s2, ttmp6, 0x4000c
	s_and_b32 s3, ttmp6, 15
	s_add_co_i32 s2, s2, 1
	s_getreg_b32 s6, hwreg(HW_REG_IB_STS2, 6, 4)
	s_mul_i32 s2, ttmp9, s2
	s_mov_b32 s7, 0
	s_add_co_i32 s3, s3, s2
	s_cmp_eq_u32 s6, 0
	s_clause 0x1
	s_load_b32 s2, s[0:1], 0x40
	s_load_b64 s[8:9], s[0:1], 0x50
	s_cselect_b32 s6, ttmp9, s3
	s_mov_b32 s3, exec_lo
	s_lshl_b64 s[10:11], s[6:7], 2
	v_or_b32_e32 v1, s6, v0
	s_wait_kmcnt 0x0
	s_add_nc_u64 s[4:5], s[4:5], s[10:11]
	s_load_b64 s[14:15], s[4:5], 0x0
	s_delay_alu instid0(VALU_DEP_1)
	v_cmpx_eq_u32_e32 0, v1
	s_cbranch_execz .LBB81_2
; %bb.1:
	v_dual_mov_b32 v1, 0 :: v_dual_mov_b32 v2, s2
	global_store_b32 v1, v2, s[8:9]
.LBB81_2:
	s_wait_xcnt 0x0
	s_or_b32 exec_lo, exec_lo, s3
	s_load_b32 s4, s[0:1], 0x18
	v_dual_lshrrev_b32 v0, 2, v0 :: v_dual_bitop2_b32 v8, 3, v0 bitop3:0x40
	s_lshl_b64 s[6:7], s[6:7], 4
	s_delay_alu instid0(SALU_CYCLE_1)
	s_add_nc_u64 s[6:7], s[8:9], s[6:7]
	s_wait_kmcnt 0x0
	s_sub_co_i32 s3, s14, s4
	s_sub_co_i32 s15, s15, s4
	s_lshl_b32 s10, s3, 4
	s_sub_co_i32 s5, s15, s3
	v_add_nc_u32_e32 v9, s3, v0
	s_lshl_b32 s5, s5, 2
	s_mov_b32 s3, exec_lo
	v_mul_lo_u32 v2, s5, v8
	s_add_co_i32 s5, s5, s2
	s_delay_alu instid0(VALU_DEP_1) | instid1(SALU_CYCLE_1)
	v_add3_u32 v1, s5, s10, v2
	global_store_b32 v8, v1, s[6:7] offset:4 scale_offset
	s_wait_xcnt 0x0
	v_cmpx_gt_i32_e64 s15, v9
	s_cbranch_execz .LBB81_5
; %bb.3:
	s_clause 0x4
	s_load_b64 s[6:7], s[0:1], 0x30
	s_load_b64 s[8:9], s[0:1], 0x48
	s_load_b32 s3, s[0:1], 0x0
	s_load_b64 s[10:11], s[0:1], 0x20
	s_load_b64 s[12:13], s[0:1], 0x58
	v_dual_lshlrev_b32 v3, 2, v0 :: v_dual_mov_b32 v1, 0
	v_dual_lshlrev_b32 v0, 5, v8 :: v_dual_lshlrev_b32 v6, 4, v9
	s_mov_b32 s5, 0
	s_wait_xcnt 0x0
	s_mov_b32 s1, s5
	s_wait_kmcnt 0x0
	s_cmp_eq_u32 s3, 0
	s_mov_b32 s3, s5
	s_cselect_b32 vcc_lo, -1, 0
	s_lshl_b32 s0, s14, 4
	s_delay_alu instid0(SALU_CYCLE_1) | instskip(SKIP_2) | instid1(VALU_DEP_2)
	v_add3_u32 v4, v2, s0, v3
	s_lshl_b32 s0, s4, 4
	v_add_nc_u64_e32 v[2:3], s[10:11], v[0:1]
	v_subrev_nc_u32_e32 v4, s0, v4
.LBB81_4:                               ; =>This Inner Loop Header: Depth=1
	v_dual_mov_b32 v7, v1 :: v_dual_add_nc_u32 v0, v8, v6
	global_load_b64 v[18:19], v9, s[6:7] scale_offset
	s_wait_xcnt 0x0
	v_dual_ashrrev_i32 v5, 31, v4 :: v_dual_add_nc_u32 v9, 64, v9
	v_lshl_add_u64 v[10:11], v[6:7], 3, v[2:3]
	v_lshl_add_u64 v[12:13], v[0:1], 3, s[10:11]
	v_add_nc_u32_e32 v6, 0x400, v6
	s_delay_alu instid0(VALU_DEP_4) | instskip(NEXT) | instid1(VALU_DEP_4)
	v_cmp_le_i32_e64 s0, s15, v9
	v_add_nc_u64_e32 v[14:15], 8, v[10:11]
	s_delay_alu instid0(VALU_DEP_4)
	v_add_nc_u64_e32 v[16:17], 32, v[12:13]
	v_add_nc_u64_e32 v[20:21], 16, v[10:11]
	;; [unrolled: 1-line block ×5, first 2 shown]
	v_dual_cndmask_b32 v29, v13, v11 :: v_dual_cndmask_b32 v28, v12, v10
	v_dual_cndmask_b32 v31, v17, v15 :: v_dual_cndmask_b32 v30, v16, v14
	;; [unrolled: 1-line block ×3, first 2 shown]
	s_delay_alu instid0(VALU_DEP_4)
	v_dual_cndmask_b32 v23, v27, v25 :: v_dual_cndmask_b32 v22, v26, v24
	global_load_b64 v[10:11], v[28:29], off
	global_load_b64 v[12:13], v[30:31], off
	;; [unrolled: 1-line block ×4, first 2 shown]
	s_wait_xcnt 0x1
	v_lshlrev_b64_e32 v[20:21], 3, v[4:5]
	v_add_nc_u32_e32 v4, 0x100, v4
	s_or_b32 s1, s0, s1
	s_delay_alu instid0(VALU_DEP_2) | instskip(SKIP_3) | instid1(VALU_DEP_1)
	v_add_nc_u64_e32 v[26:27], s[12:13], v[20:21]
	v_add_nc_u64_e32 v[28:29], s[8:9], v[20:21]
	s_wait_loadcnt 0x4
	v_sub_nc_u64_e64 v[18:19], v[18:19], s[4:5]
	v_lshl_add_u64 v[18:19], v[18:19], 2, s[2:3]
	s_delay_alu instid0(VALU_DEP_1)
	v_add_nc_u64_e32 v[20:21], 1, v[18:19]
	s_wait_xcnt 0x0
	v_add_nc_u64_e32 v[22:23], 2, v[18:19]
	v_add_nc_u64_e32 v[24:25], 3, v[18:19]
	s_clause 0x1
	global_store_b128 v[26:27], v[18:21], off
	global_store_b128 v[26:27], v[22:25], off offset:16
	s_wait_loadcnt 0x2
	global_store_b128 v[28:29], v[10:13], off
	s_wait_loadcnt 0x0
	global_store_b128 v[28:29], v[14:17], off offset:16
	s_wait_xcnt 0x0
	s_and_not1_b32 exec_lo, exec_lo, s1
	s_cbranch_execnz .LBB81_4
.LBB81_5:
	s_endpgm
	.section	.rodata,"a",@progbits
	.p2align	6, 0x0
	.amdhsa_kernel _ZN9rocsparseL32bsr2csr_block_per_row_2_7_kernelILj256ELj4ElilEEv20rocsparse_direction_T3_S2_21rocsparse_index_base_PKT1_PKT2_PKS2_S2_S3_PS4_PS7_PS2_
		.amdhsa_group_segment_fixed_size 0
		.amdhsa_private_segment_fixed_size 0
		.amdhsa_kernarg_size 96
		.amdhsa_user_sgpr_count 2
		.amdhsa_user_sgpr_dispatch_ptr 0
		.amdhsa_user_sgpr_queue_ptr 0
		.amdhsa_user_sgpr_kernarg_segment_ptr 1
		.amdhsa_user_sgpr_dispatch_id 0
		.amdhsa_user_sgpr_kernarg_preload_length 0
		.amdhsa_user_sgpr_kernarg_preload_offset 0
		.amdhsa_user_sgpr_private_segment_size 0
		.amdhsa_wavefront_size32 1
		.amdhsa_uses_dynamic_stack 0
		.amdhsa_enable_private_segment 0
		.amdhsa_system_sgpr_workgroup_id_x 1
		.amdhsa_system_sgpr_workgroup_id_y 0
		.amdhsa_system_sgpr_workgroup_id_z 0
		.amdhsa_system_sgpr_workgroup_info 0
		.amdhsa_system_vgpr_workitem_id 0
		.amdhsa_next_free_vgpr 32
		.amdhsa_next_free_sgpr 16
		.amdhsa_named_barrier_count 0
		.amdhsa_reserve_vcc 1
		.amdhsa_float_round_mode_32 0
		.amdhsa_float_round_mode_16_64 0
		.amdhsa_float_denorm_mode_32 3
		.amdhsa_float_denorm_mode_16_64 3
		.amdhsa_fp16_overflow 0
		.amdhsa_memory_ordered 1
		.amdhsa_forward_progress 1
		.amdhsa_inst_pref_size 6
		.amdhsa_round_robin_scheduling 0
		.amdhsa_exception_fp_ieee_invalid_op 0
		.amdhsa_exception_fp_denorm_src 0
		.amdhsa_exception_fp_ieee_div_zero 0
		.amdhsa_exception_fp_ieee_overflow 0
		.amdhsa_exception_fp_ieee_underflow 0
		.amdhsa_exception_fp_ieee_inexact 0
		.amdhsa_exception_int_div_zero 0
	.end_amdhsa_kernel
	.section	.text._ZN9rocsparseL32bsr2csr_block_per_row_2_7_kernelILj256ELj4ElilEEv20rocsparse_direction_T3_S2_21rocsparse_index_base_PKT1_PKT2_PKS2_S2_S3_PS4_PS7_PS2_,"axG",@progbits,_ZN9rocsparseL32bsr2csr_block_per_row_2_7_kernelILj256ELj4ElilEEv20rocsparse_direction_T3_S2_21rocsparse_index_base_PKT1_PKT2_PKS2_S2_S3_PS4_PS7_PS2_,comdat
.Lfunc_end81:
	.size	_ZN9rocsparseL32bsr2csr_block_per_row_2_7_kernelILj256ELj4ElilEEv20rocsparse_direction_T3_S2_21rocsparse_index_base_PKT1_PKT2_PKS2_S2_S3_PS4_PS7_PS2_, .Lfunc_end81-_ZN9rocsparseL32bsr2csr_block_per_row_2_7_kernelILj256ELj4ElilEEv20rocsparse_direction_T3_S2_21rocsparse_index_base_PKT1_PKT2_PKS2_S2_S3_PS4_PS7_PS2_
                                        ; -- End function
	.set _ZN9rocsparseL32bsr2csr_block_per_row_2_7_kernelILj256ELj4ElilEEv20rocsparse_direction_T3_S2_21rocsparse_index_base_PKT1_PKT2_PKS2_S2_S3_PS4_PS7_PS2_.num_vgpr, 32
	.set _ZN9rocsparseL32bsr2csr_block_per_row_2_7_kernelILj256ELj4ElilEEv20rocsparse_direction_T3_S2_21rocsparse_index_base_PKT1_PKT2_PKS2_S2_S3_PS4_PS7_PS2_.num_agpr, 0
	.set _ZN9rocsparseL32bsr2csr_block_per_row_2_7_kernelILj256ELj4ElilEEv20rocsparse_direction_T3_S2_21rocsparse_index_base_PKT1_PKT2_PKS2_S2_S3_PS4_PS7_PS2_.numbered_sgpr, 16
	.set _ZN9rocsparseL32bsr2csr_block_per_row_2_7_kernelILj256ELj4ElilEEv20rocsparse_direction_T3_S2_21rocsparse_index_base_PKT1_PKT2_PKS2_S2_S3_PS4_PS7_PS2_.num_named_barrier, 0
	.set _ZN9rocsparseL32bsr2csr_block_per_row_2_7_kernelILj256ELj4ElilEEv20rocsparse_direction_T3_S2_21rocsparse_index_base_PKT1_PKT2_PKS2_S2_S3_PS4_PS7_PS2_.private_seg_size, 0
	.set _ZN9rocsparseL32bsr2csr_block_per_row_2_7_kernelILj256ELj4ElilEEv20rocsparse_direction_T3_S2_21rocsparse_index_base_PKT1_PKT2_PKS2_S2_S3_PS4_PS7_PS2_.uses_vcc, 1
	.set _ZN9rocsparseL32bsr2csr_block_per_row_2_7_kernelILj256ELj4ElilEEv20rocsparse_direction_T3_S2_21rocsparse_index_base_PKT1_PKT2_PKS2_S2_S3_PS4_PS7_PS2_.uses_flat_scratch, 0
	.set _ZN9rocsparseL32bsr2csr_block_per_row_2_7_kernelILj256ELj4ElilEEv20rocsparse_direction_T3_S2_21rocsparse_index_base_PKT1_PKT2_PKS2_S2_S3_PS4_PS7_PS2_.has_dyn_sized_stack, 0
	.set _ZN9rocsparseL32bsr2csr_block_per_row_2_7_kernelILj256ELj4ElilEEv20rocsparse_direction_T3_S2_21rocsparse_index_base_PKT1_PKT2_PKS2_S2_S3_PS4_PS7_PS2_.has_recursion, 0
	.set _ZN9rocsparseL32bsr2csr_block_per_row_2_7_kernelILj256ELj4ElilEEv20rocsparse_direction_T3_S2_21rocsparse_index_base_PKT1_PKT2_PKS2_S2_S3_PS4_PS7_PS2_.has_indirect_call, 0
	.section	.AMDGPU.csdata,"",@progbits
; Kernel info:
; codeLenInByte = 712
; TotalNumSgprs: 18
; NumVgprs: 32
; ScratchSize: 0
; MemoryBound: 0
; FloatMode: 240
; IeeeMode: 1
; LDSByteSize: 0 bytes/workgroup (compile time only)
; SGPRBlocks: 0
; VGPRBlocks: 1
; NumSGPRsForWavesPerEU: 18
; NumVGPRsForWavesPerEU: 32
; NamedBarCnt: 0
; Occupancy: 16
; WaveLimiterHint : 0
; COMPUTE_PGM_RSRC2:SCRATCH_EN: 0
; COMPUTE_PGM_RSRC2:USER_SGPR: 2
; COMPUTE_PGM_RSRC2:TRAP_HANDLER: 0
; COMPUTE_PGM_RSRC2:TGID_X_EN: 1
; COMPUTE_PGM_RSRC2:TGID_Y_EN: 0
; COMPUTE_PGM_RSRC2:TGID_Z_EN: 0
; COMPUTE_PGM_RSRC2:TIDIG_COMP_CNT: 0
	.section	.text._ZN9rocsparseL32bsr2csr_block_per_row_2_7_kernelILj256ELj5ElilEEv20rocsparse_direction_T3_S2_21rocsparse_index_base_PKT1_PKT2_PKS2_S2_S3_PS4_PS7_PS2_,"axG",@progbits,_ZN9rocsparseL32bsr2csr_block_per_row_2_7_kernelILj256ELj5ElilEEv20rocsparse_direction_T3_S2_21rocsparse_index_base_PKT1_PKT2_PKS2_S2_S3_PS4_PS7_PS2_,comdat
	.globl	_ZN9rocsparseL32bsr2csr_block_per_row_2_7_kernelILj256ELj5ElilEEv20rocsparse_direction_T3_S2_21rocsparse_index_base_PKT1_PKT2_PKS2_S2_S3_PS4_PS7_PS2_ ; -- Begin function _ZN9rocsparseL32bsr2csr_block_per_row_2_7_kernelILj256ELj5ElilEEv20rocsparse_direction_T3_S2_21rocsparse_index_base_PKT1_PKT2_PKS2_S2_S3_PS4_PS7_PS2_
	.p2align	8
	.type	_ZN9rocsparseL32bsr2csr_block_per_row_2_7_kernelILj256ELj5ElilEEv20rocsparse_direction_T3_S2_21rocsparse_index_base_PKT1_PKT2_PKS2_S2_S3_PS4_PS7_PS2_,@function
_ZN9rocsparseL32bsr2csr_block_per_row_2_7_kernelILj256ELj5ElilEEv20rocsparse_direction_T3_S2_21rocsparse_index_base_PKT1_PKT2_PKS2_S2_S3_PS4_PS7_PS2_: ; @_ZN9rocsparseL32bsr2csr_block_per_row_2_7_kernelILj256ELj5ElilEEv20rocsparse_direction_T3_S2_21rocsparse_index_base_PKT1_PKT2_PKS2_S2_S3_PS4_PS7_PS2_
; %bb.0:
	s_clause 0x1
	s_load_b32 s2, s[0:1], 0x40
	s_load_b64 s[6:7], s[0:1], 0x50
	s_bfe_u32 s3, ttmp6, 0x4000c
	s_and_b32 s4, ttmp6, 15
	s_add_co_i32 s3, s3, 1
	s_getreg_b32 s5, hwreg(HW_REG_IB_STS2, 6, 4)
	s_mul_i32 s3, ttmp9, s3
	s_mov_b32 s9, 0
	s_add_co_i32 s4, s4, s3
	s_cmp_eq_u32 s5, 0
	s_mov_b32 s3, exec_lo
	s_cselect_b32 s8, ttmp9, s4
	s_delay_alu instid0(SALU_CYCLE_1) | instskip(NEXT) | instid1(VALU_DEP_1)
	v_or_b32_e32 v1, s8, v0
	v_cmpx_eq_u32_e32 0, v1
	s_cbranch_execz .LBB82_2
; %bb.1:
	s_wait_kmcnt 0x0
	v_dual_mov_b32 v1, 0 :: v_dual_mov_b32 v2, s2
	global_store_b32 v1, v2, s[6:7]
.LBB82_2:
	s_wait_xcnt 0x0
	s_or_b32 exec_lo, exec_lo, s3
	v_and_b32_e32 v4, 7, v0
	s_mov_b32 s3, exec_lo
	s_delay_alu instid0(VALU_DEP_1)
	v_cmpx_gt_u32_e32 5, v4
	s_cbranch_execz .LBB82_6
; %bb.3:
	s_clause 0x1
	s_load_b64 s[10:11], s[0:1], 0x28
	s_load_b32 s4, s[0:1], 0x18
	s_lshl_b64 s[12:13], s[8:9], 2
	v_lshrrev_b32_e32 v5, 3, v0
	s_mul_u64 s[8:9], s[8:9], 20
	s_wait_kmcnt 0x0
	s_add_nc_u64 s[6:7], s[6:7], s[8:9]
	s_add_nc_u64 s[10:11], s[10:11], s[12:13]
	s_load_b64 s[12:13], s[10:11], 0x0
	s_wait_kmcnt 0x0
	s_sub_co_i32 s3, s12, s4
	s_sub_co_i32 s13, s13, s4
	v_add_nc_u32_e32 v8, s3, v5
	s_sub_co_i32 s5, s13, s3
	s_mul_i32 s10, s3, 25
	s_mul_i32 s5, s5, 5
	s_delay_alu instid0(SALU_CYCLE_1) | instskip(SKIP_2) | instid1(VALU_DEP_2)
	v_mul_lo_u32 v6, s5, v4
	s_add_co_i32 s5, s5, s2
	v_cmp_gt_i32_e32 vcc_lo, s13, v8
	v_add3_u32 v0, s5, s10, v6
	global_store_b32 v4, v0, s[6:7] offset:4 scale_offset
	s_wait_xcnt 0x0
	s_and_b32 exec_lo, exec_lo, vcc_lo
	s_cbranch_execz .LBB82_6
; %bb.4:
	s_clause 0x2
	s_load_b64 s[6:7], s[0:1], 0x48
	s_load_b64 s[14:15], s[0:1], 0x20
	s_load_b32 s3, s[0:1], 0x0
	v_dual_mov_b32 v1, 0 :: v_dual_lshlrev_b32 v0, 3, v4
	s_clause 0x1
	s_load_b64 s[8:9], s[0:1], 0x30
	s_load_b64 s[10:11], s[0:1], 0x58
	v_mul_u32_u24_e32 v7, 5, v5
	s_wait_xcnt 0x0
	s_mul_i32 s0, s12, 25
	s_mov_b32 s5, 0
	s_delay_alu instid0(SALU_CYCLE_1)
	s_mov_b32 s1, s5
	v_add3_u32 v6, v6, s0, v7
	s_mul_i32 s0, s4, 25
	s_delay_alu instid0(VALU_DEP_1) | instid1(SALU_CYCLE_1)
	v_subrev_nc_u32_e32 v6, s0, v6
	s_wait_kmcnt 0x0
	v_add_nc_u64_e32 v[2:3], s[14:15], v[0:1]
	v_lshlrev_b32_e32 v0, 5, v4
	s_cmp_eq_u32 s3, 0
	s_mov_b32 s3, s5
	s_cselect_b32 vcc_lo, -1, 0
	s_delay_alu instid0(VALU_DEP_1)
	v_add_nc_u64_e32 v[4:5], v[2:3], v[0:1]
	v_mul_lo_u32 v0, v8, 25
.LBB82_5:                               ; =>This Inner Loop Header: Depth=1
	global_load_b64 v[18:19], v8, s[8:9] scale_offset
	v_lshlrev_b64_e32 v[10:11], 3, v[0:1]
	s_wait_xcnt 0x0
	v_dual_ashrrev_i32 v7, 31, v6 :: v_dual_add_nc_u32 v8, 32, v8
	v_add_nc_u32_e32 v0, 0x320, v0
	s_delay_alu instid0(VALU_DEP_2) | instskip(NEXT) | instid1(VALU_DEP_4)
	v_cmp_le_i32_e64 s0, s13, v8
	v_add_nc_u64_e32 v[12:13], v[2:3], v[10:11]
	v_add_nc_u64_e32 v[10:11], v[4:5], v[10:11]
	s_or_b32 s1, s0, s1
	s_delay_alu instid0(VALU_DEP_2) | instskip(NEXT) | instid1(VALU_DEP_2)
	v_add_nc_u64_e32 v[24:25], 0x50, v[12:13]
	v_add_nc_u64_e32 v[22:23], 16, v[10:11]
	;; [unrolled: 1-line block ×6, first 2 shown]
	v_dual_cndmask_b32 v15, v13, v11 :: v_dual_cndmask_b32 v14, v12, v10
	v_add_nc_u64_e32 v[30:31], 24, v[10:11]
	v_add_nc_u64_e32 v[12:13], 0x78, v[12:13]
	v_dual_cndmask_b32 v23, v25, v23 :: v_dual_cndmask_b32 v26, v28, v26
	v_dual_cndmask_b32 v27, v29, v27 :: v_dual_cndmask_b32 v22, v24, v22
	;; [unrolled: 1-line block ×3, first 2 shown]
	s_delay_alu instid0(VALU_DEP_4)
	v_dual_cndmask_b32 v25, v13, v31 :: v_dual_cndmask_b32 v24, v12, v30
	global_load_b64 v[10:11], v[14:15], off
	global_load_b64 v[28:29], v[26:27], off
	;; [unrolled: 1-line block ×5, first 2 shown]
	s_wait_loadcnt 0x5
	s_wait_xcnt 0x2
	v_sub_nc_u64_e64 v[20:21], v[18:19], s[4:5]
	s_delay_alu instid0(VALU_DEP_1) | instskip(NEXT) | instid1(VALU_DEP_1)
	v_mad_nc_u64_u32 v[18:19], v20, 5, s[2:3]
	v_mad_u32 v19, v21, 5, v19
	v_lshlrev_b64_e32 v[20:21], 3, v[6:7]
	s_delay_alu instid0(VALU_DEP_1) | instskip(SKIP_1) | instid1(VALU_DEP_4)
	v_add_nc_u64_e32 v[32:33], s[6:7], v[20:21]
	v_add_nc_u64_e32 v[26:27], s[10:11], v[20:21]
	;; [unrolled: 1-line block ×4, first 2 shown]
	s_wait_xcnt 0x1
	v_add_nc_u64_e32 v[22:23], 2, v[18:19]
	s_wait_xcnt 0x0
	v_add_nc_u64_e32 v[24:25], 3, v[18:19]
	global_store_b64 v6, v[30:31], s[10:11] offset:32 scale_offset
	s_wait_loadcnt 0x3
	global_store_b64 v6, v[28:29], s[6:7] offset:32 scale_offset
	s_wait_xcnt 0x0
	v_add_nc_u32_e32 v6, 0xa0, v6
	s_wait_loadcnt 0x2
	global_store_b128 v[32:33], v[10:13], off
	s_wait_loadcnt 0x0
	global_store_b128 v[32:33], v[14:17], off offset:16
	s_clause 0x1
	global_store_b128 v[26:27], v[18:21], off
	global_store_b128 v[26:27], v[22:25], off offset:16
	s_wait_xcnt 0x0
	s_and_not1_b32 exec_lo, exec_lo, s1
	s_cbranch_execnz .LBB82_5
.LBB82_6:
	s_endpgm
	.section	.rodata,"a",@progbits
	.p2align	6, 0x0
	.amdhsa_kernel _ZN9rocsparseL32bsr2csr_block_per_row_2_7_kernelILj256ELj5ElilEEv20rocsparse_direction_T3_S2_21rocsparse_index_base_PKT1_PKT2_PKS2_S2_S3_PS4_PS7_PS2_
		.amdhsa_group_segment_fixed_size 0
		.amdhsa_private_segment_fixed_size 0
		.amdhsa_kernarg_size 96
		.amdhsa_user_sgpr_count 2
		.amdhsa_user_sgpr_dispatch_ptr 0
		.amdhsa_user_sgpr_queue_ptr 0
		.amdhsa_user_sgpr_kernarg_segment_ptr 1
		.amdhsa_user_sgpr_dispatch_id 0
		.amdhsa_user_sgpr_kernarg_preload_length 0
		.amdhsa_user_sgpr_kernarg_preload_offset 0
		.amdhsa_user_sgpr_private_segment_size 0
		.amdhsa_wavefront_size32 1
		.amdhsa_uses_dynamic_stack 0
		.amdhsa_enable_private_segment 0
		.amdhsa_system_sgpr_workgroup_id_x 1
		.amdhsa_system_sgpr_workgroup_id_y 0
		.amdhsa_system_sgpr_workgroup_id_z 0
		.amdhsa_system_sgpr_workgroup_info 0
		.amdhsa_system_vgpr_workitem_id 0
		.amdhsa_next_free_vgpr 34
		.amdhsa_next_free_sgpr 16
		.amdhsa_named_barrier_count 0
		.amdhsa_reserve_vcc 1
		.amdhsa_float_round_mode_32 0
		.amdhsa_float_round_mode_16_64 0
		.amdhsa_float_denorm_mode_32 3
		.amdhsa_float_denorm_mode_16_64 3
		.amdhsa_fp16_overflow 0
		.amdhsa_memory_ordered 1
		.amdhsa_forward_progress 1
		.amdhsa_inst_pref_size 7
		.amdhsa_round_robin_scheduling 0
		.amdhsa_exception_fp_ieee_invalid_op 0
		.amdhsa_exception_fp_denorm_src 0
		.amdhsa_exception_fp_ieee_div_zero 0
		.amdhsa_exception_fp_ieee_overflow 0
		.amdhsa_exception_fp_ieee_underflow 0
		.amdhsa_exception_fp_ieee_inexact 0
		.amdhsa_exception_int_div_zero 0
	.end_amdhsa_kernel
	.section	.text._ZN9rocsparseL32bsr2csr_block_per_row_2_7_kernelILj256ELj5ElilEEv20rocsparse_direction_T3_S2_21rocsparse_index_base_PKT1_PKT2_PKS2_S2_S3_PS4_PS7_PS2_,"axG",@progbits,_ZN9rocsparseL32bsr2csr_block_per_row_2_7_kernelILj256ELj5ElilEEv20rocsparse_direction_T3_S2_21rocsparse_index_base_PKT1_PKT2_PKS2_S2_S3_PS4_PS7_PS2_,comdat
.Lfunc_end82:
	.size	_ZN9rocsparseL32bsr2csr_block_per_row_2_7_kernelILj256ELj5ElilEEv20rocsparse_direction_T3_S2_21rocsparse_index_base_PKT1_PKT2_PKS2_S2_S3_PS4_PS7_PS2_, .Lfunc_end82-_ZN9rocsparseL32bsr2csr_block_per_row_2_7_kernelILj256ELj5ElilEEv20rocsparse_direction_T3_S2_21rocsparse_index_base_PKT1_PKT2_PKS2_S2_S3_PS4_PS7_PS2_
                                        ; -- End function
	.set _ZN9rocsparseL32bsr2csr_block_per_row_2_7_kernelILj256ELj5ElilEEv20rocsparse_direction_T3_S2_21rocsparse_index_base_PKT1_PKT2_PKS2_S2_S3_PS4_PS7_PS2_.num_vgpr, 34
	.set _ZN9rocsparseL32bsr2csr_block_per_row_2_7_kernelILj256ELj5ElilEEv20rocsparse_direction_T3_S2_21rocsparse_index_base_PKT1_PKT2_PKS2_S2_S3_PS4_PS7_PS2_.num_agpr, 0
	.set _ZN9rocsparseL32bsr2csr_block_per_row_2_7_kernelILj256ELj5ElilEEv20rocsparse_direction_T3_S2_21rocsparse_index_base_PKT1_PKT2_PKS2_S2_S3_PS4_PS7_PS2_.numbered_sgpr, 16
	.set _ZN9rocsparseL32bsr2csr_block_per_row_2_7_kernelILj256ELj5ElilEEv20rocsparse_direction_T3_S2_21rocsparse_index_base_PKT1_PKT2_PKS2_S2_S3_PS4_PS7_PS2_.num_named_barrier, 0
	.set _ZN9rocsparseL32bsr2csr_block_per_row_2_7_kernelILj256ELj5ElilEEv20rocsparse_direction_T3_S2_21rocsparse_index_base_PKT1_PKT2_PKS2_S2_S3_PS4_PS7_PS2_.private_seg_size, 0
	.set _ZN9rocsparseL32bsr2csr_block_per_row_2_7_kernelILj256ELj5ElilEEv20rocsparse_direction_T3_S2_21rocsparse_index_base_PKT1_PKT2_PKS2_S2_S3_PS4_PS7_PS2_.uses_vcc, 1
	.set _ZN9rocsparseL32bsr2csr_block_per_row_2_7_kernelILj256ELj5ElilEEv20rocsparse_direction_T3_S2_21rocsparse_index_base_PKT1_PKT2_PKS2_S2_S3_PS4_PS7_PS2_.uses_flat_scratch, 0
	.set _ZN9rocsparseL32bsr2csr_block_per_row_2_7_kernelILj256ELj5ElilEEv20rocsparse_direction_T3_S2_21rocsparse_index_base_PKT1_PKT2_PKS2_S2_S3_PS4_PS7_PS2_.has_dyn_sized_stack, 0
	.set _ZN9rocsparseL32bsr2csr_block_per_row_2_7_kernelILj256ELj5ElilEEv20rocsparse_direction_T3_S2_21rocsparse_index_base_PKT1_PKT2_PKS2_S2_S3_PS4_PS7_PS2_.has_recursion, 0
	.set _ZN9rocsparseL32bsr2csr_block_per_row_2_7_kernelILj256ELj5ElilEEv20rocsparse_direction_T3_S2_21rocsparse_index_base_PKT1_PKT2_PKS2_S2_S3_PS4_PS7_PS2_.has_indirect_call, 0
	.section	.AMDGPU.csdata,"",@progbits
; Kernel info:
; codeLenInByte = 812
; TotalNumSgprs: 18
; NumVgprs: 34
; ScratchSize: 0
; MemoryBound: 0
; FloatMode: 240
; IeeeMode: 1
; LDSByteSize: 0 bytes/workgroup (compile time only)
; SGPRBlocks: 0
; VGPRBlocks: 2
; NumSGPRsForWavesPerEU: 18
; NumVGPRsForWavesPerEU: 34
; NamedBarCnt: 0
; Occupancy: 16
; WaveLimiterHint : 0
; COMPUTE_PGM_RSRC2:SCRATCH_EN: 0
; COMPUTE_PGM_RSRC2:USER_SGPR: 2
; COMPUTE_PGM_RSRC2:TRAP_HANDLER: 0
; COMPUTE_PGM_RSRC2:TGID_X_EN: 1
; COMPUTE_PGM_RSRC2:TGID_Y_EN: 0
; COMPUTE_PGM_RSRC2:TGID_Z_EN: 0
; COMPUTE_PGM_RSRC2:TIDIG_COMP_CNT: 0
	.section	.text._ZN9rocsparseL32bsr2csr_block_per_row_2_7_kernelILj256ELj6ElilEEv20rocsparse_direction_T3_S2_21rocsparse_index_base_PKT1_PKT2_PKS2_S2_S3_PS4_PS7_PS2_,"axG",@progbits,_ZN9rocsparseL32bsr2csr_block_per_row_2_7_kernelILj256ELj6ElilEEv20rocsparse_direction_T3_S2_21rocsparse_index_base_PKT1_PKT2_PKS2_S2_S3_PS4_PS7_PS2_,comdat
	.globl	_ZN9rocsparseL32bsr2csr_block_per_row_2_7_kernelILj256ELj6ElilEEv20rocsparse_direction_T3_S2_21rocsparse_index_base_PKT1_PKT2_PKS2_S2_S3_PS4_PS7_PS2_ ; -- Begin function _ZN9rocsparseL32bsr2csr_block_per_row_2_7_kernelILj256ELj6ElilEEv20rocsparse_direction_T3_S2_21rocsparse_index_base_PKT1_PKT2_PKS2_S2_S3_PS4_PS7_PS2_
	.p2align	8
	.type	_ZN9rocsparseL32bsr2csr_block_per_row_2_7_kernelILj256ELj6ElilEEv20rocsparse_direction_T3_S2_21rocsparse_index_base_PKT1_PKT2_PKS2_S2_S3_PS4_PS7_PS2_,@function
_ZN9rocsparseL32bsr2csr_block_per_row_2_7_kernelILj256ELj6ElilEEv20rocsparse_direction_T3_S2_21rocsparse_index_base_PKT1_PKT2_PKS2_S2_S3_PS4_PS7_PS2_: ; @_ZN9rocsparseL32bsr2csr_block_per_row_2_7_kernelILj256ELj6ElilEEv20rocsparse_direction_T3_S2_21rocsparse_index_base_PKT1_PKT2_PKS2_S2_S3_PS4_PS7_PS2_
; %bb.0:
	s_clause 0x1
	s_load_b32 s2, s[0:1], 0x40
	s_load_b64 s[6:7], s[0:1], 0x50
	s_bfe_u32 s3, ttmp6, 0x4000c
	s_and_b32 s4, ttmp6, 15
	s_add_co_i32 s3, s3, 1
	s_getreg_b32 s5, hwreg(HW_REG_IB_STS2, 6, 4)
	s_mul_i32 s3, ttmp9, s3
	s_mov_b32 s9, 0
	s_add_co_i32 s4, s4, s3
	s_cmp_eq_u32 s5, 0
	s_mov_b32 s3, exec_lo
	s_cselect_b32 s8, ttmp9, s4
	s_delay_alu instid0(SALU_CYCLE_1) | instskip(NEXT) | instid1(VALU_DEP_1)
	v_or_b32_e32 v1, s8, v0
	v_cmpx_eq_u32_e32 0, v1
	s_cbranch_execz .LBB83_2
; %bb.1:
	s_wait_kmcnt 0x0
	v_dual_mov_b32 v1, 0 :: v_dual_mov_b32 v2, s2
	global_store_b32 v1, v2, s[6:7]
.LBB83_2:
	s_wait_xcnt 0x0
	s_or_b32 exec_lo, exec_lo, s3
	v_and_b32_e32 v4, 7, v0
	s_mov_b32 s3, exec_lo
	s_delay_alu instid0(VALU_DEP_1)
	v_cmpx_gt_u32_e32 6, v4
	s_cbranch_execz .LBB83_6
; %bb.3:
	s_clause 0x1
	s_load_b64 s[10:11], s[0:1], 0x28
	s_load_b32 s4, s[0:1], 0x18
	s_lshl_b64 s[12:13], s[8:9], 2
	v_lshrrev_b32_e32 v5, 3, v0
	s_mul_u64 s[8:9], s[8:9], 24
	s_wait_kmcnt 0x0
	s_add_nc_u64 s[6:7], s[6:7], s[8:9]
	s_add_nc_u64 s[10:11], s[10:11], s[12:13]
	s_load_b64 s[12:13], s[10:11], 0x0
	s_wait_kmcnt 0x0
	s_sub_co_i32 s3, s12, s4
	s_sub_co_i32 s13, s13, s4
	v_add_nc_u32_e32 v8, s3, v5
	s_sub_co_i32 s5, s13, s3
	s_mul_i32 s10, s3, 36
	s_mul_i32 s5, s5, 6
	s_delay_alu instid0(SALU_CYCLE_1) | instskip(SKIP_2) | instid1(VALU_DEP_2)
	v_mul_lo_u32 v6, s5, v4
	s_add_co_i32 s5, s5, s2
	v_cmp_gt_i32_e32 vcc_lo, s13, v8
	v_add3_u32 v0, s5, s10, v6
	global_store_b32 v4, v0, s[6:7] offset:4 scale_offset
	s_wait_xcnt 0x0
	s_and_b32 exec_lo, exec_lo, vcc_lo
	s_cbranch_execz .LBB83_6
; %bb.4:
	s_clause 0x2
	s_load_b64 s[6:7], s[0:1], 0x48
	s_load_b64 s[14:15], s[0:1], 0x20
	s_load_b32 s3, s[0:1], 0x0
	v_dual_mov_b32 v1, 0 :: v_dual_lshlrev_b32 v0, 3, v4
	s_clause 0x1
	s_load_b64 s[8:9], s[0:1], 0x30
	s_load_b64 s[10:11], s[0:1], 0x58
	v_mul_u32_u24_e32 v7, 6, v5
	s_wait_xcnt 0x0
	s_mul_i32 s0, s12, 36
	s_mov_b32 s5, 0
	s_delay_alu instid0(SALU_CYCLE_1)
	s_mov_b32 s1, s5
	v_add3_u32 v6, v6, s0, v7
	s_mul_i32 s0, s4, 36
	s_delay_alu instid0(VALU_DEP_1) | instid1(SALU_CYCLE_1)
	v_subrev_nc_u32_e32 v6, s0, v6
	s_wait_kmcnt 0x0
	v_add_nc_u64_e32 v[2:3], s[14:15], v[0:1]
	v_mul_lo_u32 v0, v8, 36
	s_cmp_eq_u32 s3, 0
	s_mov_b32 s3, s5
	s_cselect_b32 vcc_lo, -1, 0
	s_delay_alu instid0(VALU_DEP_2)
	v_mad_co_u64_u32 v[4:5], null, v4, 40, v[2:3]
.LBB83_5:                               ; =>This Inner Loop Header: Depth=1
	global_load_b64 v[22:23], v8, s[8:9] scale_offset
	v_lshlrev_b64_e32 v[10:11], 3, v[0:1]
	s_wait_xcnt 0x0
	v_dual_ashrrev_i32 v7, 31, v6 :: v_dual_add_nc_u32 v8, 32, v8
	v_add_nc_u32_e32 v0, 0x480, v0
	s_delay_alu instid0(VALU_DEP_2) | instskip(NEXT) | instid1(VALU_DEP_4)
	v_cmp_le_i32_e64 s0, s13, v8
	v_add_nc_u64_e32 v[12:13], v[2:3], v[10:11]
	v_add_nc_u64_e32 v[10:11], v[4:5], v[10:11]
	s_or_b32 s1, s0, s1
	s_delay_alu instid0(VALU_DEP_2) | instskip(NEXT) | instid1(VALU_DEP_2)
	v_add_nc_u64_e32 v[18:19], 48, v[12:13]
	v_add_nc_u64_e32 v[16:17], 8, v[10:11]
	;; [unrolled: 1-line block ×8, first 2 shown]
	v_dual_cndmask_b32 v15, v13, v11 :: v_dual_cndmask_b32 v14, v12, v10
	v_add_nc_u64_e32 v[34:35], 40, v[10:11]
	v_add_nc_u64_e32 v[12:13], 0xf0, v[12:13]
	v_dual_cndmask_b32 v37, v19, v17 :: v_dual_cndmask_b32 v36, v18, v16
	v_dual_cndmask_b32 v25, v25, v21 :: v_dual_cndmask_b32 v24, v24, v20
	;; [unrolled: 1-line block ×5, first 2 shown]
	global_load_b64 v[10:11], v[14:15], off
	global_load_b64 v[12:13], v[36:37], off
	;; [unrolled: 1-line block ×6, first 2 shown]
	s_wait_loadcnt 0x6
	s_wait_xcnt 0x3
	v_sub_nc_u64_e64 v[24:25], v[22:23], s[4:5]
	s_delay_alu instid0(VALU_DEP_1) | instskip(NEXT) | instid1(VALU_DEP_1)
	v_mad_nc_u64_u32 v[22:23], v24, 6, s[2:3]
	v_mad_u32 v23, v25, 6, v23
	v_lshlrev_b64_e32 v[24:25], 3, v[6:7]
	v_add_nc_u32_e32 v6, 0xc0, v6
	s_delay_alu instid0(VALU_DEP_2)
	v_add_nc_u64_e32 v[36:37], s[6:7], v[24:25]
	v_add_nc_u64_e32 v[34:35], s[10:11], v[24:25]
	;; [unrolled: 1-line block ×3, first 2 shown]
	s_wait_xcnt 0x2
	v_add_nc_u64_e32 v[26:27], 2, v[22:23]
	s_wait_xcnt 0x1
	v_add_nc_u64_e32 v[28:29], 3, v[22:23]
	;; [unrolled: 2-line block ×3, first 2 shown]
	v_add_nc_u64_e32 v[32:33], 5, v[22:23]
	s_wait_loadcnt 0x4
	global_store_b128 v[36:37], v[10:13], off
	s_wait_loadcnt 0x2
	global_store_b128 v[36:37], v[14:17], off offset:16
	s_wait_loadcnt 0x0
	global_store_b128 v[36:37], v[18:21], off offset:32
	s_clause 0x2
	global_store_b128 v[34:35], v[22:25], off
	global_store_b128 v[34:35], v[26:29], off offset:16
	global_store_b128 v[34:35], v[30:33], off offset:32
	s_wait_xcnt 0x0
	s_and_not1_b32 exec_lo, exec_lo, s1
	s_cbranch_execnz .LBB83_5
.LBB83_6:
	s_endpgm
	.section	.rodata,"a",@progbits
	.p2align	6, 0x0
	.amdhsa_kernel _ZN9rocsparseL32bsr2csr_block_per_row_2_7_kernelILj256ELj6ElilEEv20rocsparse_direction_T3_S2_21rocsparse_index_base_PKT1_PKT2_PKS2_S2_S3_PS4_PS7_PS2_
		.amdhsa_group_segment_fixed_size 0
		.amdhsa_private_segment_fixed_size 0
		.amdhsa_kernarg_size 96
		.amdhsa_user_sgpr_count 2
		.amdhsa_user_sgpr_dispatch_ptr 0
		.amdhsa_user_sgpr_queue_ptr 0
		.amdhsa_user_sgpr_kernarg_segment_ptr 1
		.amdhsa_user_sgpr_dispatch_id 0
		.amdhsa_user_sgpr_kernarg_preload_length 0
		.amdhsa_user_sgpr_kernarg_preload_offset 0
		.amdhsa_user_sgpr_private_segment_size 0
		.amdhsa_wavefront_size32 1
		.amdhsa_uses_dynamic_stack 0
		.amdhsa_enable_private_segment 0
		.amdhsa_system_sgpr_workgroup_id_x 1
		.amdhsa_system_sgpr_workgroup_id_y 0
		.amdhsa_system_sgpr_workgroup_id_z 0
		.amdhsa_system_sgpr_workgroup_info 0
		.amdhsa_system_vgpr_workitem_id 0
		.amdhsa_next_free_vgpr 38
		.amdhsa_next_free_sgpr 16
		.amdhsa_named_barrier_count 0
		.amdhsa_reserve_vcc 1
		.amdhsa_float_round_mode_32 0
		.amdhsa_float_round_mode_16_64 0
		.amdhsa_float_denorm_mode_32 3
		.amdhsa_float_denorm_mode_16_64 3
		.amdhsa_fp16_overflow 0
		.amdhsa_memory_ordered 1
		.amdhsa_forward_progress 1
		.amdhsa_inst_pref_size 7
		.amdhsa_round_robin_scheduling 0
		.amdhsa_exception_fp_ieee_invalid_op 0
		.amdhsa_exception_fp_denorm_src 0
		.amdhsa_exception_fp_ieee_div_zero 0
		.amdhsa_exception_fp_ieee_overflow 0
		.amdhsa_exception_fp_ieee_underflow 0
		.amdhsa_exception_fp_ieee_inexact 0
		.amdhsa_exception_int_div_zero 0
	.end_amdhsa_kernel
	.section	.text._ZN9rocsparseL32bsr2csr_block_per_row_2_7_kernelILj256ELj6ElilEEv20rocsparse_direction_T3_S2_21rocsparse_index_base_PKT1_PKT2_PKS2_S2_S3_PS4_PS7_PS2_,"axG",@progbits,_ZN9rocsparseL32bsr2csr_block_per_row_2_7_kernelILj256ELj6ElilEEv20rocsparse_direction_T3_S2_21rocsparse_index_base_PKT1_PKT2_PKS2_S2_S3_PS4_PS7_PS2_,comdat
.Lfunc_end83:
	.size	_ZN9rocsparseL32bsr2csr_block_per_row_2_7_kernelILj256ELj6ElilEEv20rocsparse_direction_T3_S2_21rocsparse_index_base_PKT1_PKT2_PKS2_S2_S3_PS4_PS7_PS2_, .Lfunc_end83-_ZN9rocsparseL32bsr2csr_block_per_row_2_7_kernelILj256ELj6ElilEEv20rocsparse_direction_T3_S2_21rocsparse_index_base_PKT1_PKT2_PKS2_S2_S3_PS4_PS7_PS2_
                                        ; -- End function
	.set _ZN9rocsparseL32bsr2csr_block_per_row_2_7_kernelILj256ELj6ElilEEv20rocsparse_direction_T3_S2_21rocsparse_index_base_PKT1_PKT2_PKS2_S2_S3_PS4_PS7_PS2_.num_vgpr, 38
	.set _ZN9rocsparseL32bsr2csr_block_per_row_2_7_kernelILj256ELj6ElilEEv20rocsparse_direction_T3_S2_21rocsparse_index_base_PKT1_PKT2_PKS2_S2_S3_PS4_PS7_PS2_.num_agpr, 0
	.set _ZN9rocsparseL32bsr2csr_block_per_row_2_7_kernelILj256ELj6ElilEEv20rocsparse_direction_T3_S2_21rocsparse_index_base_PKT1_PKT2_PKS2_S2_S3_PS4_PS7_PS2_.numbered_sgpr, 16
	.set _ZN9rocsparseL32bsr2csr_block_per_row_2_7_kernelILj256ELj6ElilEEv20rocsparse_direction_T3_S2_21rocsparse_index_base_PKT1_PKT2_PKS2_S2_S3_PS4_PS7_PS2_.num_named_barrier, 0
	.set _ZN9rocsparseL32bsr2csr_block_per_row_2_7_kernelILj256ELj6ElilEEv20rocsparse_direction_T3_S2_21rocsparse_index_base_PKT1_PKT2_PKS2_S2_S3_PS4_PS7_PS2_.private_seg_size, 0
	.set _ZN9rocsparseL32bsr2csr_block_per_row_2_7_kernelILj256ELj6ElilEEv20rocsparse_direction_T3_S2_21rocsparse_index_base_PKT1_PKT2_PKS2_S2_S3_PS4_PS7_PS2_.uses_vcc, 1
	.set _ZN9rocsparseL32bsr2csr_block_per_row_2_7_kernelILj256ELj6ElilEEv20rocsparse_direction_T3_S2_21rocsparse_index_base_PKT1_PKT2_PKS2_S2_S3_PS4_PS7_PS2_.uses_flat_scratch, 0
	.set _ZN9rocsparseL32bsr2csr_block_per_row_2_7_kernelILj256ELj6ElilEEv20rocsparse_direction_T3_S2_21rocsparse_index_base_PKT1_PKT2_PKS2_S2_S3_PS4_PS7_PS2_.has_dyn_sized_stack, 0
	.set _ZN9rocsparseL32bsr2csr_block_per_row_2_7_kernelILj256ELj6ElilEEv20rocsparse_direction_T3_S2_21rocsparse_index_base_PKT1_PKT2_PKS2_S2_S3_PS4_PS7_PS2_.has_recursion, 0
	.set _ZN9rocsparseL32bsr2csr_block_per_row_2_7_kernelILj256ELj6ElilEEv20rocsparse_direction_T3_S2_21rocsparse_index_base_PKT1_PKT2_PKS2_S2_S3_PS4_PS7_PS2_.has_indirect_call, 0
	.section	.AMDGPU.csdata,"",@progbits
; Kernel info:
; codeLenInByte = 844
; TotalNumSgprs: 18
; NumVgprs: 38
; ScratchSize: 0
; MemoryBound: 0
; FloatMode: 240
; IeeeMode: 1
; LDSByteSize: 0 bytes/workgroup (compile time only)
; SGPRBlocks: 0
; VGPRBlocks: 2
; NumSGPRsForWavesPerEU: 18
; NumVGPRsForWavesPerEU: 38
; NamedBarCnt: 0
; Occupancy: 16
; WaveLimiterHint : 0
; COMPUTE_PGM_RSRC2:SCRATCH_EN: 0
; COMPUTE_PGM_RSRC2:USER_SGPR: 2
; COMPUTE_PGM_RSRC2:TRAP_HANDLER: 0
; COMPUTE_PGM_RSRC2:TGID_X_EN: 1
; COMPUTE_PGM_RSRC2:TGID_Y_EN: 0
; COMPUTE_PGM_RSRC2:TGID_Z_EN: 0
; COMPUTE_PGM_RSRC2:TIDIG_COMP_CNT: 0
	.section	.text._ZN9rocsparseL32bsr2csr_block_per_row_2_7_kernelILj256ELj7ElilEEv20rocsparse_direction_T3_S2_21rocsparse_index_base_PKT1_PKT2_PKS2_S2_S3_PS4_PS7_PS2_,"axG",@progbits,_ZN9rocsparseL32bsr2csr_block_per_row_2_7_kernelILj256ELj7ElilEEv20rocsparse_direction_T3_S2_21rocsparse_index_base_PKT1_PKT2_PKS2_S2_S3_PS4_PS7_PS2_,comdat
	.globl	_ZN9rocsparseL32bsr2csr_block_per_row_2_7_kernelILj256ELj7ElilEEv20rocsparse_direction_T3_S2_21rocsparse_index_base_PKT1_PKT2_PKS2_S2_S3_PS4_PS7_PS2_ ; -- Begin function _ZN9rocsparseL32bsr2csr_block_per_row_2_7_kernelILj256ELj7ElilEEv20rocsparse_direction_T3_S2_21rocsparse_index_base_PKT1_PKT2_PKS2_S2_S3_PS4_PS7_PS2_
	.p2align	8
	.type	_ZN9rocsparseL32bsr2csr_block_per_row_2_7_kernelILj256ELj7ElilEEv20rocsparse_direction_T3_S2_21rocsparse_index_base_PKT1_PKT2_PKS2_S2_S3_PS4_PS7_PS2_,@function
_ZN9rocsparseL32bsr2csr_block_per_row_2_7_kernelILj256ELj7ElilEEv20rocsparse_direction_T3_S2_21rocsparse_index_base_PKT1_PKT2_PKS2_S2_S3_PS4_PS7_PS2_: ; @_ZN9rocsparseL32bsr2csr_block_per_row_2_7_kernelILj256ELj7ElilEEv20rocsparse_direction_T3_S2_21rocsparse_index_base_PKT1_PKT2_PKS2_S2_S3_PS4_PS7_PS2_
; %bb.0:
	s_clause 0x1
	s_load_b32 s2, s[0:1], 0x40
	s_load_b64 s[6:7], s[0:1], 0x50
	s_bfe_u32 s3, ttmp6, 0x4000c
	s_and_b32 s4, ttmp6, 15
	s_add_co_i32 s3, s3, 1
	s_getreg_b32 s5, hwreg(HW_REG_IB_STS2, 6, 4)
	s_mul_i32 s3, ttmp9, s3
	s_mov_b32 s9, 0
	s_add_co_i32 s4, s4, s3
	s_cmp_eq_u32 s5, 0
	s_mov_b32 s3, exec_lo
	s_cselect_b32 s8, ttmp9, s4
	s_delay_alu instid0(SALU_CYCLE_1) | instskip(NEXT) | instid1(VALU_DEP_1)
	v_or_b32_e32 v1, s8, v0
	v_cmpx_eq_u32_e32 0, v1
	s_cbranch_execz .LBB84_2
; %bb.1:
	s_wait_kmcnt 0x0
	v_dual_mov_b32 v1, 0 :: v_dual_mov_b32 v2, s2
	global_store_b32 v1, v2, s[6:7]
.LBB84_2:
	s_wait_xcnt 0x0
	s_or_b32 exec_lo, exec_lo, s3
	v_and_b32_e32 v4, 7, v0
	s_mov_b32 s3, exec_lo
	s_delay_alu instid0(VALU_DEP_1)
	v_cmpx_ne_u32_e32 7, v4
	s_cbranch_execz .LBB84_6
; %bb.3:
	s_clause 0x1
	s_load_b64 s[10:11], s[0:1], 0x28
	s_load_b32 s4, s[0:1], 0x18
	s_lshl_b64 s[12:13], s[8:9], 2
	v_lshrrev_b32_e32 v5, 3, v0
	s_mul_u64 s[8:9], s[8:9], 28
	s_wait_kmcnt 0x0
	s_add_nc_u64 s[6:7], s[6:7], s[8:9]
	s_add_nc_u64 s[10:11], s[10:11], s[12:13]
	s_load_b64 s[12:13], s[10:11], 0x0
	s_wait_kmcnt 0x0
	s_sub_co_i32 s3, s12, s4
	s_sub_co_i32 s13, s13, s4
	v_add_nc_u32_e32 v8, s3, v5
	s_sub_co_i32 s5, s13, s3
	s_mul_i32 s10, s3, 49
	s_mul_i32 s5, s5, 7
	s_delay_alu instid0(SALU_CYCLE_1) | instskip(SKIP_2) | instid1(VALU_DEP_2)
	v_mul_lo_u32 v6, s5, v4
	s_add_co_i32 s5, s5, s2
	v_cmp_gt_i32_e32 vcc_lo, s13, v8
	v_add3_u32 v0, s5, s10, v6
	global_store_b32 v4, v0, s[6:7] offset:4 scale_offset
	s_wait_xcnt 0x0
	s_and_b32 exec_lo, exec_lo, vcc_lo
	s_cbranch_execz .LBB84_6
; %bb.4:
	s_clause 0x2
	s_load_b64 s[6:7], s[0:1], 0x48
	s_load_b64 s[14:15], s[0:1], 0x20
	s_load_b32 s3, s[0:1], 0x0
	v_dual_mov_b32 v1, 0 :: v_dual_lshlrev_b32 v0, 3, v4
	s_clause 0x1
	s_load_b64 s[8:9], s[0:1], 0x30
	s_load_b64 s[10:11], s[0:1], 0x58
	v_mul_u32_u24_e32 v7, 7, v5
	s_wait_xcnt 0x0
	s_mul_i32 s0, s12, 49
	s_mov_b32 s5, 0
	s_delay_alu instid0(SALU_CYCLE_1)
	s_mov_b32 s1, s5
	v_add3_u32 v6, v6, s0, v7
	s_mul_i32 s0, s4, 49
	s_delay_alu instid0(VALU_DEP_1) | instid1(SALU_CYCLE_1)
	v_subrev_nc_u32_e32 v6, s0, v6
	s_wait_kmcnt 0x0
	v_add_nc_u64_e32 v[2:3], s[14:15], v[0:1]
	v_mul_lo_u32 v0, v8, 49
	s_cmp_eq_u32 s3, 0
	s_mov_b32 s3, s5
	s_cselect_b32 vcc_lo, -1, 0
	s_delay_alu instid0(VALU_DEP_2)
	v_mad_co_u64_u32 v[4:5], null, v4, 48, v[2:3]
.LBB84_5:                               ; =>This Inner Loop Header: Depth=1
	global_load_b64 v[22:23], v8, s[8:9] scale_offset
	v_lshlrev_b64_e32 v[10:11], 3, v[0:1]
	s_wait_xcnt 0x0
	v_dual_add_nc_u32 v8, 32, v8 :: v_dual_ashrrev_i32 v7, 31, v6
	v_add_nc_u32_e32 v0, 0x620, v0
	s_delay_alu instid0(VALU_DEP_2) | instskip(NEXT) | instid1(VALU_DEP_4)
	v_cmp_le_i32_e64 s0, s13, v8
	v_add_nc_u64_e32 v[12:13], v[2:3], v[10:11]
	v_add_nc_u64_e32 v[10:11], v[4:5], v[10:11]
	s_or_b32 s1, s0, s1
	s_delay_alu instid0(VALU_DEP_2) | instskip(NEXT) | instid1(VALU_DEP_2)
	v_add_nc_u64_e32 v[18:19], 56, v[12:13]
	v_add_nc_u64_e32 v[16:17], 8, v[10:11]
	v_add_nc_u64_e32 v[20:21], 16, v[10:11]
	v_add_nc_u64_e32 v[24:25], 0x70, v[12:13]
	v_add_nc_u64_e32 v[26:27], 24, v[10:11]
	v_add_nc_u64_e32 v[28:29], 0xa8, v[12:13]
	v_dual_cndmask_b32 v15, v13, v11 :: v_dual_cndmask_b32 v14, v12, v10
	v_add_nc_u64_e32 v[30:31], 32, v[10:11]
	v_add_nc_u64_e32 v[32:33], 0xe0, v[12:13]
	;; [unrolled: 1-line block ×6, first 2 shown]
	v_dual_cndmask_b32 v41, v19, v17 :: v_dual_cndmask_b32 v40, v18, v16
	v_dual_cndmask_b32 v25, v25, v21 :: v_dual_cndmask_b32 v24, v24, v20
	v_dual_cndmask_b32 v27, v29, v27 :: v_dual_cndmask_b32 v26, v28, v26
	global_load_b64 v[10:11], v[14:15], off
	v_dual_cndmask_b32 v29, v33, v31 :: v_dual_cndmask_b32 v28, v32, v30
	v_dual_cndmask_b32 v33, v13, v39 :: v_dual_cndmask_b32 v32, v12, v38
	;; [unrolled: 1-line block ×3, first 2 shown]
	global_load_b64 v[12:13], v[40:41], off
	global_load_b64 v[14:15], v[24:25], off
	;; [unrolled: 1-line block ×6, first 2 shown]
	s_wait_xcnt 0x3
	v_lshlrev_b64_e32 v[26:27], 3, v[6:7]
	s_wait_xcnt 0x1
	s_delay_alu instid0(VALU_DEP_1)
	v_add_nc_u64_e32 v[28:29], s[6:7], v[26:27]
	v_add_nc_u64_e32 v[26:27], s[10:11], v[26:27]
	s_wait_loadcnt 0x5
	global_store_b128 v[28:29], v[10:13], off
	s_wait_loadcnt 0x3
	global_store_b128 v[28:29], v[14:17], off offset:16
	v_sub_nc_u64_e64 v[24:25], v[22:23], s[4:5]
	s_delay_alu instid0(VALU_DEP_1) | instskip(NEXT) | instid1(VALU_DEP_1)
	v_mad_nc_u64_u32 v[22:23], v24, 7, s[2:3]
	v_mad_u32 v23, v25, 7, v23
	s_wait_xcnt 0x2
	s_delay_alu instid0(VALU_DEP_1)
	v_add_nc_u64_e32 v[30:31], 6, v[22:23]
	v_add_nc_u64_e32 v[24:25], 1, v[22:23]
	s_wait_xcnt 0x1
	v_add_nc_u64_e32 v[10:11], 2, v[22:23]
	v_add_nc_u64_e32 v[12:13], 3, v[22:23]
	global_store_b64 v6, v[30:31], s[10:11] offset:48 scale_offset
	s_wait_loadcnt 0x2
	global_store_b64 v6, v[34:35], s[6:7] offset:48 scale_offset
	s_wait_xcnt 0x0
	v_add_nc_u32_e32 v6, 0xe0, v6
	v_add_nc_u64_e32 v[14:15], 4, v[22:23]
	v_add_nc_u64_e32 v[16:17], 5, v[22:23]
	s_wait_loadcnt 0x0
	global_store_b128 v[28:29], v[18:21], off offset:32
	s_clause 0x2
	global_store_b128 v[26:27], v[22:25], off
	global_store_b128 v[26:27], v[10:13], off offset:16
	global_store_b128 v[26:27], v[14:17], off offset:32
	s_wait_xcnt 0x0
	s_and_not1_b32 exec_lo, exec_lo, s1
	s_cbranch_execnz .LBB84_5
.LBB84_6:
	s_endpgm
	.section	.rodata,"a",@progbits
	.p2align	6, 0x0
	.amdhsa_kernel _ZN9rocsparseL32bsr2csr_block_per_row_2_7_kernelILj256ELj7ElilEEv20rocsparse_direction_T3_S2_21rocsparse_index_base_PKT1_PKT2_PKS2_S2_S3_PS4_PS7_PS2_
		.amdhsa_group_segment_fixed_size 0
		.amdhsa_private_segment_fixed_size 0
		.amdhsa_kernarg_size 96
		.amdhsa_user_sgpr_count 2
		.amdhsa_user_sgpr_dispatch_ptr 0
		.amdhsa_user_sgpr_queue_ptr 0
		.amdhsa_user_sgpr_kernarg_segment_ptr 1
		.amdhsa_user_sgpr_dispatch_id 0
		.amdhsa_user_sgpr_kernarg_preload_length 0
		.amdhsa_user_sgpr_kernarg_preload_offset 0
		.amdhsa_user_sgpr_private_segment_size 0
		.amdhsa_wavefront_size32 1
		.amdhsa_uses_dynamic_stack 0
		.amdhsa_enable_private_segment 0
		.amdhsa_system_sgpr_workgroup_id_x 1
		.amdhsa_system_sgpr_workgroup_id_y 0
		.amdhsa_system_sgpr_workgroup_id_z 0
		.amdhsa_system_sgpr_workgroup_info 0
		.amdhsa_system_vgpr_workitem_id 0
		.amdhsa_next_free_vgpr 42
		.amdhsa_next_free_sgpr 16
		.amdhsa_named_barrier_count 0
		.amdhsa_reserve_vcc 1
		.amdhsa_float_round_mode_32 0
		.amdhsa_float_round_mode_16_64 0
		.amdhsa_float_denorm_mode_32 3
		.amdhsa_float_denorm_mode_16_64 3
		.amdhsa_fp16_overflow 0
		.amdhsa_memory_ordered 1
		.amdhsa_forward_progress 1
		.amdhsa_inst_pref_size 8
		.amdhsa_round_robin_scheduling 0
		.amdhsa_exception_fp_ieee_invalid_op 0
		.amdhsa_exception_fp_denorm_src 0
		.amdhsa_exception_fp_ieee_div_zero 0
		.amdhsa_exception_fp_ieee_overflow 0
		.amdhsa_exception_fp_ieee_underflow 0
		.amdhsa_exception_fp_ieee_inexact 0
		.amdhsa_exception_int_div_zero 0
	.end_amdhsa_kernel
	.section	.text._ZN9rocsparseL32bsr2csr_block_per_row_2_7_kernelILj256ELj7ElilEEv20rocsparse_direction_T3_S2_21rocsparse_index_base_PKT1_PKT2_PKS2_S2_S3_PS4_PS7_PS2_,"axG",@progbits,_ZN9rocsparseL32bsr2csr_block_per_row_2_7_kernelILj256ELj7ElilEEv20rocsparse_direction_T3_S2_21rocsparse_index_base_PKT1_PKT2_PKS2_S2_S3_PS4_PS7_PS2_,comdat
.Lfunc_end84:
	.size	_ZN9rocsparseL32bsr2csr_block_per_row_2_7_kernelILj256ELj7ElilEEv20rocsparse_direction_T3_S2_21rocsparse_index_base_PKT1_PKT2_PKS2_S2_S3_PS4_PS7_PS2_, .Lfunc_end84-_ZN9rocsparseL32bsr2csr_block_per_row_2_7_kernelILj256ELj7ElilEEv20rocsparse_direction_T3_S2_21rocsparse_index_base_PKT1_PKT2_PKS2_S2_S3_PS4_PS7_PS2_
                                        ; -- End function
	.set _ZN9rocsparseL32bsr2csr_block_per_row_2_7_kernelILj256ELj7ElilEEv20rocsparse_direction_T3_S2_21rocsparse_index_base_PKT1_PKT2_PKS2_S2_S3_PS4_PS7_PS2_.num_vgpr, 42
	.set _ZN9rocsparseL32bsr2csr_block_per_row_2_7_kernelILj256ELj7ElilEEv20rocsparse_direction_T3_S2_21rocsparse_index_base_PKT1_PKT2_PKS2_S2_S3_PS4_PS7_PS2_.num_agpr, 0
	.set _ZN9rocsparseL32bsr2csr_block_per_row_2_7_kernelILj256ELj7ElilEEv20rocsparse_direction_T3_S2_21rocsparse_index_base_PKT1_PKT2_PKS2_S2_S3_PS4_PS7_PS2_.numbered_sgpr, 16
	.set _ZN9rocsparseL32bsr2csr_block_per_row_2_7_kernelILj256ELj7ElilEEv20rocsparse_direction_T3_S2_21rocsparse_index_base_PKT1_PKT2_PKS2_S2_S3_PS4_PS7_PS2_.num_named_barrier, 0
	.set _ZN9rocsparseL32bsr2csr_block_per_row_2_7_kernelILj256ELj7ElilEEv20rocsparse_direction_T3_S2_21rocsparse_index_base_PKT1_PKT2_PKS2_S2_S3_PS4_PS7_PS2_.private_seg_size, 0
	.set _ZN9rocsparseL32bsr2csr_block_per_row_2_7_kernelILj256ELj7ElilEEv20rocsparse_direction_T3_S2_21rocsparse_index_base_PKT1_PKT2_PKS2_S2_S3_PS4_PS7_PS2_.uses_vcc, 1
	.set _ZN9rocsparseL32bsr2csr_block_per_row_2_7_kernelILj256ELj7ElilEEv20rocsparse_direction_T3_S2_21rocsparse_index_base_PKT1_PKT2_PKS2_S2_S3_PS4_PS7_PS2_.uses_flat_scratch, 0
	.set _ZN9rocsparseL32bsr2csr_block_per_row_2_7_kernelILj256ELj7ElilEEv20rocsparse_direction_T3_S2_21rocsparse_index_base_PKT1_PKT2_PKS2_S2_S3_PS4_PS7_PS2_.has_dyn_sized_stack, 0
	.set _ZN9rocsparseL32bsr2csr_block_per_row_2_7_kernelILj256ELj7ElilEEv20rocsparse_direction_T3_S2_21rocsparse_index_base_PKT1_PKT2_PKS2_S2_S3_PS4_PS7_PS2_.has_recursion, 0
	.set _ZN9rocsparseL32bsr2csr_block_per_row_2_7_kernelILj256ELj7ElilEEv20rocsparse_direction_T3_S2_21rocsparse_index_base_PKT1_PKT2_PKS2_S2_S3_PS4_PS7_PS2_.has_indirect_call, 0
	.section	.AMDGPU.csdata,"",@progbits
; Kernel info:
; codeLenInByte = 912
; TotalNumSgprs: 18
; NumVgprs: 42
; ScratchSize: 0
; MemoryBound: 0
; FloatMode: 240
; IeeeMode: 1
; LDSByteSize: 0 bytes/workgroup (compile time only)
; SGPRBlocks: 0
; VGPRBlocks: 2
; NumSGPRsForWavesPerEU: 18
; NumVGPRsForWavesPerEU: 42
; NamedBarCnt: 0
; Occupancy: 16
; WaveLimiterHint : 0
; COMPUTE_PGM_RSRC2:SCRATCH_EN: 0
; COMPUTE_PGM_RSRC2:USER_SGPR: 2
; COMPUTE_PGM_RSRC2:TRAP_HANDLER: 0
; COMPUTE_PGM_RSRC2:TGID_X_EN: 1
; COMPUTE_PGM_RSRC2:TGID_Y_EN: 0
; COMPUTE_PGM_RSRC2:TGID_Z_EN: 0
; COMPUTE_PGM_RSRC2:TIDIG_COMP_CNT: 0
	.section	.text._ZN9rocsparseL33bsr2csr_block_per_row_8_32_kernelILj1024ELj8ElilEEv20rocsparse_direction_T3_S2_21rocsparse_index_base_PKT1_PKT2_PKS2_S2_S3_PS4_PS7_PS2_,"axG",@progbits,_ZN9rocsparseL33bsr2csr_block_per_row_8_32_kernelILj1024ELj8ElilEEv20rocsparse_direction_T3_S2_21rocsparse_index_base_PKT1_PKT2_PKS2_S2_S3_PS4_PS7_PS2_,comdat
	.globl	_ZN9rocsparseL33bsr2csr_block_per_row_8_32_kernelILj1024ELj8ElilEEv20rocsparse_direction_T3_S2_21rocsparse_index_base_PKT1_PKT2_PKS2_S2_S3_PS4_PS7_PS2_ ; -- Begin function _ZN9rocsparseL33bsr2csr_block_per_row_8_32_kernelILj1024ELj8ElilEEv20rocsparse_direction_T3_S2_21rocsparse_index_base_PKT1_PKT2_PKS2_S2_S3_PS4_PS7_PS2_
	.p2align	8
	.type	_ZN9rocsparseL33bsr2csr_block_per_row_8_32_kernelILj1024ELj8ElilEEv20rocsparse_direction_T3_S2_21rocsparse_index_base_PKT1_PKT2_PKS2_S2_S3_PS4_PS7_PS2_,@function
_ZN9rocsparseL33bsr2csr_block_per_row_8_32_kernelILj1024ELj8ElilEEv20rocsparse_direction_T3_S2_21rocsparse_index_base_PKT1_PKT2_PKS2_S2_S3_PS4_PS7_PS2_: ; @_ZN9rocsparseL33bsr2csr_block_per_row_8_32_kernelILj1024ELj8ElilEEv20rocsparse_direction_T3_S2_21rocsparse_index_base_PKT1_PKT2_PKS2_S2_S3_PS4_PS7_PS2_
; %bb.0:
	s_clause 0x1
	s_load_b32 s6, s[0:1], 0x40
	s_load_b64 s[10:11], s[0:1], 0x50
	s_bfe_u32 s2, ttmp6, 0x4000c
	s_and_b32 s3, ttmp6, 15
	s_add_co_i32 s2, s2, 1
	s_getreg_b32 s4, hwreg(HW_REG_IB_STS2, 6, 4)
	s_mul_i32 s2, ttmp9, s2
	s_mov_b32 s13, 0
	s_add_co_i32 s3, s3, s2
	s_cmp_eq_u32 s4, 0
	s_mov_b32 s2, exec_lo
	s_cselect_b32 s12, ttmp9, s3
	s_delay_alu instid0(SALU_CYCLE_1) | instskip(NEXT) | instid1(VALU_DEP_1)
	v_or_b32_e32 v1, s12, v0
	v_cmpx_eq_u32_e32 0, v1
	s_cbranch_execz .LBB85_2
; %bb.1:
	s_wait_kmcnt 0x0
	v_dual_mov_b32 v1, 0 :: v_dual_mov_b32 v2, s6
	global_store_b32 v1, v2, s[10:11]
.LBB85_2:
	s_wait_xcnt 0x0
	s_or_b32 exec_lo, exec_lo, s2
	v_dual_mov_b32 v3, 0 :: v_dual_bitop2_b32 v2, 7, v0 bitop3:0x40
	v_bfe_u32 v4, v0, 3, 3
	s_load_b64 s[2:3], s[0:1], 0x38
	s_mov_b32 s4, exec_lo
	s_delay_alu instid0(VALU_DEP_2) | instskip(NEXT) | instid1(VALU_DEP_1)
	v_mov_b32_e32 v5, v3
	v_max_i64 v[6:7], v[4:5], v[2:3]
	s_wait_kmcnt 0x0
	s_delay_alu instid0(VALU_DEP_1)
	v_cmpx_gt_i64_e64 s[2:3], v[6:7]
	s_cbranch_execz .LBB85_6
; %bb.3:
	s_clause 0x1
	s_load_b64 s[8:9], s[0:1], 0x28
	s_load_b32 s4, s[0:1], 0x18
	s_lshl_b64 s[14:15], s[12:13], 2
	v_lshrrev_b32_e32 v1, 6, v0
	s_mul_u64 s[12:13], s[2:3], s[12:13]
	s_delay_alu instid0(SALU_CYCLE_1) | instskip(NEXT) | instid1(SALU_CYCLE_1)
	s_lshl_b64 s[12:13], s[12:13], 2
	s_add_nc_u64 s[10:11], s[10:11], s[12:13]
	s_wait_kmcnt 0x0
	s_add_nc_u64 s[8:9], s[8:9], s[14:15]
	s_load_b64 s[14:15], s[8:9], 0x0
	s_wait_xcnt 0x0
	s_mul_u64 s[8:9], s[2:3], s[2:3]
	s_wait_kmcnt 0x0
	s_sub_co_i32 s7, s14, s4
	s_sub_co_i32 s16, s15, s4
	s_mul_i32 s15, s8, s7
	s_sub_co_i32 s5, s16, s7
	v_add_nc_u32_e32 v0, s7, v1
	s_mul_i32 s14, s2, s5
	s_delay_alu instid0(SALU_CYCLE_1) | instskip(NEXT) | instid1(SALU_CYCLE_1)
	s_add_co_i32 s17, s6, s14
	s_add_co_i32 s17, s17, s15
	s_delay_alu instid0(VALU_DEP_1)
	v_cmp_gt_i32_e32 vcc_lo, s16, v0
	v_mad_u32 v6, s14, v4, s17
	global_store_b32 v4, v6, s[10:11] offset:4 scale_offset
	s_wait_xcnt 0x0
	s_and_b32 exec_lo, exec_lo, vcc_lo
	s_cbranch_execz .LBB85_6
; %bb.4:
	v_mul_u64_e32 v[6:7], s[2:3], v[2:3]
	v_mul_u64_e32 v[8:9], s[2:3], v[4:5]
	s_clause 0x2
	s_load_b64 s[10:11], s[0:1], 0x48
	s_load_b64 s[18:19], s[0:1], 0x20
	s_load_b32 s17, s[0:1], 0x0
	v_mad_u32 v1, s2, s7, v1
	v_dual_mov_b32 v11, 0 :: v_dual_lshlrev_b32 v10, 3, v4
	s_clause 0x1
	s_load_b64 s[12:13], s[0:1], 0x30
	s_load_b64 s[14:15], s[0:1], 0x58
	s_delay_alu instid0(VALU_DEP_2) | instskip(SKIP_1) | instid1(SALU_CYCLE_1)
	v_mad_u32 v1, s5, v4, v1
	s_mov_b32 s5, 0
	s_mov_b32 s7, s5
	s_wait_xcnt 0x0
	s_mov_b32 s0, s5
	s_wait_kmcnt 0x0
	s_cmp_eq_u32 s17, 0
	s_cselect_b32 vcc_lo, -1, 0
	s_lshl_b32 s1, s2, 4
	v_lshl_add_u64 v[6:7], v[6:7], 3, s[18:19]
	v_lshl_add_u64 v[4:5], v[8:9], 3, s[18:19]
	s_delay_alu instid0(VALU_DEP_2) | instskip(SKIP_1) | instid1(VALU_DEP_1)
	v_add_nc_u64_e32 v[6:7], v[6:7], v[10:11]
	v_lshlrev_b32_e32 v10, 3, v2
	v_add_nc_u64_e32 v[8:9], v[4:5], v[10:11]
	v_mad_u32 v5, s2, v1, v2
	v_add_nc_u64_e32 v[2:3], s[6:7], v[2:3]
	s_mov_b32 s6, s5
	s_delay_alu instid0(VALU_DEP_3) | instskip(NEXT) | instid1(VALU_DEP_4)
	v_dual_mov_b32 v4, v11 :: v_dual_cndmask_b32 v6, v6, v8, vcc_lo
	v_cndmask_b32_e32 v7, v7, v9, vcc_lo
.LBB85_5:                               ; =>This Inner Loop Header: Depth=1
	v_ashrrev_i32_e32 v1, 31, v0
	global_load_b64 v[8:9], v0, s[12:13] scale_offset
	v_ashrrev_i64 v[14:15], 29, v[4:5]
	v_add_nc_u64_e32 v[4:5], s[0:1], v[4:5]
	v_mul_u64_e32 v[10:11], s[8:9], v[0:1]
	s_wait_xcnt 0x0
	v_add_nc_u32_e32 v0, 16, v0
	s_delay_alu instid0(VALU_DEP_1) | instskip(SKIP_1) | instid1(VALU_DEP_3)
	v_cmp_le_i32_e32 vcc_lo, s16, v0
	s_or_b32 s6, vcc_lo, s6
	v_lshl_add_u64 v[10:11], v[10:11], 3, v[6:7]
	global_load_b64 v[10:11], v[10:11], off
	s_wait_loadcnt 0x1
	v_sub_nc_u64_e64 v[8:9], v[8:9], s[4:5]
	s_delay_alu instid0(VALU_DEP_1) | instskip(NEXT) | instid1(VALU_DEP_1)
	v_mad_nc_u64_u32 v[12:13], v8, s2, v[2:3]
	v_mad_u32 v1, v9, s2, v13
	s_delay_alu instid0(VALU_DEP_1)
	v_mad_u32 v13, v8, s3, v1
	v_add_nc_u64_e32 v[8:9], s[14:15], v[14:15]
	v_add_nc_u64_e32 v[14:15], s[10:11], v[14:15]
	global_store_b64 v[8:9], v[12:13], off
	s_wait_loadcnt 0x0
	global_store_b64 v[14:15], v[10:11], off
	s_wait_xcnt 0x0
	s_and_not1_b32 exec_lo, exec_lo, s6
	s_cbranch_execnz .LBB85_5
.LBB85_6:
	s_endpgm
	.section	.rodata,"a",@progbits
	.p2align	6, 0x0
	.amdhsa_kernel _ZN9rocsparseL33bsr2csr_block_per_row_8_32_kernelILj1024ELj8ElilEEv20rocsparse_direction_T3_S2_21rocsparse_index_base_PKT1_PKT2_PKS2_S2_S3_PS4_PS7_PS2_
		.amdhsa_group_segment_fixed_size 0
		.amdhsa_private_segment_fixed_size 0
		.amdhsa_kernarg_size 96
		.amdhsa_user_sgpr_count 2
		.amdhsa_user_sgpr_dispatch_ptr 0
		.amdhsa_user_sgpr_queue_ptr 0
		.amdhsa_user_sgpr_kernarg_segment_ptr 1
		.amdhsa_user_sgpr_dispatch_id 0
		.amdhsa_user_sgpr_kernarg_preload_length 0
		.amdhsa_user_sgpr_kernarg_preload_offset 0
		.amdhsa_user_sgpr_private_segment_size 0
		.amdhsa_wavefront_size32 1
		.amdhsa_uses_dynamic_stack 0
		.amdhsa_enable_private_segment 0
		.amdhsa_system_sgpr_workgroup_id_x 1
		.amdhsa_system_sgpr_workgroup_id_y 0
		.amdhsa_system_sgpr_workgroup_id_z 0
		.amdhsa_system_sgpr_workgroup_info 0
		.amdhsa_system_vgpr_workitem_id 0
		.amdhsa_next_free_vgpr 16
		.amdhsa_next_free_sgpr 20
		.amdhsa_named_barrier_count 0
		.amdhsa_reserve_vcc 1
		.amdhsa_float_round_mode_32 0
		.amdhsa_float_round_mode_16_64 0
		.amdhsa_float_denorm_mode_32 3
		.amdhsa_float_denorm_mode_16_64 3
		.amdhsa_fp16_overflow 0
		.amdhsa_memory_ordered 1
		.amdhsa_forward_progress 1
		.amdhsa_inst_pref_size 6
		.amdhsa_round_robin_scheduling 0
		.amdhsa_exception_fp_ieee_invalid_op 0
		.amdhsa_exception_fp_denorm_src 0
		.amdhsa_exception_fp_ieee_div_zero 0
		.amdhsa_exception_fp_ieee_overflow 0
		.amdhsa_exception_fp_ieee_underflow 0
		.amdhsa_exception_fp_ieee_inexact 0
		.amdhsa_exception_int_div_zero 0
	.end_amdhsa_kernel
	.section	.text._ZN9rocsparseL33bsr2csr_block_per_row_8_32_kernelILj1024ELj8ElilEEv20rocsparse_direction_T3_S2_21rocsparse_index_base_PKT1_PKT2_PKS2_S2_S3_PS4_PS7_PS2_,"axG",@progbits,_ZN9rocsparseL33bsr2csr_block_per_row_8_32_kernelILj1024ELj8ElilEEv20rocsparse_direction_T3_S2_21rocsparse_index_base_PKT1_PKT2_PKS2_S2_S3_PS4_PS7_PS2_,comdat
.Lfunc_end85:
	.size	_ZN9rocsparseL33bsr2csr_block_per_row_8_32_kernelILj1024ELj8ElilEEv20rocsparse_direction_T3_S2_21rocsparse_index_base_PKT1_PKT2_PKS2_S2_S3_PS4_PS7_PS2_, .Lfunc_end85-_ZN9rocsparseL33bsr2csr_block_per_row_8_32_kernelILj1024ELj8ElilEEv20rocsparse_direction_T3_S2_21rocsparse_index_base_PKT1_PKT2_PKS2_S2_S3_PS4_PS7_PS2_
                                        ; -- End function
	.set _ZN9rocsparseL33bsr2csr_block_per_row_8_32_kernelILj1024ELj8ElilEEv20rocsparse_direction_T3_S2_21rocsparse_index_base_PKT1_PKT2_PKS2_S2_S3_PS4_PS7_PS2_.num_vgpr, 16
	.set _ZN9rocsparseL33bsr2csr_block_per_row_8_32_kernelILj1024ELj8ElilEEv20rocsparse_direction_T3_S2_21rocsparse_index_base_PKT1_PKT2_PKS2_S2_S3_PS4_PS7_PS2_.num_agpr, 0
	.set _ZN9rocsparseL33bsr2csr_block_per_row_8_32_kernelILj1024ELj8ElilEEv20rocsparse_direction_T3_S2_21rocsparse_index_base_PKT1_PKT2_PKS2_S2_S3_PS4_PS7_PS2_.numbered_sgpr, 20
	.set _ZN9rocsparseL33bsr2csr_block_per_row_8_32_kernelILj1024ELj8ElilEEv20rocsparse_direction_T3_S2_21rocsparse_index_base_PKT1_PKT2_PKS2_S2_S3_PS4_PS7_PS2_.num_named_barrier, 0
	.set _ZN9rocsparseL33bsr2csr_block_per_row_8_32_kernelILj1024ELj8ElilEEv20rocsparse_direction_T3_S2_21rocsparse_index_base_PKT1_PKT2_PKS2_S2_S3_PS4_PS7_PS2_.private_seg_size, 0
	.set _ZN9rocsparseL33bsr2csr_block_per_row_8_32_kernelILj1024ELj8ElilEEv20rocsparse_direction_T3_S2_21rocsparse_index_base_PKT1_PKT2_PKS2_S2_S3_PS4_PS7_PS2_.uses_vcc, 1
	.set _ZN9rocsparseL33bsr2csr_block_per_row_8_32_kernelILj1024ELj8ElilEEv20rocsparse_direction_T3_S2_21rocsparse_index_base_PKT1_PKT2_PKS2_S2_S3_PS4_PS7_PS2_.uses_flat_scratch, 0
	.set _ZN9rocsparseL33bsr2csr_block_per_row_8_32_kernelILj1024ELj8ElilEEv20rocsparse_direction_T3_S2_21rocsparse_index_base_PKT1_PKT2_PKS2_S2_S3_PS4_PS7_PS2_.has_dyn_sized_stack, 0
	.set _ZN9rocsparseL33bsr2csr_block_per_row_8_32_kernelILj1024ELj8ElilEEv20rocsparse_direction_T3_S2_21rocsparse_index_base_PKT1_PKT2_PKS2_S2_S3_PS4_PS7_PS2_.has_recursion, 0
	.set _ZN9rocsparseL33bsr2csr_block_per_row_8_32_kernelILj1024ELj8ElilEEv20rocsparse_direction_T3_S2_21rocsparse_index_base_PKT1_PKT2_PKS2_S2_S3_PS4_PS7_PS2_.has_indirect_call, 0
	.section	.AMDGPU.csdata,"",@progbits
; Kernel info:
; codeLenInByte = 680
; TotalNumSgprs: 22
; NumVgprs: 16
; ScratchSize: 0
; MemoryBound: 0
; FloatMode: 240
; IeeeMode: 1
; LDSByteSize: 0 bytes/workgroup (compile time only)
; SGPRBlocks: 0
; VGPRBlocks: 0
; NumSGPRsForWavesPerEU: 22
; NumVGPRsForWavesPerEU: 16
; NamedBarCnt: 0
; Occupancy: 16
; WaveLimiterHint : 0
; COMPUTE_PGM_RSRC2:SCRATCH_EN: 0
; COMPUTE_PGM_RSRC2:USER_SGPR: 2
; COMPUTE_PGM_RSRC2:TRAP_HANDLER: 0
; COMPUTE_PGM_RSRC2:TGID_X_EN: 1
; COMPUTE_PGM_RSRC2:TGID_Y_EN: 0
; COMPUTE_PGM_RSRC2:TGID_Z_EN: 0
; COMPUTE_PGM_RSRC2:TIDIG_COMP_CNT: 0
	.section	.text._ZN9rocsparseL33bsr2csr_block_per_row_8_32_kernelILj1024ELj16ElilEEv20rocsparse_direction_T3_S2_21rocsparse_index_base_PKT1_PKT2_PKS2_S2_S3_PS4_PS7_PS2_,"axG",@progbits,_ZN9rocsparseL33bsr2csr_block_per_row_8_32_kernelILj1024ELj16ElilEEv20rocsparse_direction_T3_S2_21rocsparse_index_base_PKT1_PKT2_PKS2_S2_S3_PS4_PS7_PS2_,comdat
	.globl	_ZN9rocsparseL33bsr2csr_block_per_row_8_32_kernelILj1024ELj16ElilEEv20rocsparse_direction_T3_S2_21rocsparse_index_base_PKT1_PKT2_PKS2_S2_S3_PS4_PS7_PS2_ ; -- Begin function _ZN9rocsparseL33bsr2csr_block_per_row_8_32_kernelILj1024ELj16ElilEEv20rocsparse_direction_T3_S2_21rocsparse_index_base_PKT1_PKT2_PKS2_S2_S3_PS4_PS7_PS2_
	.p2align	8
	.type	_ZN9rocsparseL33bsr2csr_block_per_row_8_32_kernelILj1024ELj16ElilEEv20rocsparse_direction_T3_S2_21rocsparse_index_base_PKT1_PKT2_PKS2_S2_S3_PS4_PS7_PS2_,@function
_ZN9rocsparseL33bsr2csr_block_per_row_8_32_kernelILj1024ELj16ElilEEv20rocsparse_direction_T3_S2_21rocsparse_index_base_PKT1_PKT2_PKS2_S2_S3_PS4_PS7_PS2_: ; @_ZN9rocsparseL33bsr2csr_block_per_row_8_32_kernelILj1024ELj16ElilEEv20rocsparse_direction_T3_S2_21rocsparse_index_base_PKT1_PKT2_PKS2_S2_S3_PS4_PS7_PS2_
; %bb.0:
	s_clause 0x1
	s_load_b32 s6, s[0:1], 0x40
	s_load_b64 s[10:11], s[0:1], 0x50
	s_bfe_u32 s2, ttmp6, 0x4000c
	s_and_b32 s3, ttmp6, 15
	s_add_co_i32 s2, s2, 1
	s_getreg_b32 s4, hwreg(HW_REG_IB_STS2, 6, 4)
	s_mul_i32 s2, ttmp9, s2
	s_mov_b32 s13, 0
	s_add_co_i32 s3, s3, s2
	s_cmp_eq_u32 s4, 0
	s_mov_b32 s2, exec_lo
	s_cselect_b32 s12, ttmp9, s3
	s_delay_alu instid0(SALU_CYCLE_1) | instskip(NEXT) | instid1(VALU_DEP_1)
	v_or_b32_e32 v1, s12, v0
	v_cmpx_eq_u32_e32 0, v1
	s_cbranch_execz .LBB86_2
; %bb.1:
	s_wait_kmcnt 0x0
	v_dual_mov_b32 v1, 0 :: v_dual_mov_b32 v2, s6
	global_store_b32 v1, v2, s[10:11]
.LBB86_2:
	s_wait_xcnt 0x0
	s_or_b32 exec_lo, exec_lo, s2
	v_dual_mov_b32 v3, 0 :: v_dual_bitop2_b32 v2, 15, v0 bitop3:0x40
	v_bfe_u32 v4, v0, 4, 4
	s_load_b64 s[2:3], s[0:1], 0x38
	s_mov_b32 s4, exec_lo
	s_delay_alu instid0(VALU_DEP_2) | instskip(NEXT) | instid1(VALU_DEP_1)
	v_mov_b32_e32 v5, v3
	v_max_i64 v[6:7], v[4:5], v[2:3]
	s_wait_kmcnt 0x0
	s_delay_alu instid0(VALU_DEP_1)
	v_cmpx_gt_i64_e64 s[2:3], v[6:7]
	s_cbranch_execz .LBB86_6
; %bb.3:
	s_clause 0x1
	s_load_b64 s[8:9], s[0:1], 0x28
	s_load_b32 s4, s[0:1], 0x18
	s_lshl_b64 s[14:15], s[12:13], 2
	v_lshrrev_b32_e32 v1, 8, v0
	s_mul_u64 s[12:13], s[2:3], s[12:13]
	s_delay_alu instid0(SALU_CYCLE_1) | instskip(NEXT) | instid1(SALU_CYCLE_1)
	s_lshl_b64 s[12:13], s[12:13], 2
	s_add_nc_u64 s[10:11], s[10:11], s[12:13]
	s_wait_kmcnt 0x0
	s_add_nc_u64 s[8:9], s[8:9], s[14:15]
	s_load_b64 s[14:15], s[8:9], 0x0
	s_wait_xcnt 0x0
	s_mul_u64 s[8:9], s[2:3], s[2:3]
	s_wait_kmcnt 0x0
	s_sub_co_i32 s7, s14, s4
	s_sub_co_i32 s16, s15, s4
	s_mul_i32 s15, s8, s7
	s_sub_co_i32 s5, s16, s7
	v_add_nc_u32_e32 v0, s7, v1
	s_mul_i32 s14, s2, s5
	s_delay_alu instid0(SALU_CYCLE_1) | instskip(NEXT) | instid1(SALU_CYCLE_1)
	s_add_co_i32 s17, s6, s14
	s_add_co_i32 s17, s17, s15
	s_delay_alu instid0(VALU_DEP_1)
	v_cmp_gt_i32_e32 vcc_lo, s16, v0
	v_mad_u32 v6, s14, v4, s17
	global_store_b32 v4, v6, s[10:11] offset:4 scale_offset
	s_wait_xcnt 0x0
	s_and_b32 exec_lo, exec_lo, vcc_lo
	s_cbranch_execz .LBB86_6
; %bb.4:
	v_mul_u64_e32 v[6:7], s[2:3], v[2:3]
	v_mul_u64_e32 v[8:9], s[2:3], v[4:5]
	s_clause 0x2
	s_load_b64 s[10:11], s[0:1], 0x48
	s_load_b64 s[18:19], s[0:1], 0x20
	s_load_b32 s17, s[0:1], 0x0
	v_mad_u32 v1, s2, s7, v1
	v_dual_mov_b32 v11, 0 :: v_dual_lshlrev_b32 v10, 3, v4
	s_clause 0x1
	s_load_b64 s[12:13], s[0:1], 0x30
	s_load_b64 s[14:15], s[0:1], 0x58
	s_delay_alu instid0(VALU_DEP_2) | instskip(SKIP_1) | instid1(SALU_CYCLE_1)
	v_mad_u32 v1, s5, v4, v1
	s_mov_b32 s5, 0
	s_mov_b32 s7, s5
	s_wait_xcnt 0x0
	s_mov_b32 s0, s5
	s_wait_kmcnt 0x0
	s_cmp_eq_u32 s17, 0
	s_cselect_b32 vcc_lo, -1, 0
	s_lshl_b32 s1, s2, 2
	v_lshl_add_u64 v[6:7], v[6:7], 3, s[18:19]
	v_lshl_add_u64 v[4:5], v[8:9], 3, s[18:19]
	s_delay_alu instid0(VALU_DEP_2) | instskip(SKIP_1) | instid1(VALU_DEP_1)
	v_add_nc_u64_e32 v[6:7], v[6:7], v[10:11]
	v_lshlrev_b32_e32 v10, 3, v2
	v_add_nc_u64_e32 v[8:9], v[4:5], v[10:11]
	v_mad_u32 v5, s2, v1, v2
	v_add_nc_u64_e32 v[2:3], s[6:7], v[2:3]
	s_mov_b32 s6, s5
	s_delay_alu instid0(VALU_DEP_3) | instskip(NEXT) | instid1(VALU_DEP_4)
	v_dual_mov_b32 v4, v11 :: v_dual_cndmask_b32 v6, v6, v8, vcc_lo
	v_cndmask_b32_e32 v7, v7, v9, vcc_lo
.LBB86_5:                               ; =>This Inner Loop Header: Depth=1
	v_ashrrev_i32_e32 v1, 31, v0
	global_load_b64 v[8:9], v0, s[12:13] scale_offset
	v_ashrrev_i64 v[14:15], 29, v[4:5]
	v_add_nc_u64_e32 v[4:5], s[0:1], v[4:5]
	v_mul_u64_e32 v[10:11], s[8:9], v[0:1]
	s_wait_xcnt 0x0
	v_add_nc_u32_e32 v0, 4, v0
	s_delay_alu instid0(VALU_DEP_1) | instskip(SKIP_1) | instid1(VALU_DEP_3)
	v_cmp_le_i32_e32 vcc_lo, s16, v0
	s_or_b32 s6, vcc_lo, s6
	v_lshl_add_u64 v[10:11], v[10:11], 3, v[6:7]
	global_load_b64 v[10:11], v[10:11], off
	s_wait_loadcnt 0x1
	v_sub_nc_u64_e64 v[8:9], v[8:9], s[4:5]
	s_delay_alu instid0(VALU_DEP_1) | instskip(NEXT) | instid1(VALU_DEP_1)
	v_mad_nc_u64_u32 v[12:13], v8, s2, v[2:3]
	v_mad_u32 v1, v9, s2, v13
	s_delay_alu instid0(VALU_DEP_1)
	v_mad_u32 v13, v8, s3, v1
	v_add_nc_u64_e32 v[8:9], s[14:15], v[14:15]
	v_add_nc_u64_e32 v[14:15], s[10:11], v[14:15]
	global_store_b64 v[8:9], v[12:13], off
	s_wait_loadcnt 0x0
	global_store_b64 v[14:15], v[10:11], off
	s_wait_xcnt 0x0
	s_and_not1_b32 exec_lo, exec_lo, s6
	s_cbranch_execnz .LBB86_5
.LBB86_6:
	s_endpgm
	.section	.rodata,"a",@progbits
	.p2align	6, 0x0
	.amdhsa_kernel _ZN9rocsparseL33bsr2csr_block_per_row_8_32_kernelILj1024ELj16ElilEEv20rocsparse_direction_T3_S2_21rocsparse_index_base_PKT1_PKT2_PKS2_S2_S3_PS4_PS7_PS2_
		.amdhsa_group_segment_fixed_size 0
		.amdhsa_private_segment_fixed_size 0
		.amdhsa_kernarg_size 96
		.amdhsa_user_sgpr_count 2
		.amdhsa_user_sgpr_dispatch_ptr 0
		.amdhsa_user_sgpr_queue_ptr 0
		.amdhsa_user_sgpr_kernarg_segment_ptr 1
		.amdhsa_user_sgpr_dispatch_id 0
		.amdhsa_user_sgpr_kernarg_preload_length 0
		.amdhsa_user_sgpr_kernarg_preload_offset 0
		.amdhsa_user_sgpr_private_segment_size 0
		.amdhsa_wavefront_size32 1
		.amdhsa_uses_dynamic_stack 0
		.amdhsa_enable_private_segment 0
		.amdhsa_system_sgpr_workgroup_id_x 1
		.amdhsa_system_sgpr_workgroup_id_y 0
		.amdhsa_system_sgpr_workgroup_id_z 0
		.amdhsa_system_sgpr_workgroup_info 0
		.amdhsa_system_vgpr_workitem_id 0
		.amdhsa_next_free_vgpr 16
		.amdhsa_next_free_sgpr 20
		.amdhsa_named_barrier_count 0
		.amdhsa_reserve_vcc 1
		.amdhsa_float_round_mode_32 0
		.amdhsa_float_round_mode_16_64 0
		.amdhsa_float_denorm_mode_32 3
		.amdhsa_float_denorm_mode_16_64 3
		.amdhsa_fp16_overflow 0
		.amdhsa_memory_ordered 1
		.amdhsa_forward_progress 1
		.amdhsa_inst_pref_size 6
		.amdhsa_round_robin_scheduling 0
		.amdhsa_exception_fp_ieee_invalid_op 0
		.amdhsa_exception_fp_denorm_src 0
		.amdhsa_exception_fp_ieee_div_zero 0
		.amdhsa_exception_fp_ieee_overflow 0
		.amdhsa_exception_fp_ieee_underflow 0
		.amdhsa_exception_fp_ieee_inexact 0
		.amdhsa_exception_int_div_zero 0
	.end_amdhsa_kernel
	.section	.text._ZN9rocsparseL33bsr2csr_block_per_row_8_32_kernelILj1024ELj16ElilEEv20rocsparse_direction_T3_S2_21rocsparse_index_base_PKT1_PKT2_PKS2_S2_S3_PS4_PS7_PS2_,"axG",@progbits,_ZN9rocsparseL33bsr2csr_block_per_row_8_32_kernelILj1024ELj16ElilEEv20rocsparse_direction_T3_S2_21rocsparse_index_base_PKT1_PKT2_PKS2_S2_S3_PS4_PS7_PS2_,comdat
.Lfunc_end86:
	.size	_ZN9rocsparseL33bsr2csr_block_per_row_8_32_kernelILj1024ELj16ElilEEv20rocsparse_direction_T3_S2_21rocsparse_index_base_PKT1_PKT2_PKS2_S2_S3_PS4_PS7_PS2_, .Lfunc_end86-_ZN9rocsparseL33bsr2csr_block_per_row_8_32_kernelILj1024ELj16ElilEEv20rocsparse_direction_T3_S2_21rocsparse_index_base_PKT1_PKT2_PKS2_S2_S3_PS4_PS7_PS2_
                                        ; -- End function
	.set _ZN9rocsparseL33bsr2csr_block_per_row_8_32_kernelILj1024ELj16ElilEEv20rocsparse_direction_T3_S2_21rocsparse_index_base_PKT1_PKT2_PKS2_S2_S3_PS4_PS7_PS2_.num_vgpr, 16
	.set _ZN9rocsparseL33bsr2csr_block_per_row_8_32_kernelILj1024ELj16ElilEEv20rocsparse_direction_T3_S2_21rocsparse_index_base_PKT1_PKT2_PKS2_S2_S3_PS4_PS7_PS2_.num_agpr, 0
	.set _ZN9rocsparseL33bsr2csr_block_per_row_8_32_kernelILj1024ELj16ElilEEv20rocsparse_direction_T3_S2_21rocsparse_index_base_PKT1_PKT2_PKS2_S2_S3_PS4_PS7_PS2_.numbered_sgpr, 20
	.set _ZN9rocsparseL33bsr2csr_block_per_row_8_32_kernelILj1024ELj16ElilEEv20rocsparse_direction_T3_S2_21rocsparse_index_base_PKT1_PKT2_PKS2_S2_S3_PS4_PS7_PS2_.num_named_barrier, 0
	.set _ZN9rocsparseL33bsr2csr_block_per_row_8_32_kernelILj1024ELj16ElilEEv20rocsparse_direction_T3_S2_21rocsparse_index_base_PKT1_PKT2_PKS2_S2_S3_PS4_PS7_PS2_.private_seg_size, 0
	.set _ZN9rocsparseL33bsr2csr_block_per_row_8_32_kernelILj1024ELj16ElilEEv20rocsparse_direction_T3_S2_21rocsparse_index_base_PKT1_PKT2_PKS2_S2_S3_PS4_PS7_PS2_.uses_vcc, 1
	.set _ZN9rocsparseL33bsr2csr_block_per_row_8_32_kernelILj1024ELj16ElilEEv20rocsparse_direction_T3_S2_21rocsparse_index_base_PKT1_PKT2_PKS2_S2_S3_PS4_PS7_PS2_.uses_flat_scratch, 0
	.set _ZN9rocsparseL33bsr2csr_block_per_row_8_32_kernelILj1024ELj16ElilEEv20rocsparse_direction_T3_S2_21rocsparse_index_base_PKT1_PKT2_PKS2_S2_S3_PS4_PS7_PS2_.has_dyn_sized_stack, 0
	.set _ZN9rocsparseL33bsr2csr_block_per_row_8_32_kernelILj1024ELj16ElilEEv20rocsparse_direction_T3_S2_21rocsparse_index_base_PKT1_PKT2_PKS2_S2_S3_PS4_PS7_PS2_.has_recursion, 0
	.set _ZN9rocsparseL33bsr2csr_block_per_row_8_32_kernelILj1024ELj16ElilEEv20rocsparse_direction_T3_S2_21rocsparse_index_base_PKT1_PKT2_PKS2_S2_S3_PS4_PS7_PS2_.has_indirect_call, 0
	.section	.AMDGPU.csdata,"",@progbits
; Kernel info:
; codeLenInByte = 680
; TotalNumSgprs: 22
; NumVgprs: 16
; ScratchSize: 0
; MemoryBound: 0
; FloatMode: 240
; IeeeMode: 1
; LDSByteSize: 0 bytes/workgroup (compile time only)
; SGPRBlocks: 0
; VGPRBlocks: 0
; NumSGPRsForWavesPerEU: 22
; NumVGPRsForWavesPerEU: 16
; NamedBarCnt: 0
; Occupancy: 16
; WaveLimiterHint : 0
; COMPUTE_PGM_RSRC2:SCRATCH_EN: 0
; COMPUTE_PGM_RSRC2:USER_SGPR: 2
; COMPUTE_PGM_RSRC2:TRAP_HANDLER: 0
; COMPUTE_PGM_RSRC2:TGID_X_EN: 1
; COMPUTE_PGM_RSRC2:TGID_Y_EN: 0
; COMPUTE_PGM_RSRC2:TGID_Z_EN: 0
; COMPUTE_PGM_RSRC2:TIDIG_COMP_CNT: 0
	.section	.text._ZN9rocsparseL33bsr2csr_block_per_row_8_32_kernelILj1024ELj32ElilEEv20rocsparse_direction_T3_S2_21rocsparse_index_base_PKT1_PKT2_PKS2_S2_S3_PS4_PS7_PS2_,"axG",@progbits,_ZN9rocsparseL33bsr2csr_block_per_row_8_32_kernelILj1024ELj32ElilEEv20rocsparse_direction_T3_S2_21rocsparse_index_base_PKT1_PKT2_PKS2_S2_S3_PS4_PS7_PS2_,comdat
	.globl	_ZN9rocsparseL33bsr2csr_block_per_row_8_32_kernelILj1024ELj32ElilEEv20rocsparse_direction_T3_S2_21rocsparse_index_base_PKT1_PKT2_PKS2_S2_S3_PS4_PS7_PS2_ ; -- Begin function _ZN9rocsparseL33bsr2csr_block_per_row_8_32_kernelILj1024ELj32ElilEEv20rocsparse_direction_T3_S2_21rocsparse_index_base_PKT1_PKT2_PKS2_S2_S3_PS4_PS7_PS2_
	.p2align	8
	.type	_ZN9rocsparseL33bsr2csr_block_per_row_8_32_kernelILj1024ELj32ElilEEv20rocsparse_direction_T3_S2_21rocsparse_index_base_PKT1_PKT2_PKS2_S2_S3_PS4_PS7_PS2_,@function
_ZN9rocsparseL33bsr2csr_block_per_row_8_32_kernelILj1024ELj32ElilEEv20rocsparse_direction_T3_S2_21rocsparse_index_base_PKT1_PKT2_PKS2_S2_S3_PS4_PS7_PS2_: ; @_ZN9rocsparseL33bsr2csr_block_per_row_8_32_kernelILj1024ELj32ElilEEv20rocsparse_direction_T3_S2_21rocsparse_index_base_PKT1_PKT2_PKS2_S2_S3_PS4_PS7_PS2_
; %bb.0:
	s_clause 0x1
	s_load_b32 s8, s[0:1], 0x40
	s_load_b64 s[10:11], s[0:1], 0x50
	s_bfe_u32 s2, ttmp6, 0x4000c
	s_and_b32 s3, ttmp6, 15
	s_add_co_i32 s2, s2, 1
	s_getreg_b32 s4, hwreg(HW_REG_IB_STS2, 6, 4)
	s_mul_i32 s2, ttmp9, s2
	s_mov_b32 s15, 0
	s_add_co_i32 s3, s3, s2
	s_cmp_eq_u32 s4, 0
	s_mov_b32 s2, exec_lo
	s_cselect_b32 s14, ttmp9, s3
	s_delay_alu instid0(SALU_CYCLE_1) | instskip(NEXT) | instid1(VALU_DEP_1)
	v_or_b32_e32 v1, s14, v0
	v_cmpx_eq_u32_e32 0, v1
	s_cbranch_execz .LBB87_2
; %bb.1:
	s_wait_kmcnt 0x0
	v_dual_mov_b32 v1, 0 :: v_dual_mov_b32 v2, s8
	global_store_b32 v1, v2, s[10:11]
.LBB87_2:
	s_wait_xcnt 0x0
	s_or_b32 exec_lo, exec_lo, s2
	v_dual_mov_b32 v3, 0 :: v_dual_bitop2_b32 v2, 31, v0 bitop3:0x40
	v_lshrrev_b32_e32 v0, 5, v0
	s_load_b64 s[2:3], s[0:1], 0x38
	s_mov_b32 s4, exec_lo
	s_delay_alu instid0(VALU_DEP_2) | instskip(NEXT) | instid1(VALU_DEP_1)
	v_mov_b32_e32 v1, v3
	v_max_i64 v[4:5], v[0:1], v[2:3]
	s_wait_kmcnt 0x0
	s_delay_alu instid0(VALU_DEP_1)
	v_cmpx_gt_i64_e64 s[2:3], v[4:5]
	s_cbranch_execz .LBB87_6
; %bb.3:
	s_clause 0x1
	s_load_b64 s[6:7], s[0:1], 0x28
	s_load_b32 s4, s[0:1], 0x18
	s_lshl_b64 s[12:13], s[14:15], 2
	s_mul_u64 s[14:15], s[2:3], s[14:15]
	s_delay_alu instid0(SALU_CYCLE_1) | instskip(NEXT) | instid1(SALU_CYCLE_1)
	s_lshl_b64 s[14:15], s[14:15], 2
	s_add_nc_u64 s[10:11], s[10:11], s[14:15]
	s_wait_kmcnt 0x0
	s_add_nc_u64 s[6:7], s[6:7], s[12:13]
	s_mul_u64 s[12:13], s[2:3], s[2:3]
	s_load_b64 s[18:19], s[6:7], 0x0
	s_wait_kmcnt 0x0
	s_sub_co_i32 s6, s18, s4
	s_sub_co_i32 s16, s19, s4
	s_mul_i32 s9, s12, s6
	s_sub_co_i32 s5, s16, s6
	s_delay_alu instid0(SALU_CYCLE_1) | instskip(NEXT) | instid1(SALU_CYCLE_1)
	s_mul_i32 s7, s2, s5
	s_add_co_i32 s17, s8, s7
	s_delay_alu instid0(SALU_CYCLE_1)
	s_add_co_i32 s17, s17, s9
	s_cmp_ge_i32 s18, s19
	v_mad_u32 v4, s7, v0, s17
	global_store_b32 v0, v4, s[10:11] offset:4 scale_offset
	s_cbranch_scc1 .LBB87_6
; %bb.4:
	s_wait_xcnt 0x0
	v_mul_u64_e32 v[4:5], s[2:3], v[2:3]
	v_mul_u64_e32 v[6:7], s[2:3], v[0:1]
	s_clause 0x3
	s_load_b64 s[14:15], s[0:1], 0x20
	s_load_b64 s[18:19], s[0:1], 0x30
	;; [unrolled: 1-line block ×3, first 2 shown]
	s_load_b32 s7, s[0:1], 0x0
	v_mul_lo_u32 v10, v0, s5
	v_dual_mov_b32 v9, 0 :: v_dual_lshlrev_b32 v8, 3, v0
	s_wait_xcnt 0x0
	s_load_b64 s[0:1], s[0:1], 0x58
	s_mov_b32 s5, 0
	s_delay_alu instid0(SALU_CYCLE_1) | instskip(NEXT) | instid1(VALU_DEP_2)
	s_mov_b32 s9, s5
	v_mad_u32 v10, s2, s6, v10
	s_wait_kmcnt 0x0
	s_cmp_eq_u32 s7, 0
	s_cselect_b32 vcc_lo, -1, 0
	s_ashr_i32 s7, s6, 31
	s_delay_alu instid0(SALU_CYCLE_1) | instskip(SKIP_4) | instid1(VALU_DEP_2)
	s_lshl_b64 s[20:21], s[6:7], 3
	v_lshl_add_u64 v[0:1], v[4:5], 3, s[14:15]
	v_lshl_add_u64 v[4:5], v[6:7], 3, s[14:15]
	s_mul_u64 s[14:15], s[12:13], s[6:7]
	s_lshl_b64 s[12:13], s[12:13], 3
	v_add_nc_u64_e32 v[6:7], v[0:1], v[8:9]
	v_lshlrev_b32_e32 v8, 3, v2
	v_add_nc_u64_e32 v[0:1], s[8:9], v[2:3]
	v_mad_u32 v3, s2, v10, v2
	s_mov_b32 s8, s5
	s_mov_b32 s9, s2
	v_add_nc_u64_e32 v[4:5], v[4:5], v[8:9]
	s_delay_alu instid0(VALU_DEP_1) | instskip(NEXT) | instid1(VALU_DEP_2)
	v_dual_mov_b32 v2, v9 :: v_dual_cndmask_b32 v4, v6, v4, vcc_lo
	v_cndmask_b32_e32 v5, v7, v5, vcc_lo
	s_delay_alu instid0(VALU_DEP_1)
	v_lshl_add_u64 v[4:5], s[14:15], 3, v[4:5]
	s_add_nc_u64 s[14:15], s[18:19], s[20:21]
.LBB87_5:                               ; =>This Inner Loop Header: Depth=1
	global_load_b64 v[6:7], v[4:5], off
	s_load_b64 s[18:19], s[14:15], 0x0
	v_ashrrev_i64 v[10:11], 29, v[2:3]
	v_add_nc_u64_e32 v[2:3], s[8:9], v[2:3]
	v_add_nc_u64_e32 v[4:5], s[12:13], v[4:5]
	s_add_co_i32 s6, s6, 1
	s_wait_xcnt 0x0
	s_add_nc_u64 s[14:15], s[14:15], 8
	s_cmp_lt_i32 s6, s16
	v_add_nc_u64_e32 v[12:13], s[0:1], v[10:11]
	v_add_nc_u64_e32 v[10:11], s[10:11], v[10:11]
	s_wait_kmcnt 0x0
	s_sub_nc_u64 s[18:19], s[18:19], s[4:5]
	s_delay_alu instid0(SALU_CYCLE_1)
	v_mad_nc_u64_u32 v[8:9], s18, s2, v[0:1]
	s_mul_i32 s7, s19, s2
	s_mul_i32 s17, s18, s3
	s_delay_alu instid0(VALU_DEP_1) | instid1(SALU_CYCLE_1)
	v_add3_u32 v9, s17, s7, v9
	global_store_b64 v[12:13], v[8:9], off
	s_wait_loadcnt 0x0
	global_store_b64 v[10:11], v[6:7], off
	s_cbranch_scc1 .LBB87_5
.LBB87_6:
	s_endpgm
	.section	.rodata,"a",@progbits
	.p2align	6, 0x0
	.amdhsa_kernel _ZN9rocsparseL33bsr2csr_block_per_row_8_32_kernelILj1024ELj32ElilEEv20rocsparse_direction_T3_S2_21rocsparse_index_base_PKT1_PKT2_PKS2_S2_S3_PS4_PS7_PS2_
		.amdhsa_group_segment_fixed_size 0
		.amdhsa_private_segment_fixed_size 0
		.amdhsa_kernarg_size 96
		.amdhsa_user_sgpr_count 2
		.amdhsa_user_sgpr_dispatch_ptr 0
		.amdhsa_user_sgpr_queue_ptr 0
		.amdhsa_user_sgpr_kernarg_segment_ptr 1
		.amdhsa_user_sgpr_dispatch_id 0
		.amdhsa_user_sgpr_kernarg_preload_length 0
		.amdhsa_user_sgpr_kernarg_preload_offset 0
		.amdhsa_user_sgpr_private_segment_size 0
		.amdhsa_wavefront_size32 1
		.amdhsa_uses_dynamic_stack 0
		.amdhsa_enable_private_segment 0
		.amdhsa_system_sgpr_workgroup_id_x 1
		.amdhsa_system_sgpr_workgroup_id_y 0
		.amdhsa_system_sgpr_workgroup_id_z 0
		.amdhsa_system_sgpr_workgroup_info 0
		.amdhsa_system_vgpr_workitem_id 0
		.amdhsa_next_free_vgpr 14
		.amdhsa_next_free_sgpr 22
		.amdhsa_named_barrier_count 0
		.amdhsa_reserve_vcc 1
		.amdhsa_float_round_mode_32 0
		.amdhsa_float_round_mode_16_64 0
		.amdhsa_float_denorm_mode_32 3
		.amdhsa_float_denorm_mode_16_64 3
		.amdhsa_fp16_overflow 0
		.amdhsa_memory_ordered 1
		.amdhsa_forward_progress 1
		.amdhsa_inst_pref_size 6
		.amdhsa_round_robin_scheduling 0
		.amdhsa_exception_fp_ieee_invalid_op 0
		.amdhsa_exception_fp_denorm_src 0
		.amdhsa_exception_fp_ieee_div_zero 0
		.amdhsa_exception_fp_ieee_overflow 0
		.amdhsa_exception_fp_ieee_underflow 0
		.amdhsa_exception_fp_ieee_inexact 0
		.amdhsa_exception_int_div_zero 0
	.end_amdhsa_kernel
	.section	.text._ZN9rocsparseL33bsr2csr_block_per_row_8_32_kernelILj1024ELj32ElilEEv20rocsparse_direction_T3_S2_21rocsparse_index_base_PKT1_PKT2_PKS2_S2_S3_PS4_PS7_PS2_,"axG",@progbits,_ZN9rocsparseL33bsr2csr_block_per_row_8_32_kernelILj1024ELj32ElilEEv20rocsparse_direction_T3_S2_21rocsparse_index_base_PKT1_PKT2_PKS2_S2_S3_PS4_PS7_PS2_,comdat
.Lfunc_end87:
	.size	_ZN9rocsparseL33bsr2csr_block_per_row_8_32_kernelILj1024ELj32ElilEEv20rocsparse_direction_T3_S2_21rocsparse_index_base_PKT1_PKT2_PKS2_S2_S3_PS4_PS7_PS2_, .Lfunc_end87-_ZN9rocsparseL33bsr2csr_block_per_row_8_32_kernelILj1024ELj32ElilEEv20rocsparse_direction_T3_S2_21rocsparse_index_base_PKT1_PKT2_PKS2_S2_S3_PS4_PS7_PS2_
                                        ; -- End function
	.set _ZN9rocsparseL33bsr2csr_block_per_row_8_32_kernelILj1024ELj32ElilEEv20rocsparse_direction_T3_S2_21rocsparse_index_base_PKT1_PKT2_PKS2_S2_S3_PS4_PS7_PS2_.num_vgpr, 14
	.set _ZN9rocsparseL33bsr2csr_block_per_row_8_32_kernelILj1024ELj32ElilEEv20rocsparse_direction_T3_S2_21rocsparse_index_base_PKT1_PKT2_PKS2_S2_S3_PS4_PS7_PS2_.num_agpr, 0
	.set _ZN9rocsparseL33bsr2csr_block_per_row_8_32_kernelILj1024ELj32ElilEEv20rocsparse_direction_T3_S2_21rocsparse_index_base_PKT1_PKT2_PKS2_S2_S3_PS4_PS7_PS2_.numbered_sgpr, 22
	.set _ZN9rocsparseL33bsr2csr_block_per_row_8_32_kernelILj1024ELj32ElilEEv20rocsparse_direction_T3_S2_21rocsparse_index_base_PKT1_PKT2_PKS2_S2_S3_PS4_PS7_PS2_.num_named_barrier, 0
	.set _ZN9rocsparseL33bsr2csr_block_per_row_8_32_kernelILj1024ELj32ElilEEv20rocsparse_direction_T3_S2_21rocsparse_index_base_PKT1_PKT2_PKS2_S2_S3_PS4_PS7_PS2_.private_seg_size, 0
	.set _ZN9rocsparseL33bsr2csr_block_per_row_8_32_kernelILj1024ELj32ElilEEv20rocsparse_direction_T3_S2_21rocsparse_index_base_PKT1_PKT2_PKS2_S2_S3_PS4_PS7_PS2_.uses_vcc, 1
	.set _ZN9rocsparseL33bsr2csr_block_per_row_8_32_kernelILj1024ELj32ElilEEv20rocsparse_direction_T3_S2_21rocsparse_index_base_PKT1_PKT2_PKS2_S2_S3_PS4_PS7_PS2_.uses_flat_scratch, 0
	.set _ZN9rocsparseL33bsr2csr_block_per_row_8_32_kernelILj1024ELj32ElilEEv20rocsparse_direction_T3_S2_21rocsparse_index_base_PKT1_PKT2_PKS2_S2_S3_PS4_PS7_PS2_.has_dyn_sized_stack, 0
	.set _ZN9rocsparseL33bsr2csr_block_per_row_8_32_kernelILj1024ELj32ElilEEv20rocsparse_direction_T3_S2_21rocsparse_index_base_PKT1_PKT2_PKS2_S2_S3_PS4_PS7_PS2_.has_recursion, 0
	.set _ZN9rocsparseL33bsr2csr_block_per_row_8_32_kernelILj1024ELj32ElilEEv20rocsparse_direction_T3_S2_21rocsparse_index_base_PKT1_PKT2_PKS2_S2_S3_PS4_PS7_PS2_.has_indirect_call, 0
	.section	.AMDGPU.csdata,"",@progbits
; Kernel info:
; codeLenInByte = 652
; TotalNumSgprs: 24
; NumVgprs: 14
; ScratchSize: 0
; MemoryBound: 0
; FloatMode: 240
; IeeeMode: 1
; LDSByteSize: 0 bytes/workgroup (compile time only)
; SGPRBlocks: 0
; VGPRBlocks: 0
; NumSGPRsForWavesPerEU: 24
; NumVGPRsForWavesPerEU: 14
; NamedBarCnt: 0
; Occupancy: 16
; WaveLimiterHint : 0
; COMPUTE_PGM_RSRC2:SCRATCH_EN: 0
; COMPUTE_PGM_RSRC2:USER_SGPR: 2
; COMPUTE_PGM_RSRC2:TRAP_HANDLER: 0
; COMPUTE_PGM_RSRC2:TGID_X_EN: 1
; COMPUTE_PGM_RSRC2:TGID_Y_EN: 0
; COMPUTE_PGM_RSRC2:TGID_Z_EN: 0
; COMPUTE_PGM_RSRC2:TIDIG_COMP_CNT: 0
	.section	.text._ZN9rocsparseL35bsr2csr_block_per_row_33_256_kernelILj1024ELj64ELj32ElilEEv20rocsparse_direction_T4_S2_21rocsparse_index_base_PKT2_PKT3_PKS2_S2_S3_PS4_PS7_PS2_,"axG",@progbits,_ZN9rocsparseL35bsr2csr_block_per_row_33_256_kernelILj1024ELj64ELj32ElilEEv20rocsparse_direction_T4_S2_21rocsparse_index_base_PKT2_PKT3_PKS2_S2_S3_PS4_PS7_PS2_,comdat
	.globl	_ZN9rocsparseL35bsr2csr_block_per_row_33_256_kernelILj1024ELj64ELj32ElilEEv20rocsparse_direction_T4_S2_21rocsparse_index_base_PKT2_PKT3_PKS2_S2_S3_PS4_PS7_PS2_ ; -- Begin function _ZN9rocsparseL35bsr2csr_block_per_row_33_256_kernelILj1024ELj64ELj32ElilEEv20rocsparse_direction_T4_S2_21rocsparse_index_base_PKT2_PKT3_PKS2_S2_S3_PS4_PS7_PS2_
	.p2align	8
	.type	_ZN9rocsparseL35bsr2csr_block_per_row_33_256_kernelILj1024ELj64ELj32ElilEEv20rocsparse_direction_T4_S2_21rocsparse_index_base_PKT2_PKT3_PKS2_S2_S3_PS4_PS7_PS2_,@function
_ZN9rocsparseL35bsr2csr_block_per_row_33_256_kernelILj1024ELj64ELj32ElilEEv20rocsparse_direction_T4_S2_21rocsparse_index_base_PKT2_PKT3_PKS2_S2_S3_PS4_PS7_PS2_: ; @_ZN9rocsparseL35bsr2csr_block_per_row_33_256_kernelILj1024ELj64ELj32ElilEEv20rocsparse_direction_T4_S2_21rocsparse_index_base_PKT2_PKT3_PKS2_S2_S3_PS4_PS7_PS2_
; %bb.0:
	s_load_b64 s[8:9], s[0:1], 0x28
	s_bfe_u32 s2, ttmp6, 0x4000c
	s_and_b32 s3, ttmp6, 15
	s_add_co_i32 s2, s2, 1
	s_getreg_b32 s4, hwreg(HW_REG_IB_STS2, 6, 4)
	s_mul_i32 s2, ttmp9, s2
	s_mov_b32 s5, 0
	s_add_co_i32 s3, s3, s2
	s_cmp_eq_u32 s4, 0
	s_clause 0x1
	s_load_b32 s6, s[0:1], 0x40
	s_load_b64 s[14:15], s[0:1], 0x50
	s_cselect_b32 s2, ttmp9, s3
	s_mov_b32 s3, s5
	v_or_b32_e32 v1, s2, v0
	s_lshl_b64 s[10:11], s[2:3], 2
	s_mov_b32 s4, exec_lo
	s_wait_kmcnt 0x0
	s_add_nc_u64 s[8:9], s[8:9], s[10:11]
	s_load_b64 s[12:13], s[8:9], 0x0
	v_cmpx_eq_u32_e32 0, v1
	s_cbranch_execz .LBB88_2
; %bb.1:
	v_dual_mov_b32 v1, 0 :: v_dual_mov_b32 v2, s6
	global_store_b32 v1, v2, s[14:15]
.LBB88_2:
	s_wait_xcnt 0x0
	s_or_b32 exec_lo, exec_lo, s4
	s_clause 0x1
	s_load_b32 s8, s[0:1], 0x18
	s_load_b64 s[10:11], s[0:1], 0x38
	v_dual_mov_b32 v13, 0 :: v_dual_lshrrev_b32 v12, 5, v0
	s_mov_b32 s17, s5
	s_wait_kmcnt 0x0
	s_sub_co_i32 s4, s12, s8
	s_sub_co_i32 s24, s13, s8
	s_mul_u64 s[26:27], s[10:11], s[2:3]
	v_cmp_gt_i64_e64 s2, s[10:11], v[12:13]
	s_sub_co_i32 s16, s24, s4
	s_mul_u64 s[18:19], s[10:11], s[10:11]
	s_mul_u64 s[22:23], s[10:11], s[16:17]
	s_lshl_b64 s[26:27], s[26:27], 2
	s_mul_u64 s[20:21], s[18:19], s[4:5]
	s_add_co_i32 s5, s6, s22
	s_add_nc_u64 s[14:15], s[14:15], s[26:27]
	s_and_saveexec_b32 s3, s2
	s_cbranch_execz .LBB88_4
; %bb.3:
	s_add_co_i32 s7, s5, s20
	s_delay_alu instid0(SALU_CYCLE_1)
	v_mad_u32 v1, v12, s22, s7
	global_store_b32 v12, v1, s[14:15] offset:4 scale_offset
.LBB88_4:
	s_wait_xcnt 0x0
	s_or_b32 exec_lo, exec_lo, s3
	v_dual_mov_b32 v3, v13 :: v_dual_bitop2_b32 v2, 32, v12 bitop3:0x54
	s_delay_alu instid0(VALU_DEP_1)
	v_cmp_gt_i64_e64 s3, s[10:11], v[2:3]
	s_and_saveexec_b32 s7, s3
	s_cbranch_execz .LBB88_6
; %bb.5:
	s_add_co_i32 s5, s5, s20
	s_delay_alu instid0(SALU_CYCLE_1)
	v_mad_u32 v1, v2, s22, s5
	global_store_b32 v12, v1, s[14:15] offset:132 scale_offset
.LBB88_6:
	s_wait_xcnt 0x0
	s_or_b32 exec_lo, exec_lo, s7
	s_cmp_lt_i32 s12, s13
	s_cbranch_scc0 .LBB88_17
; %bb.7:
	s_clause 0x2
	s_load_b64 s[20:21], s[0:1], 0x30
	s_load_b64 s[12:13], s[0:1], 0x48
	s_load_b32 s5, s[0:1], 0x0
	v_dual_mov_b32 v1, 0 :: v_dual_bitop2_b32 v0, 31, v0 bitop3:0x40
	v_lshlrev_b32_e32 v8, 3, v12
	s_mul_i32 s7, s10, s4
	s_mov_b32 s9, 0
	s_delay_alu instid0(VALU_DEP_2)
	v_dual_mov_b32 v9, v1 :: v_dual_lshlrev_b32 v4, 3, v0
	v_mov_b32_e32 v5, v1
	v_mad_u32 v13, v2, s16, s7
	v_mad_u32 v12, v12, s16, s7
	v_dual_mov_b32 v11, v1 :: v_dual_bitop2_b32 v10, 32, v0 bitop3:0x54
	s_mov_b32 s7, s9
	s_load_b64 s[16:17], s[0:1], 0x58
	v_mov_b32_e32 v14, v1
	s_wait_kmcnt 0x0
	s_cmp_eq_u32 s5, 0
	s_delay_alu instid0(VALU_DEP_4) | instskip(SKIP_2) | instid1(VALU_DEP_4)
	v_mul_lo_u32 v13, s10, v13
	s_cselect_b32 vcc_lo, -1, 0
	s_ashr_i32 s5, s4, 31
	v_mul_lo_u32 v15, s10, v12
	s_mul_u64 s[14:15], s[10:11], s[4:5]
	v_mov_b32_e32 v12, v1
	s_lshl_b64 s[14:15], s[14:15], 3
	s_lshl_b64 s[18:19], s[18:19], 3
	v_add_nc_u64_e32 v[16:17], s[14:15], v[8:9]
	v_add_nc_u64_e32 v[18:19], s[14:15], v[4:5]
	s_load_b64 s[14:15], s[0:1], 0x20
	s_wait_xcnt 0x0
	v_cmp_gt_i64_e64 s0, s[10:11], v[0:1]
	v_cmp_gt_i64_e64 s1, s[10:11], v[10:11]
	s_delay_alu instid0(VALU_DEP_4) | instskip(NEXT) | instid1(VALU_DEP_4)
	v_add_nc_u64_e32 v[20:21], 0x100, v[16:17]
	v_add_nc_u64_e32 v[22:23], 0x100, v[18:19]
	v_mad_nc_u64_u32 v[2:3], s10, v16, v[4:5]
	s_and_b32 s22, s2, s0
	s_and_b32 s23, s2, s1
	;; [unrolled: 1-line block ×4, first 2 shown]
	v_mad_nc_u64_u32 v[4:5], s10, v20, v[4:5]
	v_mad_nc_u64_u32 v[6:7], s10, v22, v[8:9]
	;; [unrolled: 1-line block ×3, first 2 shown]
	s_lshl_b64 s[2:3], s[4:5], 3
	s_mov_b32 s0, s9
	s_mov_b32 s1, s10
	v_mad_u32 v3, s11, v16, v3
	v_mov_b32_e32 v16, v1
	s_add_nc_u64 s[2:3], s[20:21], s[2:3]
	v_mad_u32 v5, s11, v20, v5
	v_mad_u32 v7, s11, v22, v7
	;; [unrolled: 1-line block ×4, first 2 shown]
	v_mov_b32_e32 v17, v0
	v_mad_u32 v5, s10, v21, v5
	v_mad_u32 v7, s10, v23, v7
	;; [unrolled: 1-line block ×3, first 2 shown]
	s_branch .LBB88_9
.LBB88_8:                               ;   in Loop: Header=BB88_9 Depth=1
	s_wait_xcnt 0x0
	s_or_b32 exec_lo, exec_lo, s5
	v_add_nc_u64_e32 v[16:17], s[0:1], v[16:17]
	s_add_co_i32 s4, s4, 1
	s_add_nc_u64 s[2:3], s[2:3], 8
	s_cmp_ge_i32 s4, s24
	s_add_nc_u64 s[14:15], s[14:15], s[18:19]
	s_cbranch_scc1 .LBB88_17
.LBB88_9:                               ; =>This Inner Loop Header: Depth=1
	s_load_b64 s[20:21], s[2:3], 0x0
	v_add_nc_u64_e32 v[26:27], v[14:15], v[16:17]
	s_wait_kmcnt 0x0
	v_add_nc_u64_e32 v[28:29], s[14:15], v[2:3]
	s_delay_alu instid0(VALU_DEP_3) | instskip(SKIP_1) | instid1(SALU_CYCLE_1)
	v_add_nc_u64_e32 v[24:25], s[14:15], v[8:9]
	s_sub_nc_u64 s[20:21], s[20:21], s[8:9]
	s_mul_u64 s[20:21], s[20:21], s[10:11]
	s_delay_alu instid0(SALU_CYCLE_1) | instskip(NEXT) | instid1(SALU_CYCLE_1)
	s_add_nc_u64 s[20:21], s[20:21], s[6:7]
	v_add_nc_u64_e32 v[20:21], s[20:21], v[0:1]
	s_and_saveexec_b32 s5, s22
	s_cbranch_execz .LBB88_11
; %bb.10:                               ;   in Loop: Header=BB88_9 Depth=1
	v_dual_cndmask_b32 v19, v25, v29 :: v_dual_cndmask_b32 v18, v24, v28
	v_ashrrev_i64 v[22:23], 29, v[26:27]
	global_load_b64 v[18:19], v[18:19], off
	v_add_nc_u64_e32 v[30:31], s[16:17], v[22:23]
	v_add_nc_u64_e32 v[22:23], s[12:13], v[22:23]
	global_store_b64 v[30:31], v[20:21], off
	s_wait_loadcnt 0x0
	global_store_b64 v[22:23], v[18:19], off
.LBB88_11:                              ;   in Loop: Header=BB88_9 Depth=1
	s_wait_xcnt 0x0
	s_or_b32 exec_lo, exec_lo, s5
	v_add_nc_u64_e32 v[18:19], s[20:21], v[10:11]
	v_add_nc_u64_e32 v[22:23], s[14:15], v[6:7]
	s_and_saveexec_b32 s5, s23
	s_cbranch_execz .LBB88_13
; %bb.12:                               ;   in Loop: Header=BB88_9 Depth=1
	v_add_nc_u64_e32 v[28:29], 0x100, v[28:29]
	v_add_nc_u32_e32 v27, 32, v27
	s_delay_alu instid0(VALU_DEP_1) | instskip(NEXT) | instid1(VALU_DEP_3)
	v_ashrrev_i64 v[26:27], 29, v[26:27]
	v_dual_cndmask_b32 v29, v23, v29 :: v_dual_cndmask_b32 v28, v22, v28
	global_load_b64 v[28:29], v[28:29], off
	v_add_nc_u64_e32 v[30:31], s[16:17], v[26:27]
	v_add_nc_u64_e32 v[26:27], s[12:13], v[26:27]
	global_store_b64 v[30:31], v[18:19], off
	s_wait_loadcnt 0x0
	global_store_b64 v[26:27], v[28:29], off
.LBB88_13:                              ;   in Loop: Header=BB88_9 Depth=1
	s_wait_xcnt 0x0
	s_or_b32 exec_lo, exec_lo, s5
	v_add_nc_u64_e32 v[26:27], v[12:13], v[16:17]
	v_add_nc_u64_e32 v[28:29], s[14:15], v[4:5]
	s_and_saveexec_b32 s5, s25
	s_cbranch_execz .LBB88_15
; %bb.14:                               ;   in Loop: Header=BB88_9 Depth=1
	v_add_nc_u64_e32 v[24:25], 0x100, v[24:25]
	s_delay_alu instid0(VALU_DEP_3) | instskip(NEXT) | instid1(VALU_DEP_2)
	v_ashrrev_i64 v[30:31], 29, v[26:27]
	v_dual_cndmask_b32 v25, v25, v29 :: v_dual_cndmask_b32 v24, v24, v28
	s_delay_alu instid0(VALU_DEP_2)
	v_add_nc_u64_e32 v[32:33], s[16:17], v[30:31]
	v_add_nc_u64_e32 v[30:31], s[12:13], v[30:31]
	global_load_b64 v[24:25], v[24:25], off
	global_store_b64 v[32:33], v[20:21], off
	s_wait_loadcnt 0x0
	global_store_b64 v[30:31], v[24:25], off
.LBB88_15:                              ;   in Loop: Header=BB88_9 Depth=1
	s_wait_xcnt 0x0
	s_or_b32 exec_lo, exec_lo, s5
	s_and_saveexec_b32 s5, s26
	s_cbranch_execz .LBB88_8
; %bb.16:                               ;   in Loop: Header=BB88_9 Depth=1
	v_dual_cndmask_b32 v21, v23, v29 :: v_dual_cndmask_b32 v20, v22, v28
	v_add_nc_u32_e32 v27, 32, v27
	global_load_b64 v[20:21], v[20:21], off offset:256
	v_ashrrev_i64 v[22:23], 29, v[26:27]
	s_delay_alu instid0(VALU_DEP_1)
	v_add_nc_u64_e32 v[24:25], s[16:17], v[22:23]
	v_add_nc_u64_e32 v[22:23], s[12:13], v[22:23]
	global_store_b64 v[24:25], v[18:19], off
	s_wait_loadcnt 0x0
	global_store_b64 v[22:23], v[20:21], off
	s_branch .LBB88_8
.LBB88_17:
	s_endpgm
	.section	.rodata,"a",@progbits
	.p2align	6, 0x0
	.amdhsa_kernel _ZN9rocsparseL35bsr2csr_block_per_row_33_256_kernelILj1024ELj64ELj32ElilEEv20rocsparse_direction_T4_S2_21rocsparse_index_base_PKT2_PKT3_PKS2_S2_S3_PS4_PS7_PS2_
		.amdhsa_group_segment_fixed_size 0
		.amdhsa_private_segment_fixed_size 0
		.amdhsa_kernarg_size 96
		.amdhsa_user_sgpr_count 2
		.amdhsa_user_sgpr_dispatch_ptr 0
		.amdhsa_user_sgpr_queue_ptr 0
		.amdhsa_user_sgpr_kernarg_segment_ptr 1
		.amdhsa_user_sgpr_dispatch_id 0
		.amdhsa_user_sgpr_kernarg_preload_length 0
		.amdhsa_user_sgpr_kernarg_preload_offset 0
		.amdhsa_user_sgpr_private_segment_size 0
		.amdhsa_wavefront_size32 1
		.amdhsa_uses_dynamic_stack 0
		.amdhsa_enable_private_segment 0
		.amdhsa_system_sgpr_workgroup_id_x 1
		.amdhsa_system_sgpr_workgroup_id_y 0
		.amdhsa_system_sgpr_workgroup_id_z 0
		.amdhsa_system_sgpr_workgroup_info 0
		.amdhsa_system_vgpr_workitem_id 0
		.amdhsa_next_free_vgpr 34
		.amdhsa_next_free_sgpr 28
		.amdhsa_named_barrier_count 0
		.amdhsa_reserve_vcc 1
		.amdhsa_float_round_mode_32 0
		.amdhsa_float_round_mode_16_64 0
		.amdhsa_float_denorm_mode_32 3
		.amdhsa_float_denorm_mode_16_64 3
		.amdhsa_fp16_overflow 0
		.amdhsa_memory_ordered 1
		.amdhsa_forward_progress 1
		.amdhsa_inst_pref_size 10
		.amdhsa_round_robin_scheduling 0
		.amdhsa_exception_fp_ieee_invalid_op 0
		.amdhsa_exception_fp_denorm_src 0
		.amdhsa_exception_fp_ieee_div_zero 0
		.amdhsa_exception_fp_ieee_overflow 0
		.amdhsa_exception_fp_ieee_underflow 0
		.amdhsa_exception_fp_ieee_inexact 0
		.amdhsa_exception_int_div_zero 0
	.end_amdhsa_kernel
	.section	.text._ZN9rocsparseL35bsr2csr_block_per_row_33_256_kernelILj1024ELj64ELj32ElilEEv20rocsparse_direction_T4_S2_21rocsparse_index_base_PKT2_PKT3_PKS2_S2_S3_PS4_PS7_PS2_,"axG",@progbits,_ZN9rocsparseL35bsr2csr_block_per_row_33_256_kernelILj1024ELj64ELj32ElilEEv20rocsparse_direction_T4_S2_21rocsparse_index_base_PKT2_PKT3_PKS2_S2_S3_PS4_PS7_PS2_,comdat
.Lfunc_end88:
	.size	_ZN9rocsparseL35bsr2csr_block_per_row_33_256_kernelILj1024ELj64ELj32ElilEEv20rocsparse_direction_T4_S2_21rocsparse_index_base_PKT2_PKT3_PKS2_S2_S3_PS4_PS7_PS2_, .Lfunc_end88-_ZN9rocsparseL35bsr2csr_block_per_row_33_256_kernelILj1024ELj64ELj32ElilEEv20rocsparse_direction_T4_S2_21rocsparse_index_base_PKT2_PKT3_PKS2_S2_S3_PS4_PS7_PS2_
                                        ; -- End function
	.set _ZN9rocsparseL35bsr2csr_block_per_row_33_256_kernelILj1024ELj64ELj32ElilEEv20rocsparse_direction_T4_S2_21rocsparse_index_base_PKT2_PKT3_PKS2_S2_S3_PS4_PS7_PS2_.num_vgpr, 34
	.set _ZN9rocsparseL35bsr2csr_block_per_row_33_256_kernelILj1024ELj64ELj32ElilEEv20rocsparse_direction_T4_S2_21rocsparse_index_base_PKT2_PKT3_PKS2_S2_S3_PS4_PS7_PS2_.num_agpr, 0
	.set _ZN9rocsparseL35bsr2csr_block_per_row_33_256_kernelILj1024ELj64ELj32ElilEEv20rocsparse_direction_T4_S2_21rocsparse_index_base_PKT2_PKT3_PKS2_S2_S3_PS4_PS7_PS2_.numbered_sgpr, 28
	.set _ZN9rocsparseL35bsr2csr_block_per_row_33_256_kernelILj1024ELj64ELj32ElilEEv20rocsparse_direction_T4_S2_21rocsparse_index_base_PKT2_PKT3_PKS2_S2_S3_PS4_PS7_PS2_.num_named_barrier, 0
	.set _ZN9rocsparseL35bsr2csr_block_per_row_33_256_kernelILj1024ELj64ELj32ElilEEv20rocsparse_direction_T4_S2_21rocsparse_index_base_PKT2_PKT3_PKS2_S2_S3_PS4_PS7_PS2_.private_seg_size, 0
	.set _ZN9rocsparseL35bsr2csr_block_per_row_33_256_kernelILj1024ELj64ELj32ElilEEv20rocsparse_direction_T4_S2_21rocsparse_index_base_PKT2_PKT3_PKS2_S2_S3_PS4_PS7_PS2_.uses_vcc, 1
	.set _ZN9rocsparseL35bsr2csr_block_per_row_33_256_kernelILj1024ELj64ELj32ElilEEv20rocsparse_direction_T4_S2_21rocsparse_index_base_PKT2_PKT3_PKS2_S2_S3_PS4_PS7_PS2_.uses_flat_scratch, 0
	.set _ZN9rocsparseL35bsr2csr_block_per_row_33_256_kernelILj1024ELj64ELj32ElilEEv20rocsparse_direction_T4_S2_21rocsparse_index_base_PKT2_PKT3_PKS2_S2_S3_PS4_PS7_PS2_.has_dyn_sized_stack, 0
	.set _ZN9rocsparseL35bsr2csr_block_per_row_33_256_kernelILj1024ELj64ELj32ElilEEv20rocsparse_direction_T4_S2_21rocsparse_index_base_PKT2_PKT3_PKS2_S2_S3_PS4_PS7_PS2_.has_recursion, 0
	.set _ZN9rocsparseL35bsr2csr_block_per_row_33_256_kernelILj1024ELj64ELj32ElilEEv20rocsparse_direction_T4_S2_21rocsparse_index_base_PKT2_PKT3_PKS2_S2_S3_PS4_PS7_PS2_.has_indirect_call, 0
	.section	.AMDGPU.csdata,"",@progbits
; Kernel info:
; codeLenInByte = 1156
; TotalNumSgprs: 30
; NumVgprs: 34
; ScratchSize: 0
; MemoryBound: 0
; FloatMode: 240
; IeeeMode: 1
; LDSByteSize: 0 bytes/workgroup (compile time only)
; SGPRBlocks: 0
; VGPRBlocks: 2
; NumSGPRsForWavesPerEU: 30
; NumVGPRsForWavesPerEU: 34
; NamedBarCnt: 0
; Occupancy: 16
; WaveLimiterHint : 1
; COMPUTE_PGM_RSRC2:SCRATCH_EN: 0
; COMPUTE_PGM_RSRC2:USER_SGPR: 2
; COMPUTE_PGM_RSRC2:TRAP_HANDLER: 0
; COMPUTE_PGM_RSRC2:TGID_X_EN: 1
; COMPUTE_PGM_RSRC2:TGID_Y_EN: 0
; COMPUTE_PGM_RSRC2:TGID_Z_EN: 0
; COMPUTE_PGM_RSRC2:TIDIG_COMP_CNT: 0
	.section	.text._ZN9rocsparseL35bsr2csr_block_per_row_33_256_kernelILj1024ELj128ELj32ElilEEv20rocsparse_direction_T4_S2_21rocsparse_index_base_PKT2_PKT3_PKS2_S2_S3_PS4_PS7_PS2_,"axG",@progbits,_ZN9rocsparseL35bsr2csr_block_per_row_33_256_kernelILj1024ELj128ELj32ElilEEv20rocsparse_direction_T4_S2_21rocsparse_index_base_PKT2_PKT3_PKS2_S2_S3_PS4_PS7_PS2_,comdat
	.globl	_ZN9rocsparseL35bsr2csr_block_per_row_33_256_kernelILj1024ELj128ELj32ElilEEv20rocsparse_direction_T4_S2_21rocsparse_index_base_PKT2_PKT3_PKS2_S2_S3_PS4_PS7_PS2_ ; -- Begin function _ZN9rocsparseL35bsr2csr_block_per_row_33_256_kernelILj1024ELj128ELj32ElilEEv20rocsparse_direction_T4_S2_21rocsparse_index_base_PKT2_PKT3_PKS2_S2_S3_PS4_PS7_PS2_
	.p2align	8
	.type	_ZN9rocsparseL35bsr2csr_block_per_row_33_256_kernelILj1024ELj128ELj32ElilEEv20rocsparse_direction_T4_S2_21rocsparse_index_base_PKT2_PKT3_PKS2_S2_S3_PS4_PS7_PS2_,@function
_ZN9rocsparseL35bsr2csr_block_per_row_33_256_kernelILj1024ELj128ELj32ElilEEv20rocsparse_direction_T4_S2_21rocsparse_index_base_PKT2_PKT3_PKS2_S2_S3_PS4_PS7_PS2_: ; @_ZN9rocsparseL35bsr2csr_block_per_row_33_256_kernelILj1024ELj128ELj32ElilEEv20rocsparse_direction_T4_S2_21rocsparse_index_base_PKT2_PKT3_PKS2_S2_S3_PS4_PS7_PS2_
; %bb.0:
	s_load_b64 s[6:7], s[0:1], 0x28
	s_bfe_u32 s2, ttmp6, 0x4000c
	s_and_b32 s3, ttmp6, 15
	s_add_co_i32 s2, s2, 1
	s_getreg_b32 s4, hwreg(HW_REG_IB_STS2, 6, 4)
	s_mul_i32 s2, ttmp9, s2
	s_mov_b32 s9, 0
	s_add_co_i32 s3, s3, s2
	s_cmp_eq_u32 s4, 0
	s_clause 0x1
	s_load_b32 s10, s[0:1], 0x40
	s_load_b64 s[4:5], s[0:1], 0x50
	s_cselect_b32 s2, ttmp9, s3
	s_mov_b32 s3, s9
	v_or_b32_e32 v1, s2, v0
	s_lshl_b64 s[12:13], s[2:3], 2
	s_mov_b32 s8, exec_lo
	s_wait_kmcnt 0x0
	s_add_nc_u64 s[12:13], s[6:7], s[12:13]
	s_load_b64 s[6:7], s[12:13], 0x0
	v_cmpx_eq_u32_e32 0, v1
	s_cbranch_execz .LBB89_2
; %bb.1:
	v_dual_mov_b32 v1, 0 :: v_dual_mov_b32 v2, s10
	global_store_b32 v1, v2, s[4:5]
.LBB89_2:
	s_wait_xcnt 0x0
	s_or_b32 exec_lo, exec_lo, s8
	s_clause 0x1
	s_load_b32 s12, s[0:1], 0x18
	s_load_b64 s[14:15], s[0:1], 0x38
	v_dual_mov_b32 v11, 0 :: v_dual_lshrrev_b32 v10, 5, v0
	s_mov_b32 s25, s9
	s_wait_kmcnt 0x0
	s_sub_co_i32 s8, s6, s12
	s_sub_co_i32 s28, s7, s12
	s_mul_u64 s[20:21], s[14:15], s[2:3]
	v_cmp_gt_i64_e64 s3, s[14:15], v[10:11]
	s_sub_co_i32 s24, s28, s8
	s_mul_u64 s[22:23], s[14:15], s[14:15]
	s_mul_u64 s[18:19], s[14:15], s[24:25]
	s_lshl_b64 s[20:21], s[20:21], 2
	s_mul_u64 s[16:17], s[22:23], s[8:9]
	s_add_co_i32 s9, s10, s18
	s_add_nc_u64 s[20:21], s[4:5], s[20:21]
	s_and_saveexec_b32 s2, s3
	s_cbranch_execz .LBB89_4
; %bb.3:
	s_add_co_i32 s4, s9, s16
	s_delay_alu instid0(SALU_CYCLE_1)
	v_mad_u32 v1, v10, s18, s4
	global_store_b32 v10, v1, s[20:21] offset:4 scale_offset
.LBB89_4:
	s_wait_xcnt 0x0
	s_or_b32 exec_lo, exec_lo, s2
	v_dual_mov_b32 v29, v11 :: v_dual_bitop2_b32 v28, 32, v10 bitop3:0x54
	s_delay_alu instid0(VALU_DEP_1)
	v_cmp_gt_i64_e64 s4, s[14:15], v[28:29]
	s_and_saveexec_b32 s2, s4
	s_cbranch_execz .LBB89_6
; %bb.5:
	s_add_co_i32 s5, s9, s16
	s_delay_alu instid0(SALU_CYCLE_1)
	v_mad_u32 v1, v28, s18, s5
	global_store_b32 v10, v1, s[20:21] offset:132 scale_offset
.LBB89_6:
	s_wait_xcnt 0x0
	s_or_b32 exec_lo, exec_lo, s2
	v_dual_mov_b32 v31, v11 :: v_dual_bitop2_b32 v30, 64, v10 bitop3:0x54
	s_delay_alu instid0(VALU_DEP_1)
	v_cmp_gt_i64_e64 s5, s[14:15], v[30:31]
	s_and_saveexec_b32 s2, s5
	s_cbranch_execz .LBB89_8
; %bb.7:
	s_add_co_i32 s11, s9, s16
	s_delay_alu instid0(SALU_CYCLE_1)
	v_mad_u32 v1, v30, s18, s11
	global_store_b32 v10, v1, s[20:21] offset:260 scale_offset
.LBB89_8:
	s_wait_xcnt 0x0
	s_or_b32 exec_lo, exec_lo, s2
	v_or_b32_e32 v8, 0x60, v10
	v_mov_b32_e32 v9, v11
	s_delay_alu instid0(VALU_DEP_1)
	v_cmp_gt_i64_e64 s2, s[14:15], v[8:9]
	s_and_saveexec_b32 s11, s2
	s_cbranch_execz .LBB89_10
; %bb.9:
	s_add_co_i32 s9, s9, s16
	s_delay_alu instid0(SALU_CYCLE_1)
	v_mad_u32 v1, v8, s18, s9
	global_store_b32 v10, v1, s[20:21] offset:388 scale_offset
.LBB89_10:
	s_wait_xcnt 0x0
	s_or_b32 exec_lo, exec_lo, s11
	s_cmp_lt_i32 s6, s7
	s_cbranch_scc0 .LBB89_45
; %bb.11:
	s_clause 0x2
	s_load_b64 s[26:27], s[0:1], 0x30
	s_load_b64 s[16:17], s[0:1], 0x48
	s_load_b32 s9, s[0:1], 0x0
	v_dual_mov_b32 v1, 0 :: v_dual_bitop2_b32 v0, 31, v0 bitop3:0x40
	s_clause 0x1
	s_load_b64 s[18:19], s[0:1], 0x20
	s_load_b64 s[20:21], s[0:1], 0x58
	s_mov_b32 s13, 0
	v_dual_lshlrev_b32 v26, 3, v10 :: v_dual_bitop2_b32 v2, 32, v0 bitop3:0x54
	v_dual_mov_b32 v3, v1 :: v_dual_bitop2_b32 v4, 64, v0 bitop3:0x54
	v_mov_b32_e32 v5, v1
	v_or_b32_e32 v6, 0x60, v0
	v_mov_b32_e32 v7, v1
	s_wait_xcnt 0x0
	v_cmp_gt_i64_e64 s0, s[14:15], v[0:1]
	v_cmp_gt_i64_e64 s1, s[14:15], v[2:3]
	;; [unrolled: 1-line block ×3, first 2 shown]
	v_dual_mov_b32 v27, v1 :: v_dual_lshlrev_b32 v18, 3, v0
	v_cmp_gt_i64_e64 s7, s[14:15], v[6:7]
	v_dual_mov_b32 v19, v1 :: v_dual_mov_b32 v9, v0
	s_wait_kmcnt 0x0
	s_cmp_eq_u32 s9, 0
	v_mov_b32_e32 v32, v1
	s_cselect_b32 vcc_lo, -1, 0
	s_ashr_i32 s9, s8, 31
	s_and_b32 s33, s4, s0
	s_and_b32 s34, s4, s1
	;; [unrolled: 1-line block ×8, first 2 shown]
	s_mul_u64 s[4:5], s[14:15], s[8:9]
	s_and_b32 s25, s3, s0
	s_and_b32 s41, s2, s0
	s_mul_i32 s0, s14, s8
	s_lshl_b64 s[4:5], s[4:5], 3
	v_mad_u32 v11, v8, s24, s0
	v_add_nc_u64_e32 v[34:35], s[4:5], v[26:27]
	v_mov_b32_e32 v8, v1
	v_add_nc_u64_e32 v[36:37], s[4:5], v[18:19]
	v_mad_u32 v29, v30, s24, s0
	v_mad_u32 v28, v28, s24, s0
	;; [unrolled: 1-line block ×3, first 2 shown]
	v_mov_b32_e32 v30, v1
	v_add_nc_u64_e32 v[38:39], 0x300, v[34:35]
	v_add_nc_u64_e32 v[40:41], 0x200, v[34:35]
	;; [unrolled: 1-line block ×6, first 2 shown]
	v_mad_u32 v11, s14, v11, 0x60
	v_mad_nc_u64_u32 v[12:13], s14, v38, v[18:19]
	v_mad_nc_u64_u32 v[14:15], s14, v40, v[18:19]
	;; [unrolled: 1-line block ×8, first 2 shown]
	v_mul_lo_u32 v29, s14, v29
	v_mul_lo_u32 v31, s14, v28
	;; [unrolled: 1-line block ×3, first 2 shown]
	v_mad_u32 v13, s15, v38, v13
	v_mad_u32 v15, s15, v40, v15
	;; [unrolled: 1-line block ×8, first 2 shown]
	v_dual_mov_b32 v10, v1 :: v_dual_mov_b32 v28, v1
	s_and_b32 s29, s3, s1
	v_mad_u32 v13, s14, v39, v13
	v_mad_u32 v15, s14, v41, v15
	;; [unrolled: 1-line block ×8, first 2 shown]
	s_and_b32 s30, s3, s6
	s_and_b32 s31, s3, s7
	;; [unrolled: 1-line block ×5, first 2 shown]
	s_lshl_b64 s[2:3], s[8:9], 3
	s_mov_b32 s11, s13
	s_mov_b32 s0, s13
	;; [unrolled: 1-line block ×3, first 2 shown]
	s_add_nc_u64 s[2:3], s[26:27], s[2:3]
	s_lshl_b64 s[4:5], s[22:23], 3
	s_branch .LBB89_13
.LBB89_12:                              ;   in Loop: Header=BB89_13 Depth=1
	s_wait_xcnt 0x0
	s_or_b32 exec_lo, exec_lo, s6
	v_add_nc_u64_e32 v[10:11], s[0:1], v[10:11]
	v_add_nc_u64_e32 v[28:29], s[0:1], v[28:29]
	;; [unrolled: 1-line block ×4, first 2 shown]
	s_add_co_i32 s8, s8, 1
	s_add_nc_u64 s[2:3], s[2:3], 8
	s_cmp_ge_i32 s8, s28
	s_add_nc_u64 s[18:19], s[18:19], s[4:5]
	s_cbranch_scc1 .LBB89_45
.LBB89_13:                              ; =>This Inner Loop Header: Depth=1
	s_load_b64 s[6:7], s[2:3], 0x0
	v_add_nc_u64_e32 v[50:51], v[8:9], v[32:33]
	v_add_nc_u64_e32 v[52:53], s[18:19], v[18:19]
	;; [unrolled: 1-line block ×3, first 2 shown]
	s_wait_kmcnt 0x0
	s_sub_nc_u64 s[6:7], s[6:7], s[12:13]
	s_delay_alu instid0(SALU_CYCLE_1) | instskip(NEXT) | instid1(SALU_CYCLE_1)
	s_mul_u64 s[6:7], s[6:7], s[14:15]
	s_add_nc_u64 s[6:7], s[6:7], s[10:11]
	s_delay_alu instid0(SALU_CYCLE_1)
	v_add_nc_u64_e32 v[38:39], s[6:7], v[0:1]
	s_and_saveexec_b32 s9, s25
	s_cbranch_execz .LBB89_15
; %bb.14:                               ;   in Loop: Header=BB89_13 Depth=1
	v_dual_cndmask_b32 v35, v49, v53 :: v_dual_cndmask_b32 v34, v48, v52
	v_ashrrev_i64 v[36:37], 29, v[50:51]
	global_load_b64 v[34:35], v[34:35], off
	v_add_nc_u64_e32 v[40:41], s[20:21], v[36:37]
	v_add_nc_u64_e32 v[36:37], s[16:17], v[36:37]
	global_store_b64 v[40:41], v[38:39], off
	s_wait_loadcnt 0x0
	global_store_b64 v[36:37], v[34:35], off
.LBB89_15:                              ;   in Loop: Header=BB89_13 Depth=1
	s_wait_xcnt 0x0
	s_or_b32 exec_lo, exec_lo, s9
	v_add_nc_u64_e32 v[34:35], s[6:7], v[2:3]
	v_add_nc_u64_e32 v[42:43], s[18:19], v[24:25]
	s_and_saveexec_b32 s9, s29
	s_cbranch_execz .LBB89_17
; %bb.16:                               ;   in Loop: Header=BB89_13 Depth=1
	v_add_nc_u64_e32 v[36:37], 0x100, v[52:53]
	v_dual_mov_b32 v40, v50 :: v_dual_add_nc_u32 v41, 32, v51
	s_delay_alu instid0(VALU_DEP_1) | instskip(NEXT) | instid1(VALU_DEP_3)
	v_ashrrev_i64 v[40:41], 29, v[40:41]
	v_dual_cndmask_b32 v37, v43, v37 :: v_dual_cndmask_b32 v36, v42, v36
	global_load_b64 v[36:37], v[36:37], off
	v_add_nc_u64_e32 v[44:45], s[20:21], v[40:41]
	v_add_nc_u64_e32 v[40:41], s[16:17], v[40:41]
	global_store_b64 v[44:45], v[34:35], off
	s_wait_loadcnt 0x0
	global_store_b64 v[40:41], v[36:37], off
.LBB89_17:                              ;   in Loop: Header=BB89_13 Depth=1
	s_wait_xcnt 0x0
	s_or_b32 exec_lo, exec_lo, s9
	v_add_nc_u64_e32 v[36:37], s[6:7], v[4:5]
	v_add_nc_u64_e32 v[44:45], s[18:19], v[22:23]
	s_and_saveexec_b32 s9, s30
	s_cbranch_execz .LBB89_19
; %bb.18:                               ;   in Loop: Header=BB89_13 Depth=1
	v_add_nc_u64_e32 v[40:41], 0x200, v[52:53]
	v_dual_mov_b32 v46, v50 :: v_dual_add_nc_u32 v47, 64, v51
	s_delay_alu instid0(VALU_DEP_1) | instskip(NEXT) | instid1(VALU_DEP_3)
	v_ashrrev_i64 v[46:47], 29, v[46:47]
	v_dual_cndmask_b32 v41, v45, v41 :: v_dual_cndmask_b32 v40, v44, v40
	global_load_b64 v[40:41], v[40:41], off
	v_add_nc_u64_e32 v[54:55], s[20:21], v[46:47]
	v_add_nc_u64_e32 v[46:47], s[16:17], v[46:47]
	global_store_b64 v[54:55], v[36:37], off
	s_wait_loadcnt 0x0
	global_store_b64 v[46:47], v[40:41], off
.LBB89_19:                              ;   in Loop: Header=BB89_13 Depth=1
	s_wait_xcnt 0x0
	s_or_b32 exec_lo, exec_lo, s9
	v_add_nc_u64_e32 v[40:41], s[6:7], v[6:7]
	v_add_nc_u64_e32 v[46:47], s[18:19], v[20:21]
	s_and_saveexec_b32 s6, s31
	s_cbranch_execz .LBB89_21
; %bb.20:                               ;   in Loop: Header=BB89_13 Depth=1
	v_add_nc_u64_e32 v[52:53], 0x300, v[52:53]
	v_add_nc_u32_e32 v51, 0x60, v51
	s_delay_alu instid0(VALU_DEP_1) | instskip(NEXT) | instid1(VALU_DEP_3)
	v_ashrrev_i64 v[50:51], 29, v[50:51]
	v_dual_cndmask_b32 v53, v47, v53 :: v_dual_cndmask_b32 v52, v46, v52
	global_load_b64 v[52:53], v[52:53], off
	v_add_nc_u64_e32 v[54:55], s[20:21], v[50:51]
	v_add_nc_u64_e32 v[50:51], s[16:17], v[50:51]
	global_store_b64 v[54:55], v[40:41], off
	s_wait_loadcnt 0x0
	global_store_b64 v[50:51], v[52:53], off
.LBB89_21:                              ;   in Loop: Header=BB89_13 Depth=1
	s_wait_xcnt 0x0
	s_or_b32 exec_lo, exec_lo, s6
	v_add_nc_u64_e32 v[50:51], v[8:9], v[30:31]
	v_add_nc_u64_e32 v[52:53], s[18:19], v[16:17]
	s_and_saveexec_b32 s6, s33
	s_cbranch_execnz .LBB89_35
; %bb.22:                               ;   in Loop: Header=BB89_13 Depth=1
	s_or_b32 exec_lo, exec_lo, s6
	s_and_saveexec_b32 s6, s34
	s_cbranch_execnz .LBB89_36
.LBB89_23:                              ;   in Loop: Header=BB89_13 Depth=1
	s_or_b32 exec_lo, exec_lo, s6
	s_and_saveexec_b32 s6, s35
	s_cbranch_execnz .LBB89_37
.LBB89_24:                              ;   in Loop: Header=BB89_13 Depth=1
	s_or_b32 exec_lo, exec_lo, s6
	s_and_saveexec_b32 s6, s36
	s_cbranch_execz .LBB89_26
.LBB89_25:                              ;   in Loop: Header=BB89_13 Depth=1
	v_add_nc_u64_e32 v[52:53], 0x300, v[52:53]
	v_add_nc_u64_e32 v[54:55], 0x100, v[46:47]
	v_add_nc_u32_e32 v51, 0x60, v51
	s_delay_alu instid0(VALU_DEP_1) | instskip(NEXT) | instid1(VALU_DEP_3)
	v_ashrrev_i64 v[50:51], 29, v[50:51]
	v_dual_cndmask_b32 v53, v55, v53 :: v_dual_cndmask_b32 v52, v54, v52
	global_load_b64 v[52:53], v[52:53], off
	v_add_nc_u64_e32 v[54:55], s[20:21], v[50:51]
	v_add_nc_u64_e32 v[50:51], s[16:17], v[50:51]
	global_store_b64 v[54:55], v[40:41], off
	s_wait_loadcnt 0x0
	global_store_b64 v[50:51], v[52:53], off
.LBB89_26:                              ;   in Loop: Header=BB89_13 Depth=1
	s_wait_xcnt 0x0
	s_or_b32 exec_lo, exec_lo, s6
	v_add_nc_u64_e32 v[50:51], v[8:9], v[28:29]
	v_add_nc_u64_e32 v[52:53], s[18:19], v[14:15]
	s_and_saveexec_b32 s6, s37
	s_cbranch_execnz .LBB89_38
; %bb.27:                               ;   in Loop: Header=BB89_13 Depth=1
	s_or_b32 exec_lo, exec_lo, s6
	s_and_saveexec_b32 s6, s38
	s_cbranch_execnz .LBB89_39
.LBB89_28:                              ;   in Loop: Header=BB89_13 Depth=1
	s_or_b32 exec_lo, exec_lo, s6
	s_and_saveexec_b32 s6, s39
	s_cbranch_execnz .LBB89_40
.LBB89_29:                              ;   in Loop: Header=BB89_13 Depth=1
	s_or_b32 exec_lo, exec_lo, s6
	s_and_saveexec_b32 s6, s40
	s_cbranch_execz .LBB89_31
.LBB89_30:                              ;   in Loop: Header=BB89_13 Depth=1
	v_add_nc_u64_e32 v[52:53], 0x300, v[52:53]
	v_add_nc_u64_e32 v[54:55], 0x200, v[46:47]
	v_add_nc_u32_e32 v51, 0x60, v51
	s_delay_alu instid0(VALU_DEP_1) | instskip(NEXT) | instid1(VALU_DEP_3)
	v_ashrrev_i64 v[50:51], 29, v[50:51]
	v_dual_cndmask_b32 v53, v55, v53 :: v_dual_cndmask_b32 v52, v54, v52
	global_load_b64 v[52:53], v[52:53], off
	v_add_nc_u64_e32 v[54:55], s[20:21], v[50:51]
	v_add_nc_u64_e32 v[50:51], s[16:17], v[50:51]
	global_store_b64 v[54:55], v[40:41], off
	s_wait_loadcnt 0x0
	global_store_b64 v[50:51], v[52:53], off
.LBB89_31:                              ;   in Loop: Header=BB89_13 Depth=1
	s_wait_xcnt 0x0
	s_or_b32 exec_lo, exec_lo, s6
	v_add_nc_u64_e32 v[50:51], v[8:9], v[10:11]
	v_add_nc_u64_e32 v[52:53], s[18:19], v[12:13]
	s_and_saveexec_b32 s6, s41
	s_cbranch_execnz .LBB89_41
; %bb.32:                               ;   in Loop: Header=BB89_13 Depth=1
	s_or_b32 exec_lo, exec_lo, s6
	s_and_saveexec_b32 s6, s42
	s_cbranch_execnz .LBB89_42
.LBB89_33:                              ;   in Loop: Header=BB89_13 Depth=1
	s_or_b32 exec_lo, exec_lo, s6
	s_and_saveexec_b32 s6, s43
	s_cbranch_execnz .LBB89_43
.LBB89_34:                              ;   in Loop: Header=BB89_13 Depth=1
	s_or_b32 exec_lo, exec_lo, s6
	s_and_saveexec_b32 s6, s44
	s_cbranch_execz .LBB89_12
	s_branch .LBB89_44
.LBB89_35:                              ;   in Loop: Header=BB89_13 Depth=1
	v_add_nc_u64_e32 v[54:55], 0x100, v[48:49]
	s_delay_alu instid0(VALU_DEP_3) | instskip(NEXT) | instid1(VALU_DEP_2)
	v_ashrrev_i64 v[56:57], 29, v[50:51]
	v_dual_cndmask_b32 v55, v55, v53 :: v_dual_cndmask_b32 v54, v54, v52
	s_delay_alu instid0(VALU_DEP_2)
	v_add_nc_u64_e32 v[58:59], s[20:21], v[56:57]
	v_add_nc_u64_e32 v[56:57], s[16:17], v[56:57]
	global_load_b64 v[54:55], v[54:55], off
	global_store_b64 v[58:59], v[38:39], off
	s_wait_loadcnt 0x0
	global_store_b64 v[56:57], v[54:55], off
	s_wait_xcnt 0x0
	s_or_b32 exec_lo, exec_lo, s6
	s_and_saveexec_b32 s6, s34
	s_cbranch_execz .LBB89_23
.LBB89_36:                              ;   in Loop: Header=BB89_13 Depth=1
	s_delay_alu instid0(VALU_DEP_1) | instskip(SKIP_3) | instid1(VALU_DEP_1)
	v_dual_cndmask_b32 v55, v43, v53 :: v_dual_cndmask_b32 v54, v42, v52
	v_dual_mov_b32 v56, v50 :: v_dual_add_nc_u32 v57, 32, v51
	global_load_b64 v[54:55], v[54:55], off offset:256
	v_ashrrev_i64 v[56:57], 29, v[56:57]
	v_add_nc_u64_e32 v[58:59], s[20:21], v[56:57]
	v_add_nc_u64_e32 v[56:57], s[16:17], v[56:57]
	global_store_b64 v[58:59], v[34:35], off
	s_wait_loadcnt 0x0
	global_store_b64 v[56:57], v[54:55], off
	s_wait_xcnt 0x0
	s_or_b32 exec_lo, exec_lo, s6
	s_and_saveexec_b32 s6, s35
	s_cbranch_execz .LBB89_24
.LBB89_37:                              ;   in Loop: Header=BB89_13 Depth=1
	v_add_nc_u64_e32 v[54:55], 0x200, v[52:53]
	v_add_nc_u64_e32 v[56:57], 0x100, v[44:45]
	s_delay_alu instid0(VALU_DEP_1) | instskip(SKIP_3) | instid1(VALU_DEP_1)
	v_dual_cndmask_b32 v55, v57, v55 :: v_dual_cndmask_b32 v54, v56, v54
	v_dual_mov_b32 v56, v50 :: v_dual_add_nc_u32 v57, 64, v51
	global_load_b64 v[54:55], v[54:55], off
	v_ashrrev_i64 v[56:57], 29, v[56:57]
	v_add_nc_u64_e32 v[58:59], s[20:21], v[56:57]
	v_add_nc_u64_e32 v[56:57], s[16:17], v[56:57]
	global_store_b64 v[58:59], v[36:37], off
	s_wait_loadcnt 0x0
	global_store_b64 v[56:57], v[54:55], off
	s_wait_xcnt 0x0
	s_or_b32 exec_lo, exec_lo, s6
	s_and_saveexec_b32 s6, s36
	s_cbranch_execnz .LBB89_25
	s_branch .LBB89_26
.LBB89_38:                              ;   in Loop: Header=BB89_13 Depth=1
	v_add_nc_u64_e32 v[54:55], 0x200, v[48:49]
	s_delay_alu instid0(VALU_DEP_3) | instskip(NEXT) | instid1(VALU_DEP_2)
	v_ashrrev_i64 v[56:57], 29, v[50:51]
	v_dual_cndmask_b32 v55, v55, v53 :: v_dual_cndmask_b32 v54, v54, v52
	s_delay_alu instid0(VALU_DEP_2)
	v_add_nc_u64_e32 v[58:59], s[20:21], v[56:57]
	v_add_nc_u64_e32 v[56:57], s[16:17], v[56:57]
	global_load_b64 v[54:55], v[54:55], off
	global_store_b64 v[58:59], v[38:39], off
	s_wait_loadcnt 0x0
	global_store_b64 v[56:57], v[54:55], off
	s_wait_xcnt 0x0
	s_or_b32 exec_lo, exec_lo, s6
	s_and_saveexec_b32 s6, s38
	s_cbranch_execz .LBB89_28
.LBB89_39:                              ;   in Loop: Header=BB89_13 Depth=1
	s_delay_alu instid0(VALU_DEP_1) | instskip(SKIP_1) | instid1(VALU_DEP_1)
	v_add_nc_u64_e32 v[54:55], 0x100, v[52:53]
	v_add_nc_u64_e32 v[56:57], 0x200, v[42:43]
	v_dual_cndmask_b32 v55, v57, v55 :: v_dual_cndmask_b32 v54, v56, v54
	v_dual_mov_b32 v56, v50 :: v_dual_add_nc_u32 v57, 32, v51
	global_load_b64 v[54:55], v[54:55], off
	v_ashrrev_i64 v[56:57], 29, v[56:57]
	s_delay_alu instid0(VALU_DEP_1)
	v_add_nc_u64_e32 v[58:59], s[20:21], v[56:57]
	v_add_nc_u64_e32 v[56:57], s[16:17], v[56:57]
	global_store_b64 v[58:59], v[34:35], off
	s_wait_loadcnt 0x0
	global_store_b64 v[56:57], v[54:55], off
	s_wait_xcnt 0x0
	s_or_b32 exec_lo, exec_lo, s6
	s_and_saveexec_b32 s6, s39
	s_cbranch_execz .LBB89_29
.LBB89_40:                              ;   in Loop: Header=BB89_13 Depth=1
	v_dual_cndmask_b32 v55, v45, v53 :: v_dual_cndmask_b32 v54, v44, v52
	v_dual_mov_b32 v56, v50 :: v_dual_add_nc_u32 v57, 64, v51
	global_load_b64 v[54:55], v[54:55], off offset:512
	v_ashrrev_i64 v[56:57], 29, v[56:57]
	s_delay_alu instid0(VALU_DEP_1)
	v_add_nc_u64_e32 v[58:59], s[20:21], v[56:57]
	v_add_nc_u64_e32 v[56:57], s[16:17], v[56:57]
	global_store_b64 v[58:59], v[36:37], off
	s_wait_loadcnt 0x0
	global_store_b64 v[56:57], v[54:55], off
	s_wait_xcnt 0x0
	s_or_b32 exec_lo, exec_lo, s6
	s_and_saveexec_b32 s6, s40
	s_cbranch_execnz .LBB89_30
	s_branch .LBB89_31
.LBB89_41:                              ;   in Loop: Header=BB89_13 Depth=1
	v_add_nc_u64_e32 v[48:49], 0x300, v[48:49]
	s_delay_alu instid0(VALU_DEP_3) | instskip(NEXT) | instid1(VALU_DEP_1)
	v_dual_mov_b32 v54, v50 :: v_dual_add_nc_u32 v55, 0xffffffa0, v51
	v_ashrrev_i64 v[54:55], 29, v[54:55]
	s_delay_alu instid0(VALU_DEP_3)
	v_dual_cndmask_b32 v49, v49, v53 :: v_dual_cndmask_b32 v48, v48, v52
	global_load_b64 v[48:49], v[48:49], off
	v_add_nc_u64_e32 v[56:57], s[20:21], v[54:55]
	v_add_nc_u64_e32 v[54:55], s[16:17], v[54:55]
	global_store_b64 v[56:57], v[38:39], off
	s_wait_loadcnt 0x0
	global_store_b64 v[54:55], v[48:49], off
	s_wait_xcnt 0x0
	s_or_b32 exec_lo, exec_lo, s6
	s_and_saveexec_b32 s6, s42
	s_cbranch_execz .LBB89_33
.LBB89_42:                              ;   in Loop: Header=BB89_13 Depth=1
	s_delay_alu instid0(VALU_DEP_1) | instskip(SKIP_1) | instid1(VALU_DEP_1)
	v_add_nc_u64_e32 v[38:39], 0x100, v[52:53]
	v_add_nc_u64_e32 v[42:43], 0x300, v[42:43]
	v_dual_cndmask_b32 v39, v43, v39 :: v_dual_cndmask_b32 v38, v42, v38
	v_subrev_nc_u32_e32 v43, 64, v51
	v_mov_b32_e32 v42, v50
	global_load_b64 v[38:39], v[38:39], off
	v_ashrrev_i64 v[42:43], 29, v[42:43]
	s_delay_alu instid0(VALU_DEP_1)
	v_add_nc_u64_e32 v[48:49], s[20:21], v[42:43]
	v_add_nc_u64_e32 v[42:43], s[16:17], v[42:43]
	global_store_b64 v[48:49], v[34:35], off
	s_wait_loadcnt 0x0
	global_store_b64 v[42:43], v[38:39], off
	s_wait_xcnt 0x0
	s_or_b32 exec_lo, exec_lo, s6
	s_and_saveexec_b32 s6, s43
	s_cbranch_execz .LBB89_34
.LBB89_43:                              ;   in Loop: Header=BB89_13 Depth=1
	v_add_nc_u64_e32 v[34:35], 0x200, v[52:53]
	v_add_nc_u64_e32 v[38:39], 0x300, v[44:45]
	s_delay_alu instid0(VALU_DEP_1) | instskip(SKIP_4) | instid1(VALU_DEP_1)
	v_dual_cndmask_b32 v35, v39, v35 :: v_dual_cndmask_b32 v34, v38, v34
	v_subrev_nc_u32_e32 v39, 32, v51
	v_mov_b32_e32 v38, v50
	global_load_b64 v[34:35], v[34:35], off
	v_ashrrev_i64 v[38:39], 29, v[38:39]
	v_add_nc_u64_e32 v[42:43], s[20:21], v[38:39]
	v_add_nc_u64_e32 v[38:39], s[16:17], v[38:39]
	global_store_b64 v[42:43], v[36:37], off
	s_wait_loadcnt 0x0
	global_store_b64 v[38:39], v[34:35], off
	s_wait_xcnt 0x0
	s_or_b32 exec_lo, exec_lo, s6
	s_and_saveexec_b32 s6, s44
	s_cbranch_execz .LBB89_12
.LBB89_44:                              ;   in Loop: Header=BB89_13 Depth=1
	v_dual_cndmask_b32 v35, v47, v53 :: v_dual_cndmask_b32 v34, v46, v52
	v_ashrrev_i64 v[36:37], 29, v[50:51]
	global_load_b64 v[34:35], v[34:35], off offset:768
	v_add_nc_u64_e32 v[38:39], s[20:21], v[36:37]
	v_add_nc_u64_e32 v[36:37], s[16:17], v[36:37]
	global_store_b64 v[38:39], v[40:41], off
	s_wait_loadcnt 0x0
	global_store_b64 v[36:37], v[34:35], off
	s_branch .LBB89_12
.LBB89_45:
	s_endpgm
	.section	.rodata,"a",@progbits
	.p2align	6, 0x0
	.amdhsa_kernel _ZN9rocsparseL35bsr2csr_block_per_row_33_256_kernelILj1024ELj128ELj32ElilEEv20rocsparse_direction_T4_S2_21rocsparse_index_base_PKT2_PKT3_PKS2_S2_S3_PS4_PS7_PS2_
		.amdhsa_group_segment_fixed_size 0
		.amdhsa_private_segment_fixed_size 0
		.amdhsa_kernarg_size 96
		.amdhsa_user_sgpr_count 2
		.amdhsa_user_sgpr_dispatch_ptr 0
		.amdhsa_user_sgpr_queue_ptr 0
		.amdhsa_user_sgpr_kernarg_segment_ptr 1
		.amdhsa_user_sgpr_dispatch_id 0
		.amdhsa_user_sgpr_kernarg_preload_length 0
		.amdhsa_user_sgpr_kernarg_preload_offset 0
		.amdhsa_user_sgpr_private_segment_size 0
		.amdhsa_wavefront_size32 1
		.amdhsa_uses_dynamic_stack 0
		.amdhsa_enable_private_segment 0
		.amdhsa_system_sgpr_workgroup_id_x 1
		.amdhsa_system_sgpr_workgroup_id_y 0
		.amdhsa_system_sgpr_workgroup_id_z 0
		.amdhsa_system_sgpr_workgroup_info 0
		.amdhsa_system_vgpr_workitem_id 0
		.amdhsa_next_free_vgpr 60
		.amdhsa_next_free_sgpr 45
		.amdhsa_named_barrier_count 0
		.amdhsa_reserve_vcc 1
		.amdhsa_float_round_mode_32 0
		.amdhsa_float_round_mode_16_64 0
		.amdhsa_float_denorm_mode_32 3
		.amdhsa_float_denorm_mode_16_64 3
		.amdhsa_fp16_overflow 0
		.amdhsa_memory_ordered 1
		.amdhsa_forward_progress 1
		.amdhsa_inst_pref_size 24
		.amdhsa_round_robin_scheduling 0
		.amdhsa_exception_fp_ieee_invalid_op 0
		.amdhsa_exception_fp_denorm_src 0
		.amdhsa_exception_fp_ieee_div_zero 0
		.amdhsa_exception_fp_ieee_overflow 0
		.amdhsa_exception_fp_ieee_underflow 0
		.amdhsa_exception_fp_ieee_inexact 0
		.amdhsa_exception_int_div_zero 0
	.end_amdhsa_kernel
	.section	.text._ZN9rocsparseL35bsr2csr_block_per_row_33_256_kernelILj1024ELj128ELj32ElilEEv20rocsparse_direction_T4_S2_21rocsparse_index_base_PKT2_PKT3_PKS2_S2_S3_PS4_PS7_PS2_,"axG",@progbits,_ZN9rocsparseL35bsr2csr_block_per_row_33_256_kernelILj1024ELj128ELj32ElilEEv20rocsparse_direction_T4_S2_21rocsparse_index_base_PKT2_PKT3_PKS2_S2_S3_PS4_PS7_PS2_,comdat
.Lfunc_end89:
	.size	_ZN9rocsparseL35bsr2csr_block_per_row_33_256_kernelILj1024ELj128ELj32ElilEEv20rocsparse_direction_T4_S2_21rocsparse_index_base_PKT2_PKT3_PKS2_S2_S3_PS4_PS7_PS2_, .Lfunc_end89-_ZN9rocsparseL35bsr2csr_block_per_row_33_256_kernelILj1024ELj128ELj32ElilEEv20rocsparse_direction_T4_S2_21rocsparse_index_base_PKT2_PKT3_PKS2_S2_S3_PS4_PS7_PS2_
                                        ; -- End function
	.set _ZN9rocsparseL35bsr2csr_block_per_row_33_256_kernelILj1024ELj128ELj32ElilEEv20rocsparse_direction_T4_S2_21rocsparse_index_base_PKT2_PKT3_PKS2_S2_S3_PS4_PS7_PS2_.num_vgpr, 60
	.set _ZN9rocsparseL35bsr2csr_block_per_row_33_256_kernelILj1024ELj128ELj32ElilEEv20rocsparse_direction_T4_S2_21rocsparse_index_base_PKT2_PKT3_PKS2_S2_S3_PS4_PS7_PS2_.num_agpr, 0
	.set _ZN9rocsparseL35bsr2csr_block_per_row_33_256_kernelILj1024ELj128ELj32ElilEEv20rocsparse_direction_T4_S2_21rocsparse_index_base_PKT2_PKT3_PKS2_S2_S3_PS4_PS7_PS2_.numbered_sgpr, 45
	.set _ZN9rocsparseL35bsr2csr_block_per_row_33_256_kernelILj1024ELj128ELj32ElilEEv20rocsparse_direction_T4_S2_21rocsparse_index_base_PKT2_PKT3_PKS2_S2_S3_PS4_PS7_PS2_.num_named_barrier, 0
	.set _ZN9rocsparseL35bsr2csr_block_per_row_33_256_kernelILj1024ELj128ELj32ElilEEv20rocsparse_direction_T4_S2_21rocsparse_index_base_PKT2_PKT3_PKS2_S2_S3_PS4_PS7_PS2_.private_seg_size, 0
	.set _ZN9rocsparseL35bsr2csr_block_per_row_33_256_kernelILj1024ELj128ELj32ElilEEv20rocsparse_direction_T4_S2_21rocsparse_index_base_PKT2_PKT3_PKS2_S2_S3_PS4_PS7_PS2_.uses_vcc, 1
	.set _ZN9rocsparseL35bsr2csr_block_per_row_33_256_kernelILj1024ELj128ELj32ElilEEv20rocsparse_direction_T4_S2_21rocsparse_index_base_PKT2_PKT3_PKS2_S2_S3_PS4_PS7_PS2_.uses_flat_scratch, 0
	.set _ZN9rocsparseL35bsr2csr_block_per_row_33_256_kernelILj1024ELj128ELj32ElilEEv20rocsparse_direction_T4_S2_21rocsparse_index_base_PKT2_PKT3_PKS2_S2_S3_PS4_PS7_PS2_.has_dyn_sized_stack, 0
	.set _ZN9rocsparseL35bsr2csr_block_per_row_33_256_kernelILj1024ELj128ELj32ElilEEv20rocsparse_direction_T4_S2_21rocsparse_index_base_PKT2_PKT3_PKS2_S2_S3_PS4_PS7_PS2_.has_recursion, 0
	.set _ZN9rocsparseL35bsr2csr_block_per_row_33_256_kernelILj1024ELj128ELj32ElilEEv20rocsparse_direction_T4_S2_21rocsparse_index_base_PKT2_PKT3_PKS2_S2_S3_PS4_PS7_PS2_.has_indirect_call, 0
	.section	.AMDGPU.csdata,"",@progbits
; Kernel info:
; codeLenInByte = 2956
; TotalNumSgprs: 47
; NumVgprs: 60
; ScratchSize: 0
; MemoryBound: 0
; FloatMode: 240
; IeeeMode: 1
; LDSByteSize: 0 bytes/workgroup (compile time only)
; SGPRBlocks: 0
; VGPRBlocks: 3
; NumSGPRsForWavesPerEU: 47
; NumVGPRsForWavesPerEU: 60
; NamedBarCnt: 0
; Occupancy: 16
; WaveLimiterHint : 1
; COMPUTE_PGM_RSRC2:SCRATCH_EN: 0
; COMPUTE_PGM_RSRC2:USER_SGPR: 2
; COMPUTE_PGM_RSRC2:TRAP_HANDLER: 0
; COMPUTE_PGM_RSRC2:TGID_X_EN: 1
; COMPUTE_PGM_RSRC2:TGID_Y_EN: 0
; COMPUTE_PGM_RSRC2:TGID_Z_EN: 0
; COMPUTE_PGM_RSRC2:TIDIG_COMP_CNT: 0
	.section	.text._ZN9rocsparseL35bsr2csr_block_per_row_33_256_kernelILj1024ELj256ELj32ElilEEv20rocsparse_direction_T4_S2_21rocsparse_index_base_PKT2_PKT3_PKS2_S2_S3_PS4_PS7_PS2_,"axG",@progbits,_ZN9rocsparseL35bsr2csr_block_per_row_33_256_kernelILj1024ELj256ELj32ElilEEv20rocsparse_direction_T4_S2_21rocsparse_index_base_PKT2_PKT3_PKS2_S2_S3_PS4_PS7_PS2_,comdat
	.globl	_ZN9rocsparseL35bsr2csr_block_per_row_33_256_kernelILj1024ELj256ELj32ElilEEv20rocsparse_direction_T4_S2_21rocsparse_index_base_PKT2_PKT3_PKS2_S2_S3_PS4_PS7_PS2_ ; -- Begin function _ZN9rocsparseL35bsr2csr_block_per_row_33_256_kernelILj1024ELj256ELj32ElilEEv20rocsparse_direction_T4_S2_21rocsparse_index_base_PKT2_PKT3_PKS2_S2_S3_PS4_PS7_PS2_
	.p2align	8
	.type	_ZN9rocsparseL35bsr2csr_block_per_row_33_256_kernelILj1024ELj256ELj32ElilEEv20rocsparse_direction_T4_S2_21rocsparse_index_base_PKT2_PKT3_PKS2_S2_S3_PS4_PS7_PS2_,@function
_ZN9rocsparseL35bsr2csr_block_per_row_33_256_kernelILj1024ELj256ELj32ElilEEv20rocsparse_direction_T4_S2_21rocsparse_index_base_PKT2_PKT3_PKS2_S2_S3_PS4_PS7_PS2_: ; @_ZN9rocsparseL35bsr2csr_block_per_row_33_256_kernelILj1024ELj256ELj32ElilEEv20rocsparse_direction_T4_S2_21rocsparse_index_base_PKT2_PKT3_PKS2_S2_S3_PS4_PS7_PS2_
; %bb.0:
	s_load_b64 s[6:7], s[0:1], 0x28
	s_bfe_u32 s2, ttmp6, 0x4000c
	s_and_b32 s3, ttmp6, 15
	s_add_co_i32 s2, s2, 1
	s_getreg_b32 s4, hwreg(HW_REG_IB_STS2, 6, 4)
	s_mul_i32 s2, ttmp9, s2
	s_mov_b32 s17, 0
	s_add_co_i32 s3, s3, s2
	s_cmp_eq_u32 s4, 0
	s_clause 0x1
	s_load_b32 s18, s[0:1], 0x40
	s_load_b64 s[4:5], s[0:1], 0x50
	s_cselect_b32 s2, ttmp9, s3
	s_mov_b32 s3, s17
	v_or_b32_e32 v1, s2, v0
	s_lshl_b64 s[8:9], s[2:3], 2
	s_wait_kmcnt 0x0
	s_add_nc_u64 s[6:7], s[6:7], s[8:9]
	s_load_b64 s[10:11], s[6:7], 0x0
	s_wait_xcnt 0x0
	s_mov_b32 s6, exec_lo
	v_cmpx_eq_u32_e32 0, v1
	s_cbranch_execz .LBB90_2
; %bb.1:
	v_dual_mov_b32 v1, 0 :: v_dual_mov_b32 v2, s18
	global_store_b32 v1, v2, s[4:5]
.LBB90_2:
	s_wait_xcnt 0x0
	s_or_b32 exec_lo, exec_lo, s6
	s_clause 0x1
	s_load_b32 s20, s[0:1], 0x18
	s_load_b64 s[22:23], s[0:1], 0x38
	v_dual_mov_b32 v51, 0 :: v_dual_lshrrev_b32 v50, 5, v0
	s_mov_b32 s35, s17
	s_wait_kmcnt 0x0
	s_sub_co_i32 s16, s10, s20
	s_sub_co_i32 s33, s11, s20
	s_mul_u64 s[6:7], s[22:23], s[2:3]
	v_cmp_gt_i64_e64 s2, s[22:23], v[50:51]
	s_sub_co_i32 s34, s33, s16
	s_mul_u64 s[30:31], s[22:23], s[22:23]
	s_mul_u64 s[14:15], s[22:23], s[34:35]
	s_lshl_b64 s[6:7], s[6:7], 2
	s_mul_u64 s[12:13], s[30:31], s[16:17]
	s_add_co_i32 s13, s18, s14
	s_add_nc_u64 s[24:25], s[4:5], s[6:7]
	s_and_saveexec_b32 s3, s2
	s_cbranch_execz .LBB90_4
; %bb.3:
	s_add_co_i32 s4, s13, s12
	s_delay_alu instid0(SALU_CYCLE_1)
	v_mad_u32 v1, v50, s14, s4
	global_store_b32 v50, v1, s[24:25] offset:4 scale_offset
.LBB90_4:
	s_wait_xcnt 0x0
	s_or_b32 exec_lo, exec_lo, s3
	v_dual_mov_b32 v53, v51 :: v_dual_bitop2_b32 v52, 32, v50 bitop3:0x54
	s_delay_alu instid0(VALU_DEP_1)
	v_cmp_gt_i64_e64 s3, s[22:23], v[52:53]
	s_and_saveexec_b32 s4, s3
	s_cbranch_execz .LBB90_6
; %bb.5:
	s_add_co_i32 s5, s13, s12
	s_delay_alu instid0(SALU_CYCLE_1)
	v_mad_u32 v1, v52, s14, s5
	global_store_b32 v50, v1, s[24:25] offset:132 scale_offset
.LBB90_6:
	s_wait_xcnt 0x0
	s_or_b32 exec_lo, exec_lo, s4
	v_dual_mov_b32 v49, v51 :: v_dual_bitop2_b32 v48, 64, v50 bitop3:0x54
	s_delay_alu instid0(VALU_DEP_1)
	v_cmp_gt_i64_e64 s4, s[22:23], v[48:49]
	s_and_saveexec_b32 s5, s4
	s_cbranch_execz .LBB90_8
; %bb.7:
	s_add_co_i32 s6, s13, s12
	s_delay_alu instid0(SALU_CYCLE_1)
	v_mad_u32 v1, v48, s14, s6
	global_store_b32 v50, v1, s[24:25] offset:260 scale_offset
.LBB90_8:
	s_wait_xcnt 0x0
	s_or_b32 exec_lo, exec_lo, s5
	v_or_b32_e32 v54, 0x60, v50
	v_mov_b32_e32 v55, v51
	s_delay_alu instid0(VALU_DEP_1)
	v_cmp_gt_i64_e64 s5, s[22:23], v[54:55]
	s_and_saveexec_b32 s6, s5
	s_cbranch_execz .LBB90_10
; %bb.9:
	s_add_co_i32 s7, s13, s12
	s_delay_alu instid0(SALU_CYCLE_1)
	v_mad_u32 v1, v54, s14, s7
	global_store_b32 v50, v1, s[24:25] offset:388 scale_offset
.LBB90_10:
	s_wait_xcnt 0x0
	s_or_b32 exec_lo, exec_lo, s6
	v_or_b32_e32 v46, 0x80, v50
	v_mov_b32_e32 v47, v51
	;; [unrolled: 14-line block ×5, first 2 shown]
	s_delay_alu instid0(VALU_DEP_1)
	v_cmp_gt_i64_e64 s9, s[22:23], v[58:59]
	s_and_saveexec_b32 s15, s9
	s_cbranch_execz .LBB90_18
; %bb.17:
	s_add_co_i32 s13, s13, s12
	s_delay_alu instid0(SALU_CYCLE_1)
	v_mad_u32 v1, v58, s14, s13
	global_store_b32 v50, v1, s[24:25] offset:900 scale_offset
.LBB90_18:
	s_wait_xcnt 0x0
	s_or_b32 exec_lo, exec_lo, s15
	s_cmp_lt_i32 s10, s11
	s_cbranch_scc0 .LBB90_149
; %bb.19:
	s_clause 0x2
	s_load_b32 s10, s[0:1], 0x0
	s_load_b64 s[36:37], s[0:1], 0x30
	s_load_b64 s[28:29], s[0:1], 0x58
	v_dual_mov_b32 v1, 0 :: v_dual_lshlrev_b32 v32, 3, v50
	v_and_b32_e32 v0, 31, v0
	s_mul_i32 s94, s22, s16
	s_clause 0x1
	s_load_b64 s[24:25], s[0:1], 0x48
	s_load_b64 s[26:27], s[0:1], 0x20
	v_dual_mov_b32 v33, v1 :: v_dual_mov_b32 v19, v1
	v_lshlrev_b32_e32 v18, 3, v0
	v_mad_u32 v51, v58, s34, s94
	v_mad_u32 v53, v44, s34, s94
	;; [unrolled: 1-line block ×5, first 2 shown]
	v_or_b32_e32 v44, 0xc0, v0
	v_or_b32_e32 v46, 0xe0, v0
	v_mov_b32_e32 v47, v1
	s_wait_xcnt 0x0
	v_cmp_gt_i64_e64 s0, s[22:23], v[0:1]
	s_wait_kmcnt 0x0
	s_cmp_eq_u32 s10, 0
	v_mov_b32_e32 v49, v0
	s_cselect_b32 vcc_lo, -1, 0
	s_ashr_i32 s17, s16, 31
	v_mul_lo_u32 v51, s22, v51
	s_mul_u64 s[10:11], s[22:23], s[16:17]
	v_mul_lo_u32 v53, s22, v53
	s_lshl_b64 s[10:11], s[10:11], 3
	v_mul_lo_u32 v55, s22, v55
	v_add_nc_u64_e32 v[30:31], s[10:11], v[32:33]
	v_add_nc_u64_e32 v[34:35], s[10:11], v[18:19]
	v_mul_lo_u32 v57, s22, v56
	v_mul_lo_u32 v59, s22, v58
	v_dual_mov_b32 v56, v1 :: v_dual_mov_b32 v58, v1
	s_mov_b32 s21, 0
	v_mad_nc_u64_u32 v[2:3], s22, v30, v[18:19]
	v_add_nc_u64_e32 v[36:37], 0x700, v[30:31]
	v_add_nc_u64_e32 v[38:39], 0x600, v[30:31]
	v_add_nc_u64_e32 v[40:41], 0x500, v[30:31]
	v_add_nc_u64_e32 v[42:43], 0x400, v[30:31]
	v_add_nc_u64_e32 v[60:61], 0x300, v[30:31]
	v_add_nc_u64_e32 v[62:63], 0x200, v[30:31]
	v_add_nc_u64_e32 v[64:65], 0x100, v[30:31]
	v_add_nc_u64_e32 v[66:67], 0x100, v[34:35]
	v_add_nc_u64_e32 v[68:69], 0x200, v[34:35]
	v_add_nc_u64_e32 v[70:71], 0x300, v[34:35]
	v_mad_u32 v3, s23, v30, v3
	v_add_nc_u64_e32 v[72:73], 0x400, v[34:35]
	v_add_nc_u64_e32 v[74:75], 0x500, v[34:35]
	;; [unrolled: 1-line block ×4, first 2 shown]
	v_mad_nc_u64_u32 v[4:5], s22, v34, v[32:33]
	v_mad_nc_u64_u32 v[6:7], s22, v36, v[18:19]
	;; [unrolled: 1-line block ×13, first 2 shown]
	v_mad_u32 v3, s22, v31, v3
	v_mad_nc_u64_u32 v[30:31], s22, v76, v[32:33]
	v_mad_nc_u64_u32 v[32:33], s22, v78, v[32:33]
	v_mad_u32 v5, s23, v34, v5
	v_mad_u32 v7, s23, v36, v7
	;; [unrolled: 1-line block ×23, first 2 shown]
	v_dual_mov_b32 v35, v1 :: v_dual_bitop2_b32 v34, 32, v0 bitop3:0x54
	v_dual_mov_b32 v37, v1 :: v_dual_bitop2_b32 v36, 64, v0 bitop3:0x54
	v_or_b32_e32 v38, 0x60, v0
	v_dual_mov_b32 v39, v1 :: v_dual_mov_b32 v41, v1
	v_or_b32_e32 v40, 0x80, v0
	v_or_b32_e32 v42, 0xa0, v0
	v_dual_mov_b32 v43, v1 :: v_dual_mov_b32 v45, v1
	v_mad_u32 v15, s22, v61, v15
	v_mad_u32 v17, s22, v63, v17
	;; [unrolled: 1-line block ×8, first 2 shown]
	v_cmp_gt_i64_e64 s1, s[22:23], v[34:35]
	v_cmp_gt_i64_e64 s10, s[22:23], v[36:37]
	v_mad_u32 v31, s22, v77, v31
	v_mad_u32 v33, s22, v79, v33
	v_cmp_gt_i64_e64 s11, s[22:23], v[38:39]
	v_cmp_gt_i64_e64 s12, s[22:23], v[40:41]
	;; [unrolled: 1-line block ×4, first 2 shown]
	v_mov_b32_e32 v48, v1
	v_cmp_gt_i64_e64 s15, s[22:23], v[46:47]
	v_mul_lo_u32 v61, s22, v60
	v_mul_lo_u32 v63, s22, v62
	;; [unrolled: 1-line block ×3, first 2 shown]
	v_dual_mov_b32 v50, v1 :: v_dual_mov_b32 v52, v1
	v_dual_mov_b32 v54, v1 :: v_dual_mov_b32 v60, v1
	;; [unrolled: 1-line block ×3, first 2 shown]
	s_and_b32 s35, s2, s0
	s_and_b32 s38, s2, s1
	;; [unrolled: 1-line block ×16, first 2 shown]
	s_lshl_b64 s[2:3], s[16:17], 3
	s_mov_b32 s19, s21
	s_and_b32 s53, s4, s0
	s_and_b32 s54, s4, s1
	;; [unrolled: 1-line block ×48, first 2 shown]
	s_mov_b32 s0, s21
	s_mov_b32 s1, s22
	s_add_nc_u64 s[2:3], s[36:37], s[2:3]
	s_lshl_b64 s[4:5], s[30:31], 3
	s_branch .LBB90_21
.LBB90_20:                              ;   in Loop: Header=BB90_21 Depth=1
	s_wait_xcnt 0x0
	s_or_b32 exec_lo, exec_lo, s6
	v_add_nc_u64_e32 v[50:51], s[0:1], v[50:51]
	v_add_nc_u64_e32 v[52:53], s[0:1], v[52:53]
	;; [unrolled: 1-line block ×8, first 2 shown]
	s_add_co_i32 s16, s16, 1
	s_add_nc_u64 s[2:3], s[2:3], 8
	s_cmp_ge_i32 s16, s33
	s_add_nc_u64 s[26:27], s[26:27], s[4:5]
	s_cbranch_scc1 .LBB90_149
.LBB90_21:                              ; =>This Inner Loop Header: Depth=1
	s_load_b64 s[6:7], s[2:3], 0x0
	v_add_nc_u64_e32 v[98:99], v[48:49], v[64:65]
	v_add_nc_u64_e32 v[100:101], s[26:27], v[2:3]
	;; [unrolled: 1-line block ×3, first 2 shown]
	s_wait_kmcnt 0x0
	s_sub_nc_u64 s[6:7], s[6:7], s[20:21]
	s_delay_alu instid0(SALU_CYCLE_1) | instskip(NEXT) | instid1(SALU_CYCLE_1)
	s_mul_u64 s[6:7], s[6:7], s[22:23]
	s_add_nc_u64 s[6:7], s[6:7], s[18:19]
	s_delay_alu instid0(SALU_CYCLE_1)
	v_add_nc_u64_e32 v[76:77], s[6:7], v[0:1]
	s_and_saveexec_b32 s15, s35
	s_cbranch_execz .LBB90_23
; %bb.22:                               ;   in Loop: Header=BB90_21 Depth=1
	v_dual_cndmask_b32 v67, v91, v101 :: v_dual_cndmask_b32 v66, v90, v100
	v_ashrrev_i64 v[68:69], 29, v[98:99]
	global_load_b64 v[66:67], v[66:67], off
	v_add_nc_u64_e32 v[70:71], s[28:29], v[68:69]
	v_add_nc_u64_e32 v[68:69], s[24:25], v[68:69]
	global_store_b64 v[70:71], v[76:77], off
	s_wait_loadcnt 0x0
	global_store_b64 v[68:69], v[66:67], off
.LBB90_23:                              ;   in Loop: Header=BB90_21 Depth=1
	s_wait_xcnt 0x0
	s_or_b32 exec_lo, exec_lo, s15
	v_add_nc_u64_e32 v[66:67], s[6:7], v[34:35]
	v_add_nc_u64_e32 v[82:83], s[26:27], v[20:21]
	s_and_saveexec_b32 s15, s38
	s_cbranch_execz .LBB90_25
; %bb.24:                               ;   in Loop: Header=BB90_21 Depth=1
	v_add_nc_u64_e32 v[68:69], 0x100, v[100:101]
	v_dual_mov_b32 v70, v98 :: v_dual_add_nc_u32 v71, 32, v99
	s_delay_alu instid0(VALU_DEP_1) | instskip(NEXT) | instid1(VALU_DEP_3)
	v_ashrrev_i64 v[70:71], 29, v[70:71]
	v_dual_cndmask_b32 v69, v83, v69 :: v_dual_cndmask_b32 v68, v82, v68
	global_load_b64 v[68:69], v[68:69], off
	v_add_nc_u64_e32 v[72:73], s[28:29], v[70:71]
	v_add_nc_u64_e32 v[70:71], s[24:25], v[70:71]
	global_store_b64 v[72:73], v[66:67], off
	s_wait_loadcnt 0x0
	global_store_b64 v[70:71], v[68:69], off
.LBB90_25:                              ;   in Loop: Header=BB90_21 Depth=1
	s_wait_xcnt 0x0
	s_or_b32 exec_lo, exec_lo, s15
	v_add_nc_u64_e32 v[68:69], s[6:7], v[36:37]
	v_add_nc_u64_e32 v[84:85], s[26:27], v[22:23]
	s_and_saveexec_b32 s15, s39
	s_cbranch_execz .LBB90_27
; %bb.26:                               ;   in Loop: Header=BB90_21 Depth=1
	v_add_nc_u64_e32 v[70:71], 0x200, v[100:101]
	v_dual_mov_b32 v72, v98 :: v_dual_add_nc_u32 v73, 64, v99
	s_delay_alu instid0(VALU_DEP_1) | instskip(NEXT) | instid1(VALU_DEP_3)
	v_ashrrev_i64 v[72:73], 29, v[72:73]
	v_dual_cndmask_b32 v71, v85, v71 :: v_dual_cndmask_b32 v70, v84, v70
	global_load_b64 v[70:71], v[70:71], off
	v_add_nc_u64_e32 v[74:75], s[28:29], v[72:73]
	v_add_nc_u64_e32 v[72:73], s[24:25], v[72:73]
	global_store_b64 v[74:75], v[68:69], off
	s_wait_loadcnt 0x0
	global_store_b64 v[72:73], v[70:71], off
.LBB90_27:                              ;   in Loop: Header=BB90_21 Depth=1
	;; [unrolled: 19-line block ×6, first 2 shown]
	s_wait_xcnt 0x0
	s_or_b32 exec_lo, exec_lo, s15
	v_add_nc_u64_e32 v[80:81], s[6:7], v[46:47]
	v_add_nc_u64_e32 v[96:97], s[26:27], v[32:33]
	s_and_saveexec_b32 s6, s44
	s_cbranch_execz .LBB90_37
; %bb.36:                               ;   in Loop: Header=BB90_21 Depth=1
	v_add_nc_u64_e32 v[100:101], 0x700, v[100:101]
	v_add_nc_u32_e32 v99, 0xe0, v99
	s_delay_alu instid0(VALU_DEP_1) | instskip(NEXT) | instid1(VALU_DEP_3)
	v_ashrrev_i64 v[98:99], 29, v[98:99]
	v_dual_cndmask_b32 v101, v97, v101 :: v_dual_cndmask_b32 v100, v96, v100
	global_load_b64 v[100:101], v[100:101], off
	v_add_nc_u64_e32 v[102:103], s[28:29], v[98:99]
	v_add_nc_u64_e32 v[98:99], s[24:25], v[98:99]
	global_store_b64 v[102:103], v[80:81], off
	s_wait_loadcnt 0x0
	global_store_b64 v[98:99], v[100:101], off
.LBB90_37:                              ;   in Loop: Header=BB90_21 Depth=1
	s_wait_xcnt 0x0
	s_or_b32 exec_lo, exec_lo, s6
	v_add_nc_u64_e32 v[98:99], v[48:49], v[62:63]
	v_add_nc_u64_e32 v[100:101], s[26:27], v[18:19]
	s_and_saveexec_b32 s6, s45
	s_cbranch_execnz .LBB90_99
; %bb.38:                               ;   in Loop: Header=BB90_21 Depth=1
	s_or_b32 exec_lo, exec_lo, s6
	s_and_saveexec_b32 s6, s46
	s_cbranch_execnz .LBB90_100
.LBB90_39:                              ;   in Loop: Header=BB90_21 Depth=1
	s_or_b32 exec_lo, exec_lo, s6
	s_and_saveexec_b32 s6, s47
	s_cbranch_execnz .LBB90_101
.LBB90_40:                              ;   in Loop: Header=BB90_21 Depth=1
	s_or_b32 exec_lo, exec_lo, s6
	s_and_saveexec_b32 s6, s48
	s_cbranch_execnz .LBB90_102
.LBB90_41:                              ;   in Loop: Header=BB90_21 Depth=1
	s_or_b32 exec_lo, exec_lo, s6
	s_and_saveexec_b32 s6, s49
	s_cbranch_execnz .LBB90_103
.LBB90_42:                              ;   in Loop: Header=BB90_21 Depth=1
	s_or_b32 exec_lo, exec_lo, s6
	s_and_saveexec_b32 s6, s50
	s_cbranch_execnz .LBB90_104
.LBB90_43:                              ;   in Loop: Header=BB90_21 Depth=1
	s_or_b32 exec_lo, exec_lo, s6
	s_and_saveexec_b32 s6, s51
	s_cbranch_execnz .LBB90_105
.LBB90_44:                              ;   in Loop: Header=BB90_21 Depth=1
	s_or_b32 exec_lo, exec_lo, s6
	s_and_saveexec_b32 s6, s52
	s_cbranch_execz .LBB90_46
.LBB90_45:                              ;   in Loop: Header=BB90_21 Depth=1
	v_add_nc_u64_e32 v[100:101], 0x700, v[100:101]
	v_add_nc_u64_e32 v[102:103], 0x100, v[96:97]
	v_add_nc_u32_e32 v99, 0xe0, v99
	s_delay_alu instid0(VALU_DEP_1) | instskip(NEXT) | instid1(VALU_DEP_3)
	v_ashrrev_i64 v[98:99], 29, v[98:99]
	v_dual_cndmask_b32 v101, v103, v101 :: v_dual_cndmask_b32 v100, v102, v100
	global_load_b64 v[100:101], v[100:101], off
	v_add_nc_u64_e32 v[102:103], s[28:29], v[98:99]
	v_add_nc_u64_e32 v[98:99], s[24:25], v[98:99]
	global_store_b64 v[102:103], v[80:81], off
	s_wait_loadcnt 0x0
	global_store_b64 v[98:99], v[100:101], off
.LBB90_46:                              ;   in Loop: Header=BB90_21 Depth=1
	s_wait_xcnt 0x0
	s_or_b32 exec_lo, exec_lo, s6
	v_add_nc_u64_e32 v[98:99], v[48:49], v[60:61]
	v_add_nc_u64_e32 v[100:101], s[26:27], v[16:17]
	s_and_saveexec_b32 s6, s53
	s_cbranch_execnz .LBB90_106
; %bb.47:                               ;   in Loop: Header=BB90_21 Depth=1
	s_or_b32 exec_lo, exec_lo, s6
	s_and_saveexec_b32 s6, s54
	s_cbranch_execnz .LBB90_107
.LBB90_48:                              ;   in Loop: Header=BB90_21 Depth=1
	s_or_b32 exec_lo, exec_lo, s6
	s_and_saveexec_b32 s6, s55
	s_cbranch_execnz .LBB90_108
.LBB90_49:                              ;   in Loop: Header=BB90_21 Depth=1
	s_or_b32 exec_lo, exec_lo, s6
	s_and_saveexec_b32 s6, s56
	s_cbranch_execnz .LBB90_109
.LBB90_50:                              ;   in Loop: Header=BB90_21 Depth=1
	s_or_b32 exec_lo, exec_lo, s6
	s_and_saveexec_b32 s6, s57
	s_cbranch_execnz .LBB90_110
.LBB90_51:                              ;   in Loop: Header=BB90_21 Depth=1
	s_or_b32 exec_lo, exec_lo, s6
	s_and_saveexec_b32 s6, s58
	s_cbranch_execnz .LBB90_111
.LBB90_52:                              ;   in Loop: Header=BB90_21 Depth=1
	s_or_b32 exec_lo, exec_lo, s6
	s_and_saveexec_b32 s6, s59
	s_cbranch_execnz .LBB90_112
.LBB90_53:                              ;   in Loop: Header=BB90_21 Depth=1
	s_or_b32 exec_lo, exec_lo, s6
	s_and_saveexec_b32 s6, s60
	s_cbranch_execz .LBB90_55
.LBB90_54:                              ;   in Loop: Header=BB90_21 Depth=1
	v_add_nc_u64_e32 v[100:101], 0x700, v[100:101]
	v_add_nc_u64_e32 v[102:103], 0x200, v[96:97]
	v_add_nc_u32_e32 v99, 0xe0, v99
	s_delay_alu instid0(VALU_DEP_1) | instskip(NEXT) | instid1(VALU_DEP_3)
	v_ashrrev_i64 v[98:99], 29, v[98:99]
	v_dual_cndmask_b32 v101, v103, v101 :: v_dual_cndmask_b32 v100, v102, v100
	global_load_b64 v[100:101], v[100:101], off
	v_add_nc_u64_e32 v[102:103], s[28:29], v[98:99]
	v_add_nc_u64_e32 v[98:99], s[24:25], v[98:99]
	global_store_b64 v[102:103], v[80:81], off
	s_wait_loadcnt 0x0
	global_store_b64 v[98:99], v[100:101], off
.LBB90_55:                              ;   in Loop: Header=BB90_21 Depth=1
	s_wait_xcnt 0x0
	s_or_b32 exec_lo, exec_lo, s6
	v_add_nc_u64_e32 v[98:99], v[48:49], v[58:59]
	v_add_nc_u64_e32 v[100:101], s[26:27], v[14:15]
	s_and_saveexec_b32 s6, s61
	s_cbranch_execnz .LBB90_113
; %bb.56:                               ;   in Loop: Header=BB90_21 Depth=1
	s_or_b32 exec_lo, exec_lo, s6
	s_and_saveexec_b32 s6, s62
	s_cbranch_execnz .LBB90_114
.LBB90_57:                              ;   in Loop: Header=BB90_21 Depth=1
	s_or_b32 exec_lo, exec_lo, s6
	s_and_saveexec_b32 s6, s63
	s_cbranch_execnz .LBB90_115
.LBB90_58:                              ;   in Loop: Header=BB90_21 Depth=1
	s_or_b32 exec_lo, exec_lo, s6
	s_and_saveexec_b32 s6, s64
	s_cbranch_execnz .LBB90_116
.LBB90_59:                              ;   in Loop: Header=BB90_21 Depth=1
	s_or_b32 exec_lo, exec_lo, s6
	s_and_saveexec_b32 s6, s65
	s_cbranch_execnz .LBB90_117
.LBB90_60:                              ;   in Loop: Header=BB90_21 Depth=1
	s_or_b32 exec_lo, exec_lo, s6
	s_and_saveexec_b32 s6, s66
	s_cbranch_execnz .LBB90_118
.LBB90_61:                              ;   in Loop: Header=BB90_21 Depth=1
	s_or_b32 exec_lo, exec_lo, s6
	s_and_saveexec_b32 s6, s67
	s_cbranch_execnz .LBB90_119
.LBB90_62:                              ;   in Loop: Header=BB90_21 Depth=1
	s_or_b32 exec_lo, exec_lo, s6
	s_and_saveexec_b32 s6, s68
	s_cbranch_execz .LBB90_64
.LBB90_63:                              ;   in Loop: Header=BB90_21 Depth=1
	v_add_nc_u64_e32 v[100:101], 0x700, v[100:101]
	v_add_nc_u64_e32 v[102:103], 0x300, v[96:97]
	v_add_nc_u32_e32 v99, 0xe0, v99
	s_delay_alu instid0(VALU_DEP_1) | instskip(NEXT) | instid1(VALU_DEP_3)
	v_ashrrev_i64 v[98:99], 29, v[98:99]
	v_dual_cndmask_b32 v101, v103, v101 :: v_dual_cndmask_b32 v100, v102, v100
	global_load_b64 v[100:101], v[100:101], off
	v_add_nc_u64_e32 v[102:103], s[28:29], v[98:99]
	v_add_nc_u64_e32 v[98:99], s[24:25], v[98:99]
	global_store_b64 v[102:103], v[80:81], off
	s_wait_loadcnt 0x0
	global_store_b64 v[98:99], v[100:101], off
.LBB90_64:                              ;   in Loop: Header=BB90_21 Depth=1
	s_wait_xcnt 0x0
	s_or_b32 exec_lo, exec_lo, s6
	v_add_nc_u64_e32 v[98:99], v[48:49], v[56:57]
	v_add_nc_u64_e32 v[100:101], s[26:27], v[12:13]
	s_and_saveexec_b32 s6, s69
	s_cbranch_execnz .LBB90_120
; %bb.65:                               ;   in Loop: Header=BB90_21 Depth=1
	s_or_b32 exec_lo, exec_lo, s6
	s_and_saveexec_b32 s6, s70
	s_cbranch_execnz .LBB90_121
.LBB90_66:                              ;   in Loop: Header=BB90_21 Depth=1
	s_or_b32 exec_lo, exec_lo, s6
	s_and_saveexec_b32 s6, s71
	s_cbranch_execnz .LBB90_122
.LBB90_67:                              ;   in Loop: Header=BB90_21 Depth=1
	s_or_b32 exec_lo, exec_lo, s6
	s_and_saveexec_b32 s6, s72
	s_cbranch_execnz .LBB90_123
.LBB90_68:                              ;   in Loop: Header=BB90_21 Depth=1
	s_or_b32 exec_lo, exec_lo, s6
	s_and_saveexec_b32 s6, s73
	s_cbranch_execnz .LBB90_124
.LBB90_69:                              ;   in Loop: Header=BB90_21 Depth=1
	s_or_b32 exec_lo, exec_lo, s6
	s_and_saveexec_b32 s6, s74
	s_cbranch_execnz .LBB90_125
.LBB90_70:                              ;   in Loop: Header=BB90_21 Depth=1
	s_or_b32 exec_lo, exec_lo, s6
	s_and_saveexec_b32 s6, s75
	s_cbranch_execnz .LBB90_126
.LBB90_71:                              ;   in Loop: Header=BB90_21 Depth=1
	s_or_b32 exec_lo, exec_lo, s6
	s_and_saveexec_b32 s6, s76
	s_cbranch_execz .LBB90_73
.LBB90_72:                              ;   in Loop: Header=BB90_21 Depth=1
	v_add_nc_u64_e32 v[100:101], 0x700, v[100:101]
	v_add_nc_u64_e32 v[102:103], 0x400, v[96:97]
	v_add_nc_u32_e32 v99, 0xe0, v99
	s_delay_alu instid0(VALU_DEP_1) | instskip(NEXT) | instid1(VALU_DEP_3)
	v_ashrrev_i64 v[98:99], 29, v[98:99]
	v_dual_cndmask_b32 v101, v103, v101 :: v_dual_cndmask_b32 v100, v102, v100
	global_load_b64 v[100:101], v[100:101], off
	v_add_nc_u64_e32 v[102:103], s[28:29], v[98:99]
	v_add_nc_u64_e32 v[98:99], s[24:25], v[98:99]
	global_store_b64 v[102:103], v[80:81], off
	s_wait_loadcnt 0x0
	global_store_b64 v[98:99], v[100:101], off
.LBB90_73:                              ;   in Loop: Header=BB90_21 Depth=1
	s_wait_xcnt 0x0
	s_or_b32 exec_lo, exec_lo, s6
	v_add_nc_u64_e32 v[98:99], v[48:49], v[54:55]
	v_add_nc_u64_e32 v[100:101], s[26:27], v[10:11]
	s_and_saveexec_b32 s6, s77
	s_cbranch_execnz .LBB90_127
; %bb.74:                               ;   in Loop: Header=BB90_21 Depth=1
	s_or_b32 exec_lo, exec_lo, s6
	s_and_saveexec_b32 s6, s78
	s_cbranch_execnz .LBB90_128
.LBB90_75:                              ;   in Loop: Header=BB90_21 Depth=1
	s_or_b32 exec_lo, exec_lo, s6
	s_and_saveexec_b32 s6, s79
	s_cbranch_execnz .LBB90_129
.LBB90_76:                              ;   in Loop: Header=BB90_21 Depth=1
	s_or_b32 exec_lo, exec_lo, s6
	s_and_saveexec_b32 s6, s80
	s_cbranch_execnz .LBB90_130
.LBB90_77:                              ;   in Loop: Header=BB90_21 Depth=1
	s_or_b32 exec_lo, exec_lo, s6
	s_and_saveexec_b32 s6, s81
	s_cbranch_execnz .LBB90_131
.LBB90_78:                              ;   in Loop: Header=BB90_21 Depth=1
	s_or_b32 exec_lo, exec_lo, s6
	s_and_saveexec_b32 s6, s82
	s_cbranch_execnz .LBB90_132
.LBB90_79:                              ;   in Loop: Header=BB90_21 Depth=1
	s_or_b32 exec_lo, exec_lo, s6
	s_and_saveexec_b32 s6, s83
	s_cbranch_execnz .LBB90_133
.LBB90_80:                              ;   in Loop: Header=BB90_21 Depth=1
	s_or_b32 exec_lo, exec_lo, s6
	s_and_saveexec_b32 s6, s84
	s_cbranch_execz .LBB90_82
.LBB90_81:                              ;   in Loop: Header=BB90_21 Depth=1
	v_add_nc_u64_e32 v[100:101], 0x700, v[100:101]
	v_add_nc_u64_e32 v[102:103], 0x500, v[96:97]
	v_add_nc_u32_e32 v99, 0xe0, v99
	s_delay_alu instid0(VALU_DEP_1) | instskip(NEXT) | instid1(VALU_DEP_3)
	v_ashrrev_i64 v[98:99], 29, v[98:99]
	v_dual_cndmask_b32 v101, v103, v101 :: v_dual_cndmask_b32 v100, v102, v100
	global_load_b64 v[100:101], v[100:101], off
	v_add_nc_u64_e32 v[102:103], s[28:29], v[98:99]
	v_add_nc_u64_e32 v[98:99], s[24:25], v[98:99]
	global_store_b64 v[102:103], v[80:81], off
	s_wait_loadcnt 0x0
	global_store_b64 v[98:99], v[100:101], off
.LBB90_82:                              ;   in Loop: Header=BB90_21 Depth=1
	s_wait_xcnt 0x0
	s_or_b32 exec_lo, exec_lo, s6
	v_add_nc_u64_e32 v[98:99], v[48:49], v[52:53]
	v_add_nc_u64_e32 v[100:101], s[26:27], v[8:9]
	s_and_saveexec_b32 s6, s85
	s_cbranch_execnz .LBB90_134
; %bb.83:                               ;   in Loop: Header=BB90_21 Depth=1
	s_or_b32 exec_lo, exec_lo, s6
	s_and_saveexec_b32 s6, s86
	s_cbranch_execnz .LBB90_135
.LBB90_84:                              ;   in Loop: Header=BB90_21 Depth=1
	s_or_b32 exec_lo, exec_lo, s6
	s_and_saveexec_b32 s6, s87
	s_cbranch_execnz .LBB90_136
.LBB90_85:                              ;   in Loop: Header=BB90_21 Depth=1
	s_or_b32 exec_lo, exec_lo, s6
	s_and_saveexec_b32 s6, s88
	s_cbranch_execnz .LBB90_137
.LBB90_86:                              ;   in Loop: Header=BB90_21 Depth=1
	s_or_b32 exec_lo, exec_lo, s6
	s_and_saveexec_b32 s6, s89
	s_cbranch_execnz .LBB90_138
.LBB90_87:                              ;   in Loop: Header=BB90_21 Depth=1
	s_or_b32 exec_lo, exec_lo, s6
	s_and_saveexec_b32 s6, s90
	s_cbranch_execnz .LBB90_139
.LBB90_88:                              ;   in Loop: Header=BB90_21 Depth=1
	s_or_b32 exec_lo, exec_lo, s6
	s_and_saveexec_b32 s6, s91
	s_cbranch_execnz .LBB90_140
.LBB90_89:                              ;   in Loop: Header=BB90_21 Depth=1
	s_or_b32 exec_lo, exec_lo, s6
	s_and_saveexec_b32 s6, s8
	s_cbranch_execz .LBB90_91
.LBB90_90:                              ;   in Loop: Header=BB90_21 Depth=1
	v_add_nc_u64_e32 v[100:101], 0x700, v[100:101]
	v_add_nc_u64_e32 v[102:103], 0x600, v[96:97]
	v_add_nc_u32_e32 v99, 0xe0, v99
	s_delay_alu instid0(VALU_DEP_1) | instskip(NEXT) | instid1(VALU_DEP_3)
	v_ashrrev_i64 v[98:99], 29, v[98:99]
	v_dual_cndmask_b32 v101, v103, v101 :: v_dual_cndmask_b32 v100, v102, v100
	global_load_b64 v[100:101], v[100:101], off
	v_add_nc_u64_e32 v[102:103], s[28:29], v[98:99]
	v_add_nc_u64_e32 v[98:99], s[24:25], v[98:99]
	global_store_b64 v[102:103], v[80:81], off
	s_wait_loadcnt 0x0
	global_store_b64 v[98:99], v[100:101], off
.LBB90_91:                              ;   in Loop: Header=BB90_21 Depth=1
	s_wait_xcnt 0x0
	s_or_b32 exec_lo, exec_lo, s6
	v_add_nc_u64_e32 v[98:99], v[48:49], v[50:51]
	v_add_nc_u64_e32 v[100:101], s[26:27], v[6:7]
	s_and_saveexec_b32 s6, s92
	s_cbranch_execnz .LBB90_141
; %bb.92:                               ;   in Loop: Header=BB90_21 Depth=1
	s_or_b32 exec_lo, exec_lo, s6
	s_and_saveexec_b32 s6, s93
	s_cbranch_execnz .LBB90_142
.LBB90_93:                              ;   in Loop: Header=BB90_21 Depth=1
	s_or_b32 exec_lo, exec_lo, s6
	s_and_saveexec_b32 s6, s10
	s_cbranch_execnz .LBB90_143
.LBB90_94:                              ;   in Loop: Header=BB90_21 Depth=1
	s_or_b32 exec_lo, exec_lo, s6
	s_and_saveexec_b32 s6, s11
	s_cbranch_execnz .LBB90_144
.LBB90_95:                              ;   in Loop: Header=BB90_21 Depth=1
	s_or_b32 exec_lo, exec_lo, s6
	s_and_saveexec_b32 s6, s12
	s_cbranch_execnz .LBB90_145
.LBB90_96:                              ;   in Loop: Header=BB90_21 Depth=1
	s_or_b32 exec_lo, exec_lo, s6
	s_and_saveexec_b32 s6, s13
	s_cbranch_execnz .LBB90_146
.LBB90_97:                              ;   in Loop: Header=BB90_21 Depth=1
	s_or_b32 exec_lo, exec_lo, s6
	s_and_saveexec_b32 s6, s14
	s_cbranch_execnz .LBB90_147
.LBB90_98:                              ;   in Loop: Header=BB90_21 Depth=1
	s_or_b32 exec_lo, exec_lo, s6
	s_and_saveexec_b32 s6, s9
	s_cbranch_execz .LBB90_20
	s_branch .LBB90_148
.LBB90_99:                              ;   in Loop: Header=BB90_21 Depth=1
	v_add_nc_u64_e32 v[102:103], 0x100, v[90:91]
	s_delay_alu instid0(VALU_DEP_3) | instskip(NEXT) | instid1(VALU_DEP_2)
	v_ashrrev_i64 v[104:105], 29, v[98:99]
	v_dual_cndmask_b32 v103, v103, v101 :: v_dual_cndmask_b32 v102, v102, v100
	s_delay_alu instid0(VALU_DEP_2)
	v_add_nc_u64_e32 v[106:107], s[28:29], v[104:105]
	v_add_nc_u64_e32 v[104:105], s[24:25], v[104:105]
	global_load_b64 v[102:103], v[102:103], off
	global_store_b64 v[106:107], v[76:77], off
	s_wait_loadcnt 0x0
	global_store_b64 v[104:105], v[102:103], off
	s_wait_xcnt 0x0
	s_or_b32 exec_lo, exec_lo, s6
	s_and_saveexec_b32 s6, s46
	s_cbranch_execz .LBB90_39
.LBB90_100:                             ;   in Loop: Header=BB90_21 Depth=1
	s_delay_alu instid0(VALU_DEP_1) | instskip(SKIP_3) | instid1(VALU_DEP_1)
	v_dual_cndmask_b32 v103, v83, v101 :: v_dual_cndmask_b32 v102, v82, v100
	v_dual_mov_b32 v104, v98 :: v_dual_add_nc_u32 v105, 32, v99
	global_load_b64 v[102:103], v[102:103], off offset:256
	v_ashrrev_i64 v[104:105], 29, v[104:105]
	v_add_nc_u64_e32 v[106:107], s[28:29], v[104:105]
	v_add_nc_u64_e32 v[104:105], s[24:25], v[104:105]
	global_store_b64 v[106:107], v[66:67], off
	s_wait_loadcnt 0x0
	global_store_b64 v[104:105], v[102:103], off
	s_wait_xcnt 0x0
	s_or_b32 exec_lo, exec_lo, s6
	s_and_saveexec_b32 s6, s47
	s_cbranch_execz .LBB90_40
.LBB90_101:                             ;   in Loop: Header=BB90_21 Depth=1
	v_add_nc_u64_e32 v[102:103], 0x200, v[100:101]
	v_add_nc_u64_e32 v[104:105], 0x100, v[84:85]
	s_delay_alu instid0(VALU_DEP_1) | instskip(SKIP_3) | instid1(VALU_DEP_1)
	v_dual_cndmask_b32 v103, v105, v103 :: v_dual_cndmask_b32 v102, v104, v102
	v_dual_mov_b32 v104, v98 :: v_dual_add_nc_u32 v105, 64, v99
	global_load_b64 v[102:103], v[102:103], off
	v_ashrrev_i64 v[104:105], 29, v[104:105]
	v_add_nc_u64_e32 v[106:107], s[28:29], v[104:105]
	v_add_nc_u64_e32 v[104:105], s[24:25], v[104:105]
	global_store_b64 v[106:107], v[68:69], off
	s_wait_loadcnt 0x0
	global_store_b64 v[104:105], v[102:103], off
	s_wait_xcnt 0x0
	s_or_b32 exec_lo, exec_lo, s6
	s_and_saveexec_b32 s6, s48
	s_cbranch_execz .LBB90_41
.LBB90_102:                             ;   in Loop: Header=BB90_21 Depth=1
	v_add_nc_u64_e32 v[102:103], 0x300, v[100:101]
	v_add_nc_u64_e32 v[104:105], 0x100, v[86:87]
	s_delay_alu instid0(VALU_DEP_1) | instskip(SKIP_3) | instid1(VALU_DEP_1)
	v_dual_cndmask_b32 v103, v105, v103 :: v_dual_cndmask_b32 v102, v104, v102
	v_dual_mov_b32 v104, v98 :: v_dual_add_nc_u32 v105, 0x60, v99
	global_load_b64 v[102:103], v[102:103], off
	v_ashrrev_i64 v[104:105], 29, v[104:105]
	v_add_nc_u64_e32 v[106:107], s[28:29], v[104:105]
	v_add_nc_u64_e32 v[104:105], s[24:25], v[104:105]
	global_store_b64 v[106:107], v[70:71], off
	s_wait_loadcnt 0x0
	global_store_b64 v[104:105], v[102:103], off
	s_wait_xcnt 0x0
	s_or_b32 exec_lo, exec_lo, s6
	s_and_saveexec_b32 s6, s49
	s_cbranch_execz .LBB90_42
.LBB90_103:                             ;   in Loop: Header=BB90_21 Depth=1
	v_add_nc_u64_e32 v[102:103], 0x400, v[100:101]
	v_add_nc_u64_e32 v[104:105], 0x100, v[88:89]
	s_delay_alu instid0(VALU_DEP_1) | instskip(SKIP_3) | instid1(VALU_DEP_1)
	v_dual_cndmask_b32 v103, v105, v103 :: v_dual_cndmask_b32 v102, v104, v102
	v_dual_mov_b32 v104, v98 :: v_dual_add_nc_u32 v105, 0x80, v99
	global_load_b64 v[102:103], v[102:103], off
	v_ashrrev_i64 v[104:105], 29, v[104:105]
	v_add_nc_u64_e32 v[106:107], s[28:29], v[104:105]
	v_add_nc_u64_e32 v[104:105], s[24:25], v[104:105]
	global_store_b64 v[106:107], v[72:73], off
	s_wait_loadcnt 0x0
	global_store_b64 v[104:105], v[102:103], off
	s_wait_xcnt 0x0
	s_or_b32 exec_lo, exec_lo, s6
	s_and_saveexec_b32 s6, s50
	s_cbranch_execz .LBB90_43
.LBB90_104:                             ;   in Loop: Header=BB90_21 Depth=1
	v_add_nc_u64_e32 v[102:103], 0x500, v[100:101]
	v_add_nc_u64_e32 v[104:105], 0x100, v[92:93]
	s_delay_alu instid0(VALU_DEP_1) | instskip(SKIP_3) | instid1(VALU_DEP_1)
	v_dual_cndmask_b32 v103, v105, v103 :: v_dual_cndmask_b32 v102, v104, v102
	v_dual_mov_b32 v104, v98 :: v_dual_add_nc_u32 v105, 0xa0, v99
	global_load_b64 v[102:103], v[102:103], off
	v_ashrrev_i64 v[104:105], 29, v[104:105]
	v_add_nc_u64_e32 v[106:107], s[28:29], v[104:105]
	v_add_nc_u64_e32 v[104:105], s[24:25], v[104:105]
	global_store_b64 v[106:107], v[74:75], off
	s_wait_loadcnt 0x0
	global_store_b64 v[104:105], v[102:103], off
	s_wait_xcnt 0x0
	s_or_b32 exec_lo, exec_lo, s6
	s_and_saveexec_b32 s6, s51
	s_cbranch_execz .LBB90_44
.LBB90_105:                             ;   in Loop: Header=BB90_21 Depth=1
	v_add_nc_u64_e32 v[102:103], 0x600, v[100:101]
	v_add_nc_u64_e32 v[104:105], 0x100, v[94:95]
	s_delay_alu instid0(VALU_DEP_1) | instskip(SKIP_3) | instid1(VALU_DEP_1)
	v_dual_cndmask_b32 v103, v105, v103 :: v_dual_cndmask_b32 v102, v104, v102
	v_dual_mov_b32 v104, v98 :: v_dual_add_nc_u32 v105, 0xc0, v99
	global_load_b64 v[102:103], v[102:103], off
	v_ashrrev_i64 v[104:105], 29, v[104:105]
	v_add_nc_u64_e32 v[106:107], s[28:29], v[104:105]
	v_add_nc_u64_e32 v[104:105], s[24:25], v[104:105]
	global_store_b64 v[106:107], v[78:79], off
	s_wait_loadcnt 0x0
	global_store_b64 v[104:105], v[102:103], off
	s_wait_xcnt 0x0
	s_or_b32 exec_lo, exec_lo, s6
	s_and_saveexec_b32 s6, s52
	s_cbranch_execnz .LBB90_45
	s_branch .LBB90_46
.LBB90_106:                             ;   in Loop: Header=BB90_21 Depth=1
	v_add_nc_u64_e32 v[102:103], 0x200, v[90:91]
	s_delay_alu instid0(VALU_DEP_3) | instskip(NEXT) | instid1(VALU_DEP_2)
	v_ashrrev_i64 v[104:105], 29, v[98:99]
	v_dual_cndmask_b32 v103, v103, v101 :: v_dual_cndmask_b32 v102, v102, v100
	s_delay_alu instid0(VALU_DEP_2)
	v_add_nc_u64_e32 v[106:107], s[28:29], v[104:105]
	v_add_nc_u64_e32 v[104:105], s[24:25], v[104:105]
	global_load_b64 v[102:103], v[102:103], off
	global_store_b64 v[106:107], v[76:77], off
	s_wait_loadcnt 0x0
	global_store_b64 v[104:105], v[102:103], off
	s_wait_xcnt 0x0
	s_or_b32 exec_lo, exec_lo, s6
	s_and_saveexec_b32 s6, s54
	s_cbranch_execz .LBB90_48
.LBB90_107:                             ;   in Loop: Header=BB90_21 Depth=1
	s_delay_alu instid0(VALU_DEP_1) | instskip(SKIP_1) | instid1(VALU_DEP_1)
	v_add_nc_u64_e32 v[102:103], 0x100, v[100:101]
	v_add_nc_u64_e32 v[104:105], 0x200, v[82:83]
	v_dual_cndmask_b32 v103, v105, v103 :: v_dual_cndmask_b32 v102, v104, v102
	v_dual_mov_b32 v104, v98 :: v_dual_add_nc_u32 v105, 32, v99
	global_load_b64 v[102:103], v[102:103], off
	v_ashrrev_i64 v[104:105], 29, v[104:105]
	s_delay_alu instid0(VALU_DEP_1)
	v_add_nc_u64_e32 v[106:107], s[28:29], v[104:105]
	v_add_nc_u64_e32 v[104:105], s[24:25], v[104:105]
	global_store_b64 v[106:107], v[66:67], off
	s_wait_loadcnt 0x0
	global_store_b64 v[104:105], v[102:103], off
	s_wait_xcnt 0x0
	s_or_b32 exec_lo, exec_lo, s6
	s_and_saveexec_b32 s6, s55
	s_cbranch_execz .LBB90_49
.LBB90_108:                             ;   in Loop: Header=BB90_21 Depth=1
	v_dual_cndmask_b32 v103, v85, v101 :: v_dual_cndmask_b32 v102, v84, v100
	v_dual_mov_b32 v104, v98 :: v_dual_add_nc_u32 v105, 64, v99
	global_load_b64 v[102:103], v[102:103], off offset:512
	v_ashrrev_i64 v[104:105], 29, v[104:105]
	s_delay_alu instid0(VALU_DEP_1)
	v_add_nc_u64_e32 v[106:107], s[28:29], v[104:105]
	v_add_nc_u64_e32 v[104:105], s[24:25], v[104:105]
	global_store_b64 v[106:107], v[68:69], off
	s_wait_loadcnt 0x0
	global_store_b64 v[104:105], v[102:103], off
	s_wait_xcnt 0x0
	s_or_b32 exec_lo, exec_lo, s6
	s_and_saveexec_b32 s6, s56
	s_cbranch_execz .LBB90_50
.LBB90_109:                             ;   in Loop: Header=BB90_21 Depth=1
	v_add_nc_u64_e32 v[102:103], 0x300, v[100:101]
	v_add_nc_u64_e32 v[104:105], 0x200, v[86:87]
	s_delay_alu instid0(VALU_DEP_1) | instskip(SKIP_3) | instid1(VALU_DEP_1)
	v_dual_cndmask_b32 v103, v105, v103 :: v_dual_cndmask_b32 v102, v104, v102
	v_dual_mov_b32 v104, v98 :: v_dual_add_nc_u32 v105, 0x60, v99
	global_load_b64 v[102:103], v[102:103], off
	v_ashrrev_i64 v[104:105], 29, v[104:105]
	v_add_nc_u64_e32 v[106:107], s[28:29], v[104:105]
	v_add_nc_u64_e32 v[104:105], s[24:25], v[104:105]
	global_store_b64 v[106:107], v[70:71], off
	s_wait_loadcnt 0x0
	global_store_b64 v[104:105], v[102:103], off
	s_wait_xcnt 0x0
	s_or_b32 exec_lo, exec_lo, s6
	s_and_saveexec_b32 s6, s57
	s_cbranch_execz .LBB90_51
.LBB90_110:                             ;   in Loop: Header=BB90_21 Depth=1
	v_add_nc_u64_e32 v[102:103], 0x400, v[100:101]
	v_add_nc_u64_e32 v[104:105], 0x200, v[88:89]
	s_delay_alu instid0(VALU_DEP_1) | instskip(SKIP_3) | instid1(VALU_DEP_1)
	v_dual_cndmask_b32 v103, v105, v103 :: v_dual_cndmask_b32 v102, v104, v102
	v_dual_mov_b32 v104, v98 :: v_dual_add_nc_u32 v105, 0x80, v99
	global_load_b64 v[102:103], v[102:103], off
	v_ashrrev_i64 v[104:105], 29, v[104:105]
	v_add_nc_u64_e32 v[106:107], s[28:29], v[104:105]
	v_add_nc_u64_e32 v[104:105], s[24:25], v[104:105]
	global_store_b64 v[106:107], v[72:73], off
	s_wait_loadcnt 0x0
	global_store_b64 v[104:105], v[102:103], off
	s_wait_xcnt 0x0
	s_or_b32 exec_lo, exec_lo, s6
	s_and_saveexec_b32 s6, s58
	s_cbranch_execz .LBB90_52
.LBB90_111:                             ;   in Loop: Header=BB90_21 Depth=1
	v_add_nc_u64_e32 v[102:103], 0x500, v[100:101]
	v_add_nc_u64_e32 v[104:105], 0x200, v[92:93]
	s_delay_alu instid0(VALU_DEP_1) | instskip(SKIP_3) | instid1(VALU_DEP_1)
	v_dual_cndmask_b32 v103, v105, v103 :: v_dual_cndmask_b32 v102, v104, v102
	v_dual_mov_b32 v104, v98 :: v_dual_add_nc_u32 v105, 0xa0, v99
	global_load_b64 v[102:103], v[102:103], off
	v_ashrrev_i64 v[104:105], 29, v[104:105]
	v_add_nc_u64_e32 v[106:107], s[28:29], v[104:105]
	v_add_nc_u64_e32 v[104:105], s[24:25], v[104:105]
	global_store_b64 v[106:107], v[74:75], off
	s_wait_loadcnt 0x0
	global_store_b64 v[104:105], v[102:103], off
	s_wait_xcnt 0x0
	s_or_b32 exec_lo, exec_lo, s6
	s_and_saveexec_b32 s6, s59
	s_cbranch_execz .LBB90_53
.LBB90_112:                             ;   in Loop: Header=BB90_21 Depth=1
	v_add_nc_u64_e32 v[102:103], 0x600, v[100:101]
	v_add_nc_u64_e32 v[104:105], 0x200, v[94:95]
	s_delay_alu instid0(VALU_DEP_1) | instskip(SKIP_3) | instid1(VALU_DEP_1)
	v_dual_cndmask_b32 v103, v105, v103 :: v_dual_cndmask_b32 v102, v104, v102
	v_dual_mov_b32 v104, v98 :: v_dual_add_nc_u32 v105, 0xc0, v99
	global_load_b64 v[102:103], v[102:103], off
	v_ashrrev_i64 v[104:105], 29, v[104:105]
	v_add_nc_u64_e32 v[106:107], s[28:29], v[104:105]
	v_add_nc_u64_e32 v[104:105], s[24:25], v[104:105]
	global_store_b64 v[106:107], v[78:79], off
	s_wait_loadcnt 0x0
	global_store_b64 v[104:105], v[102:103], off
	s_wait_xcnt 0x0
	s_or_b32 exec_lo, exec_lo, s6
	s_and_saveexec_b32 s6, s60
	s_cbranch_execnz .LBB90_54
	s_branch .LBB90_55
.LBB90_113:                             ;   in Loop: Header=BB90_21 Depth=1
	v_add_nc_u64_e32 v[102:103], 0x300, v[90:91]
	s_delay_alu instid0(VALU_DEP_3) | instskip(NEXT) | instid1(VALU_DEP_2)
	v_ashrrev_i64 v[104:105], 29, v[98:99]
	v_dual_cndmask_b32 v103, v103, v101 :: v_dual_cndmask_b32 v102, v102, v100
	s_delay_alu instid0(VALU_DEP_2)
	v_add_nc_u64_e32 v[106:107], s[28:29], v[104:105]
	v_add_nc_u64_e32 v[104:105], s[24:25], v[104:105]
	global_load_b64 v[102:103], v[102:103], off
	global_store_b64 v[106:107], v[76:77], off
	s_wait_loadcnt 0x0
	global_store_b64 v[104:105], v[102:103], off
	s_wait_xcnt 0x0
	s_or_b32 exec_lo, exec_lo, s6
	s_and_saveexec_b32 s6, s62
	s_cbranch_execz .LBB90_57
.LBB90_114:                             ;   in Loop: Header=BB90_21 Depth=1
	s_delay_alu instid0(VALU_DEP_1) | instskip(SKIP_1) | instid1(VALU_DEP_1)
	v_add_nc_u64_e32 v[102:103], 0x100, v[100:101]
	v_add_nc_u64_e32 v[104:105], 0x300, v[82:83]
	v_dual_cndmask_b32 v103, v105, v103 :: v_dual_cndmask_b32 v102, v104, v102
	v_dual_mov_b32 v104, v98 :: v_dual_add_nc_u32 v105, 32, v99
	global_load_b64 v[102:103], v[102:103], off
	v_ashrrev_i64 v[104:105], 29, v[104:105]
	s_delay_alu instid0(VALU_DEP_1)
	v_add_nc_u64_e32 v[106:107], s[28:29], v[104:105]
	v_add_nc_u64_e32 v[104:105], s[24:25], v[104:105]
	global_store_b64 v[106:107], v[66:67], off
	s_wait_loadcnt 0x0
	global_store_b64 v[104:105], v[102:103], off
	s_wait_xcnt 0x0
	s_or_b32 exec_lo, exec_lo, s6
	s_and_saveexec_b32 s6, s63
	s_cbranch_execz .LBB90_58
.LBB90_115:                             ;   in Loop: Header=BB90_21 Depth=1
	v_add_nc_u64_e32 v[102:103], 0x200, v[100:101]
	v_add_nc_u64_e32 v[104:105], 0x300, v[84:85]
	s_delay_alu instid0(VALU_DEP_1) | instskip(SKIP_3) | instid1(VALU_DEP_1)
	v_dual_cndmask_b32 v103, v105, v103 :: v_dual_cndmask_b32 v102, v104, v102
	v_dual_mov_b32 v104, v98 :: v_dual_add_nc_u32 v105, 64, v99
	global_load_b64 v[102:103], v[102:103], off
	v_ashrrev_i64 v[104:105], 29, v[104:105]
	v_add_nc_u64_e32 v[106:107], s[28:29], v[104:105]
	v_add_nc_u64_e32 v[104:105], s[24:25], v[104:105]
	global_store_b64 v[106:107], v[68:69], off
	s_wait_loadcnt 0x0
	global_store_b64 v[104:105], v[102:103], off
	s_wait_xcnt 0x0
	s_or_b32 exec_lo, exec_lo, s6
	s_and_saveexec_b32 s6, s64
	s_cbranch_execz .LBB90_59
.LBB90_116:                             ;   in Loop: Header=BB90_21 Depth=1
	v_dual_cndmask_b32 v103, v87, v101 :: v_dual_cndmask_b32 v102, v86, v100
	v_dual_mov_b32 v104, v98 :: v_dual_add_nc_u32 v105, 0x60, v99
	global_load_b64 v[102:103], v[102:103], off offset:768
	v_ashrrev_i64 v[104:105], 29, v[104:105]
	s_delay_alu instid0(VALU_DEP_1)
	v_add_nc_u64_e32 v[106:107], s[28:29], v[104:105]
	v_add_nc_u64_e32 v[104:105], s[24:25], v[104:105]
	global_store_b64 v[106:107], v[70:71], off
	s_wait_loadcnt 0x0
	global_store_b64 v[104:105], v[102:103], off
	s_wait_xcnt 0x0
	s_or_b32 exec_lo, exec_lo, s6
	s_and_saveexec_b32 s6, s65
	s_cbranch_execz .LBB90_60
.LBB90_117:                             ;   in Loop: Header=BB90_21 Depth=1
	v_add_nc_u64_e32 v[102:103], 0x400, v[100:101]
	v_add_nc_u64_e32 v[104:105], 0x300, v[88:89]
	s_delay_alu instid0(VALU_DEP_1) | instskip(SKIP_3) | instid1(VALU_DEP_1)
	v_dual_cndmask_b32 v103, v105, v103 :: v_dual_cndmask_b32 v102, v104, v102
	v_dual_mov_b32 v104, v98 :: v_dual_add_nc_u32 v105, 0x80, v99
	global_load_b64 v[102:103], v[102:103], off
	v_ashrrev_i64 v[104:105], 29, v[104:105]
	v_add_nc_u64_e32 v[106:107], s[28:29], v[104:105]
	v_add_nc_u64_e32 v[104:105], s[24:25], v[104:105]
	global_store_b64 v[106:107], v[72:73], off
	s_wait_loadcnt 0x0
	global_store_b64 v[104:105], v[102:103], off
	s_wait_xcnt 0x0
	s_or_b32 exec_lo, exec_lo, s6
	s_and_saveexec_b32 s6, s66
	s_cbranch_execz .LBB90_61
.LBB90_118:                             ;   in Loop: Header=BB90_21 Depth=1
	v_add_nc_u64_e32 v[102:103], 0x500, v[100:101]
	v_add_nc_u64_e32 v[104:105], 0x300, v[92:93]
	s_delay_alu instid0(VALU_DEP_1) | instskip(SKIP_3) | instid1(VALU_DEP_1)
	v_dual_cndmask_b32 v103, v105, v103 :: v_dual_cndmask_b32 v102, v104, v102
	v_dual_mov_b32 v104, v98 :: v_dual_add_nc_u32 v105, 0xa0, v99
	global_load_b64 v[102:103], v[102:103], off
	v_ashrrev_i64 v[104:105], 29, v[104:105]
	v_add_nc_u64_e32 v[106:107], s[28:29], v[104:105]
	v_add_nc_u64_e32 v[104:105], s[24:25], v[104:105]
	global_store_b64 v[106:107], v[74:75], off
	s_wait_loadcnt 0x0
	global_store_b64 v[104:105], v[102:103], off
	s_wait_xcnt 0x0
	s_or_b32 exec_lo, exec_lo, s6
	s_and_saveexec_b32 s6, s67
	s_cbranch_execz .LBB90_62
.LBB90_119:                             ;   in Loop: Header=BB90_21 Depth=1
	v_add_nc_u64_e32 v[102:103], 0x600, v[100:101]
	v_add_nc_u64_e32 v[104:105], 0x300, v[94:95]
	s_delay_alu instid0(VALU_DEP_1) | instskip(SKIP_3) | instid1(VALU_DEP_1)
	v_dual_cndmask_b32 v103, v105, v103 :: v_dual_cndmask_b32 v102, v104, v102
	v_dual_mov_b32 v104, v98 :: v_dual_add_nc_u32 v105, 0xc0, v99
	global_load_b64 v[102:103], v[102:103], off
	v_ashrrev_i64 v[104:105], 29, v[104:105]
	v_add_nc_u64_e32 v[106:107], s[28:29], v[104:105]
	v_add_nc_u64_e32 v[104:105], s[24:25], v[104:105]
	global_store_b64 v[106:107], v[78:79], off
	s_wait_loadcnt 0x0
	global_store_b64 v[104:105], v[102:103], off
	s_wait_xcnt 0x0
	s_or_b32 exec_lo, exec_lo, s6
	s_and_saveexec_b32 s6, s68
	s_cbranch_execnz .LBB90_63
	s_branch .LBB90_64
.LBB90_120:                             ;   in Loop: Header=BB90_21 Depth=1
	v_add_nc_u64_e32 v[102:103], 0x400, v[90:91]
	s_delay_alu instid0(VALU_DEP_3) | instskip(NEXT) | instid1(VALU_DEP_2)
	v_ashrrev_i64 v[104:105], 29, v[98:99]
	v_dual_cndmask_b32 v103, v103, v101 :: v_dual_cndmask_b32 v102, v102, v100
	s_delay_alu instid0(VALU_DEP_2)
	v_add_nc_u64_e32 v[106:107], s[28:29], v[104:105]
	v_add_nc_u64_e32 v[104:105], s[24:25], v[104:105]
	global_load_b64 v[102:103], v[102:103], off
	global_store_b64 v[106:107], v[76:77], off
	s_wait_loadcnt 0x0
	global_store_b64 v[104:105], v[102:103], off
	s_wait_xcnt 0x0
	s_or_b32 exec_lo, exec_lo, s6
	s_and_saveexec_b32 s6, s70
	s_cbranch_execz .LBB90_66
.LBB90_121:                             ;   in Loop: Header=BB90_21 Depth=1
	s_delay_alu instid0(VALU_DEP_1) | instskip(SKIP_1) | instid1(VALU_DEP_1)
	v_add_nc_u64_e32 v[102:103], 0x100, v[100:101]
	v_add_nc_u64_e32 v[104:105], 0x400, v[82:83]
	v_dual_cndmask_b32 v103, v105, v103 :: v_dual_cndmask_b32 v102, v104, v102
	v_dual_mov_b32 v104, v98 :: v_dual_add_nc_u32 v105, 32, v99
	global_load_b64 v[102:103], v[102:103], off
	v_ashrrev_i64 v[104:105], 29, v[104:105]
	s_delay_alu instid0(VALU_DEP_1)
	v_add_nc_u64_e32 v[106:107], s[28:29], v[104:105]
	v_add_nc_u64_e32 v[104:105], s[24:25], v[104:105]
	global_store_b64 v[106:107], v[66:67], off
	s_wait_loadcnt 0x0
	global_store_b64 v[104:105], v[102:103], off
	s_wait_xcnt 0x0
	s_or_b32 exec_lo, exec_lo, s6
	s_and_saveexec_b32 s6, s71
	s_cbranch_execz .LBB90_67
.LBB90_122:                             ;   in Loop: Header=BB90_21 Depth=1
	v_add_nc_u64_e32 v[102:103], 0x200, v[100:101]
	v_add_nc_u64_e32 v[104:105], 0x400, v[84:85]
	s_delay_alu instid0(VALU_DEP_1) | instskip(SKIP_3) | instid1(VALU_DEP_1)
	v_dual_cndmask_b32 v103, v105, v103 :: v_dual_cndmask_b32 v102, v104, v102
	v_dual_mov_b32 v104, v98 :: v_dual_add_nc_u32 v105, 64, v99
	global_load_b64 v[102:103], v[102:103], off
	v_ashrrev_i64 v[104:105], 29, v[104:105]
	v_add_nc_u64_e32 v[106:107], s[28:29], v[104:105]
	v_add_nc_u64_e32 v[104:105], s[24:25], v[104:105]
	global_store_b64 v[106:107], v[68:69], off
	s_wait_loadcnt 0x0
	global_store_b64 v[104:105], v[102:103], off
	s_wait_xcnt 0x0
	s_or_b32 exec_lo, exec_lo, s6
	s_and_saveexec_b32 s6, s72
	s_cbranch_execz .LBB90_68
.LBB90_123:                             ;   in Loop: Header=BB90_21 Depth=1
	v_add_nc_u64_e32 v[102:103], 0x300, v[100:101]
	v_add_nc_u64_e32 v[104:105], 0x400, v[86:87]
	s_delay_alu instid0(VALU_DEP_1) | instskip(SKIP_3) | instid1(VALU_DEP_1)
	v_dual_cndmask_b32 v103, v105, v103 :: v_dual_cndmask_b32 v102, v104, v102
	v_dual_mov_b32 v104, v98 :: v_dual_add_nc_u32 v105, 0x60, v99
	global_load_b64 v[102:103], v[102:103], off
	v_ashrrev_i64 v[104:105], 29, v[104:105]
	v_add_nc_u64_e32 v[106:107], s[28:29], v[104:105]
	v_add_nc_u64_e32 v[104:105], s[24:25], v[104:105]
	global_store_b64 v[106:107], v[70:71], off
	s_wait_loadcnt 0x0
	global_store_b64 v[104:105], v[102:103], off
	s_wait_xcnt 0x0
	s_or_b32 exec_lo, exec_lo, s6
	s_and_saveexec_b32 s6, s73
	s_cbranch_execz .LBB90_69
.LBB90_124:                             ;   in Loop: Header=BB90_21 Depth=1
	v_dual_cndmask_b32 v103, v89, v101 :: v_dual_cndmask_b32 v102, v88, v100
	v_dual_mov_b32 v104, v98 :: v_dual_add_nc_u32 v105, 0x80, v99
	global_load_b64 v[102:103], v[102:103], off offset:1024
	v_ashrrev_i64 v[104:105], 29, v[104:105]
	s_delay_alu instid0(VALU_DEP_1)
	v_add_nc_u64_e32 v[106:107], s[28:29], v[104:105]
	v_add_nc_u64_e32 v[104:105], s[24:25], v[104:105]
	global_store_b64 v[106:107], v[72:73], off
	s_wait_loadcnt 0x0
	global_store_b64 v[104:105], v[102:103], off
	s_wait_xcnt 0x0
	s_or_b32 exec_lo, exec_lo, s6
	s_and_saveexec_b32 s6, s74
	s_cbranch_execz .LBB90_70
.LBB90_125:                             ;   in Loop: Header=BB90_21 Depth=1
	v_add_nc_u64_e32 v[102:103], 0x500, v[100:101]
	v_add_nc_u64_e32 v[104:105], 0x400, v[92:93]
	s_delay_alu instid0(VALU_DEP_1) | instskip(SKIP_3) | instid1(VALU_DEP_1)
	v_dual_cndmask_b32 v103, v105, v103 :: v_dual_cndmask_b32 v102, v104, v102
	v_dual_mov_b32 v104, v98 :: v_dual_add_nc_u32 v105, 0xa0, v99
	global_load_b64 v[102:103], v[102:103], off
	v_ashrrev_i64 v[104:105], 29, v[104:105]
	v_add_nc_u64_e32 v[106:107], s[28:29], v[104:105]
	v_add_nc_u64_e32 v[104:105], s[24:25], v[104:105]
	global_store_b64 v[106:107], v[74:75], off
	s_wait_loadcnt 0x0
	global_store_b64 v[104:105], v[102:103], off
	s_wait_xcnt 0x0
	s_or_b32 exec_lo, exec_lo, s6
	s_and_saveexec_b32 s6, s75
	s_cbranch_execz .LBB90_71
.LBB90_126:                             ;   in Loop: Header=BB90_21 Depth=1
	v_add_nc_u64_e32 v[102:103], 0x600, v[100:101]
	v_add_nc_u64_e32 v[104:105], 0x400, v[94:95]
	s_delay_alu instid0(VALU_DEP_1) | instskip(SKIP_3) | instid1(VALU_DEP_1)
	v_dual_cndmask_b32 v103, v105, v103 :: v_dual_cndmask_b32 v102, v104, v102
	v_dual_mov_b32 v104, v98 :: v_dual_add_nc_u32 v105, 0xc0, v99
	global_load_b64 v[102:103], v[102:103], off
	v_ashrrev_i64 v[104:105], 29, v[104:105]
	v_add_nc_u64_e32 v[106:107], s[28:29], v[104:105]
	v_add_nc_u64_e32 v[104:105], s[24:25], v[104:105]
	global_store_b64 v[106:107], v[78:79], off
	s_wait_loadcnt 0x0
	global_store_b64 v[104:105], v[102:103], off
	s_wait_xcnt 0x0
	s_or_b32 exec_lo, exec_lo, s6
	s_and_saveexec_b32 s6, s76
	s_cbranch_execnz .LBB90_72
	s_branch .LBB90_73
.LBB90_127:                             ;   in Loop: Header=BB90_21 Depth=1
	v_add_nc_u64_e32 v[102:103], 0x500, v[90:91]
	s_delay_alu instid0(VALU_DEP_3) | instskip(NEXT) | instid1(VALU_DEP_2)
	v_ashrrev_i64 v[104:105], 29, v[98:99]
	v_dual_cndmask_b32 v103, v103, v101 :: v_dual_cndmask_b32 v102, v102, v100
	s_delay_alu instid0(VALU_DEP_2)
	v_add_nc_u64_e32 v[106:107], s[28:29], v[104:105]
	v_add_nc_u64_e32 v[104:105], s[24:25], v[104:105]
	global_load_b64 v[102:103], v[102:103], off
	global_store_b64 v[106:107], v[76:77], off
	s_wait_loadcnt 0x0
	global_store_b64 v[104:105], v[102:103], off
	s_wait_xcnt 0x0
	s_or_b32 exec_lo, exec_lo, s6
	s_and_saveexec_b32 s6, s78
	s_cbranch_execz .LBB90_75
.LBB90_128:                             ;   in Loop: Header=BB90_21 Depth=1
	s_delay_alu instid0(VALU_DEP_1) | instskip(SKIP_1) | instid1(VALU_DEP_1)
	v_add_nc_u64_e32 v[102:103], 0x100, v[100:101]
	v_add_nc_u64_e32 v[104:105], 0x500, v[82:83]
	v_dual_cndmask_b32 v103, v105, v103 :: v_dual_cndmask_b32 v102, v104, v102
	v_dual_mov_b32 v104, v98 :: v_dual_add_nc_u32 v105, 32, v99
	global_load_b64 v[102:103], v[102:103], off
	v_ashrrev_i64 v[104:105], 29, v[104:105]
	s_delay_alu instid0(VALU_DEP_1)
	v_add_nc_u64_e32 v[106:107], s[28:29], v[104:105]
	v_add_nc_u64_e32 v[104:105], s[24:25], v[104:105]
	global_store_b64 v[106:107], v[66:67], off
	s_wait_loadcnt 0x0
	global_store_b64 v[104:105], v[102:103], off
	s_wait_xcnt 0x0
	s_or_b32 exec_lo, exec_lo, s6
	s_and_saveexec_b32 s6, s79
	s_cbranch_execz .LBB90_76
.LBB90_129:                             ;   in Loop: Header=BB90_21 Depth=1
	v_add_nc_u64_e32 v[102:103], 0x200, v[100:101]
	v_add_nc_u64_e32 v[104:105], 0x500, v[84:85]
	s_delay_alu instid0(VALU_DEP_1) | instskip(SKIP_3) | instid1(VALU_DEP_1)
	v_dual_cndmask_b32 v103, v105, v103 :: v_dual_cndmask_b32 v102, v104, v102
	v_dual_mov_b32 v104, v98 :: v_dual_add_nc_u32 v105, 64, v99
	global_load_b64 v[102:103], v[102:103], off
	v_ashrrev_i64 v[104:105], 29, v[104:105]
	v_add_nc_u64_e32 v[106:107], s[28:29], v[104:105]
	v_add_nc_u64_e32 v[104:105], s[24:25], v[104:105]
	global_store_b64 v[106:107], v[68:69], off
	s_wait_loadcnt 0x0
	global_store_b64 v[104:105], v[102:103], off
	s_wait_xcnt 0x0
	s_or_b32 exec_lo, exec_lo, s6
	s_and_saveexec_b32 s6, s80
	s_cbranch_execz .LBB90_77
.LBB90_130:                             ;   in Loop: Header=BB90_21 Depth=1
	v_add_nc_u64_e32 v[102:103], 0x300, v[100:101]
	v_add_nc_u64_e32 v[104:105], 0x500, v[86:87]
	s_delay_alu instid0(VALU_DEP_1) | instskip(SKIP_3) | instid1(VALU_DEP_1)
	v_dual_cndmask_b32 v103, v105, v103 :: v_dual_cndmask_b32 v102, v104, v102
	v_dual_mov_b32 v104, v98 :: v_dual_add_nc_u32 v105, 0x60, v99
	global_load_b64 v[102:103], v[102:103], off
	v_ashrrev_i64 v[104:105], 29, v[104:105]
	v_add_nc_u64_e32 v[106:107], s[28:29], v[104:105]
	v_add_nc_u64_e32 v[104:105], s[24:25], v[104:105]
	global_store_b64 v[106:107], v[70:71], off
	s_wait_loadcnt 0x0
	global_store_b64 v[104:105], v[102:103], off
	s_wait_xcnt 0x0
	s_or_b32 exec_lo, exec_lo, s6
	s_and_saveexec_b32 s6, s81
	s_cbranch_execz .LBB90_78
.LBB90_131:                             ;   in Loop: Header=BB90_21 Depth=1
	v_add_nc_u64_e32 v[102:103], 0x400, v[100:101]
	v_add_nc_u64_e32 v[104:105], 0x500, v[88:89]
	s_delay_alu instid0(VALU_DEP_1) | instskip(SKIP_3) | instid1(VALU_DEP_1)
	v_dual_cndmask_b32 v103, v105, v103 :: v_dual_cndmask_b32 v102, v104, v102
	v_dual_mov_b32 v104, v98 :: v_dual_add_nc_u32 v105, 0x80, v99
	global_load_b64 v[102:103], v[102:103], off
	v_ashrrev_i64 v[104:105], 29, v[104:105]
	v_add_nc_u64_e32 v[106:107], s[28:29], v[104:105]
	v_add_nc_u64_e32 v[104:105], s[24:25], v[104:105]
	global_store_b64 v[106:107], v[72:73], off
	s_wait_loadcnt 0x0
	global_store_b64 v[104:105], v[102:103], off
	s_wait_xcnt 0x0
	s_or_b32 exec_lo, exec_lo, s6
	s_and_saveexec_b32 s6, s82
	s_cbranch_execz .LBB90_79
.LBB90_132:                             ;   in Loop: Header=BB90_21 Depth=1
	v_dual_cndmask_b32 v103, v93, v101 :: v_dual_cndmask_b32 v102, v92, v100
	v_dual_mov_b32 v104, v98 :: v_dual_add_nc_u32 v105, 0xa0, v99
	global_load_b64 v[102:103], v[102:103], off offset:1280
	v_ashrrev_i64 v[104:105], 29, v[104:105]
	s_delay_alu instid0(VALU_DEP_1)
	v_add_nc_u64_e32 v[106:107], s[28:29], v[104:105]
	v_add_nc_u64_e32 v[104:105], s[24:25], v[104:105]
	global_store_b64 v[106:107], v[74:75], off
	s_wait_loadcnt 0x0
	global_store_b64 v[104:105], v[102:103], off
	s_wait_xcnt 0x0
	s_or_b32 exec_lo, exec_lo, s6
	s_and_saveexec_b32 s6, s83
	s_cbranch_execz .LBB90_80
.LBB90_133:                             ;   in Loop: Header=BB90_21 Depth=1
	v_add_nc_u64_e32 v[102:103], 0x600, v[100:101]
	v_add_nc_u64_e32 v[104:105], 0x500, v[94:95]
	s_delay_alu instid0(VALU_DEP_1) | instskip(SKIP_3) | instid1(VALU_DEP_1)
	v_dual_cndmask_b32 v103, v105, v103 :: v_dual_cndmask_b32 v102, v104, v102
	v_dual_mov_b32 v104, v98 :: v_dual_add_nc_u32 v105, 0xc0, v99
	global_load_b64 v[102:103], v[102:103], off
	v_ashrrev_i64 v[104:105], 29, v[104:105]
	v_add_nc_u64_e32 v[106:107], s[28:29], v[104:105]
	v_add_nc_u64_e32 v[104:105], s[24:25], v[104:105]
	global_store_b64 v[106:107], v[78:79], off
	s_wait_loadcnt 0x0
	global_store_b64 v[104:105], v[102:103], off
	s_wait_xcnt 0x0
	s_or_b32 exec_lo, exec_lo, s6
	s_and_saveexec_b32 s6, s84
	s_cbranch_execnz .LBB90_81
	s_branch .LBB90_82
.LBB90_134:                             ;   in Loop: Header=BB90_21 Depth=1
	v_add_nc_u64_e32 v[102:103], 0x600, v[90:91]
	s_delay_alu instid0(VALU_DEP_3) | instskip(NEXT) | instid1(VALU_DEP_2)
	v_ashrrev_i64 v[104:105], 29, v[98:99]
	v_dual_cndmask_b32 v103, v103, v101 :: v_dual_cndmask_b32 v102, v102, v100
	s_delay_alu instid0(VALU_DEP_2)
	v_add_nc_u64_e32 v[106:107], s[28:29], v[104:105]
	v_add_nc_u64_e32 v[104:105], s[24:25], v[104:105]
	global_load_b64 v[102:103], v[102:103], off
	global_store_b64 v[106:107], v[76:77], off
	s_wait_loadcnt 0x0
	global_store_b64 v[104:105], v[102:103], off
	s_wait_xcnt 0x0
	s_or_b32 exec_lo, exec_lo, s6
	s_and_saveexec_b32 s6, s86
	s_cbranch_execz .LBB90_84
.LBB90_135:                             ;   in Loop: Header=BB90_21 Depth=1
	s_delay_alu instid0(VALU_DEP_1) | instskip(SKIP_1) | instid1(VALU_DEP_1)
	v_add_nc_u64_e32 v[102:103], 0x100, v[100:101]
	v_add_nc_u64_e32 v[104:105], 0x600, v[82:83]
	v_dual_cndmask_b32 v103, v105, v103 :: v_dual_cndmask_b32 v102, v104, v102
	v_dual_mov_b32 v104, v98 :: v_dual_add_nc_u32 v105, 32, v99
	global_load_b64 v[102:103], v[102:103], off
	v_ashrrev_i64 v[104:105], 29, v[104:105]
	s_delay_alu instid0(VALU_DEP_1)
	v_add_nc_u64_e32 v[106:107], s[28:29], v[104:105]
	v_add_nc_u64_e32 v[104:105], s[24:25], v[104:105]
	global_store_b64 v[106:107], v[66:67], off
	s_wait_loadcnt 0x0
	global_store_b64 v[104:105], v[102:103], off
	s_wait_xcnt 0x0
	s_or_b32 exec_lo, exec_lo, s6
	s_and_saveexec_b32 s6, s87
	s_cbranch_execz .LBB90_85
.LBB90_136:                             ;   in Loop: Header=BB90_21 Depth=1
	v_add_nc_u64_e32 v[102:103], 0x200, v[100:101]
	v_add_nc_u64_e32 v[104:105], 0x600, v[84:85]
	s_delay_alu instid0(VALU_DEP_1) | instskip(SKIP_3) | instid1(VALU_DEP_1)
	v_dual_cndmask_b32 v103, v105, v103 :: v_dual_cndmask_b32 v102, v104, v102
	v_dual_mov_b32 v104, v98 :: v_dual_add_nc_u32 v105, 64, v99
	global_load_b64 v[102:103], v[102:103], off
	v_ashrrev_i64 v[104:105], 29, v[104:105]
	v_add_nc_u64_e32 v[106:107], s[28:29], v[104:105]
	v_add_nc_u64_e32 v[104:105], s[24:25], v[104:105]
	global_store_b64 v[106:107], v[68:69], off
	s_wait_loadcnt 0x0
	global_store_b64 v[104:105], v[102:103], off
	s_wait_xcnt 0x0
	s_or_b32 exec_lo, exec_lo, s6
	s_and_saveexec_b32 s6, s88
	s_cbranch_execz .LBB90_86
.LBB90_137:                             ;   in Loop: Header=BB90_21 Depth=1
	v_add_nc_u64_e32 v[102:103], 0x300, v[100:101]
	v_add_nc_u64_e32 v[104:105], 0x600, v[86:87]
	s_delay_alu instid0(VALU_DEP_1) | instskip(SKIP_3) | instid1(VALU_DEP_1)
	v_dual_cndmask_b32 v103, v105, v103 :: v_dual_cndmask_b32 v102, v104, v102
	v_dual_mov_b32 v104, v98 :: v_dual_add_nc_u32 v105, 0x60, v99
	global_load_b64 v[102:103], v[102:103], off
	v_ashrrev_i64 v[104:105], 29, v[104:105]
	v_add_nc_u64_e32 v[106:107], s[28:29], v[104:105]
	v_add_nc_u64_e32 v[104:105], s[24:25], v[104:105]
	global_store_b64 v[106:107], v[70:71], off
	s_wait_loadcnt 0x0
	global_store_b64 v[104:105], v[102:103], off
	s_wait_xcnt 0x0
	s_or_b32 exec_lo, exec_lo, s6
	s_and_saveexec_b32 s6, s89
	s_cbranch_execz .LBB90_87
.LBB90_138:                             ;   in Loop: Header=BB90_21 Depth=1
	v_add_nc_u64_e32 v[102:103], 0x400, v[100:101]
	v_add_nc_u64_e32 v[104:105], 0x600, v[88:89]
	s_delay_alu instid0(VALU_DEP_1) | instskip(SKIP_3) | instid1(VALU_DEP_1)
	v_dual_cndmask_b32 v103, v105, v103 :: v_dual_cndmask_b32 v102, v104, v102
	v_dual_mov_b32 v104, v98 :: v_dual_add_nc_u32 v105, 0x80, v99
	global_load_b64 v[102:103], v[102:103], off
	v_ashrrev_i64 v[104:105], 29, v[104:105]
	v_add_nc_u64_e32 v[106:107], s[28:29], v[104:105]
	v_add_nc_u64_e32 v[104:105], s[24:25], v[104:105]
	global_store_b64 v[106:107], v[72:73], off
	s_wait_loadcnt 0x0
	global_store_b64 v[104:105], v[102:103], off
	s_wait_xcnt 0x0
	s_or_b32 exec_lo, exec_lo, s6
	s_and_saveexec_b32 s6, s90
	s_cbranch_execz .LBB90_88
.LBB90_139:                             ;   in Loop: Header=BB90_21 Depth=1
	v_add_nc_u64_e32 v[102:103], 0x500, v[100:101]
	v_add_nc_u64_e32 v[104:105], 0x600, v[92:93]
	s_delay_alu instid0(VALU_DEP_1) | instskip(SKIP_3) | instid1(VALU_DEP_1)
	v_dual_cndmask_b32 v103, v105, v103 :: v_dual_cndmask_b32 v102, v104, v102
	v_dual_mov_b32 v104, v98 :: v_dual_add_nc_u32 v105, 0xa0, v99
	global_load_b64 v[102:103], v[102:103], off
	v_ashrrev_i64 v[104:105], 29, v[104:105]
	v_add_nc_u64_e32 v[106:107], s[28:29], v[104:105]
	v_add_nc_u64_e32 v[104:105], s[24:25], v[104:105]
	global_store_b64 v[106:107], v[74:75], off
	s_wait_loadcnt 0x0
	global_store_b64 v[104:105], v[102:103], off
	s_wait_xcnt 0x0
	s_or_b32 exec_lo, exec_lo, s6
	s_and_saveexec_b32 s6, s91
	s_cbranch_execz .LBB90_89
.LBB90_140:                             ;   in Loop: Header=BB90_21 Depth=1
	v_dual_cndmask_b32 v103, v95, v101 :: v_dual_cndmask_b32 v102, v94, v100
	v_dual_mov_b32 v104, v98 :: v_dual_add_nc_u32 v105, 0xc0, v99
	global_load_b64 v[102:103], v[102:103], off offset:1536
	v_ashrrev_i64 v[104:105], 29, v[104:105]
	s_delay_alu instid0(VALU_DEP_1)
	v_add_nc_u64_e32 v[106:107], s[28:29], v[104:105]
	v_add_nc_u64_e32 v[104:105], s[24:25], v[104:105]
	global_store_b64 v[106:107], v[78:79], off
	s_wait_loadcnt 0x0
	global_store_b64 v[104:105], v[102:103], off
	s_wait_xcnt 0x0
	s_or_b32 exec_lo, exec_lo, s6
	s_and_saveexec_b32 s6, s8
	s_cbranch_execnz .LBB90_90
	s_branch .LBB90_91
.LBB90_141:                             ;   in Loop: Header=BB90_21 Depth=1
	v_add_nc_u64_e32 v[90:91], 0x700, v[90:91]
	s_delay_alu instid0(VALU_DEP_3) | instskip(NEXT) | instid1(VALU_DEP_2)
	v_ashrrev_i64 v[102:103], 29, v[98:99]
	v_dual_cndmask_b32 v91, v91, v101 :: v_dual_cndmask_b32 v90, v90, v100
	s_delay_alu instid0(VALU_DEP_2)
	v_add_nc_u64_e32 v[104:105], s[28:29], v[102:103]
	v_add_nc_u64_e32 v[102:103], s[24:25], v[102:103]
	global_load_b64 v[90:91], v[90:91], off
	global_store_b64 v[104:105], v[76:77], off
	s_wait_loadcnt 0x0
	global_store_b64 v[102:103], v[90:91], off
	s_wait_xcnt 0x0
	s_or_b32 exec_lo, exec_lo, s6
	s_and_saveexec_b32 s6, s93
	s_cbranch_execz .LBB90_93
.LBB90_142:                             ;   in Loop: Header=BB90_21 Depth=1
	s_delay_alu instid0(VALU_DEP_1) | instskip(SKIP_1) | instid1(VALU_DEP_1)
	v_add_nc_u64_e32 v[76:77], 0x100, v[100:101]
	v_add_nc_u64_e32 v[82:83], 0x700, v[82:83]
	v_dual_cndmask_b32 v77, v83, v77 :: v_dual_cndmask_b32 v76, v82, v76
	v_dual_mov_b32 v82, v98 :: v_dual_add_nc_u32 v83, 32, v99
	global_load_b64 v[76:77], v[76:77], off
	v_ashrrev_i64 v[82:83], 29, v[82:83]
	s_delay_alu instid0(VALU_DEP_1)
	v_add_nc_u64_e32 v[90:91], s[28:29], v[82:83]
	v_add_nc_u64_e32 v[82:83], s[24:25], v[82:83]
	global_store_b64 v[90:91], v[66:67], off
	s_wait_loadcnt 0x0
	global_store_b64 v[82:83], v[76:77], off
	s_wait_xcnt 0x0
	s_or_b32 exec_lo, exec_lo, s6
	s_and_saveexec_b32 s6, s10
	s_cbranch_execz .LBB90_94
.LBB90_143:                             ;   in Loop: Header=BB90_21 Depth=1
	v_add_nc_u64_e32 v[66:67], 0x200, v[100:101]
	v_add_nc_u64_e32 v[76:77], 0x700, v[84:85]
	s_delay_alu instid0(VALU_DEP_1) | instskip(SKIP_3) | instid1(VALU_DEP_1)
	v_dual_cndmask_b32 v67, v77, v67 :: v_dual_cndmask_b32 v66, v76, v66
	v_dual_mov_b32 v76, v98 :: v_dual_add_nc_u32 v77, 64, v99
	global_load_b64 v[66:67], v[66:67], off
	v_ashrrev_i64 v[76:77], 29, v[76:77]
	v_add_nc_u64_e32 v[82:83], s[28:29], v[76:77]
	v_add_nc_u64_e32 v[76:77], s[24:25], v[76:77]
	global_store_b64 v[82:83], v[68:69], off
	s_wait_loadcnt 0x0
	global_store_b64 v[76:77], v[66:67], off
	s_wait_xcnt 0x0
	s_or_b32 exec_lo, exec_lo, s6
	s_and_saveexec_b32 s6, s11
	s_cbranch_execz .LBB90_95
.LBB90_144:                             ;   in Loop: Header=BB90_21 Depth=1
	v_add_nc_u64_e32 v[66:67], 0x300, v[100:101]
	v_add_nc_u64_e32 v[68:69], 0x700, v[86:87]
	s_delay_alu instid0(VALU_DEP_1) | instskip(SKIP_3) | instid1(VALU_DEP_1)
	v_dual_cndmask_b32 v67, v69, v67 :: v_dual_cndmask_b32 v66, v68, v66
	v_dual_mov_b32 v68, v98 :: v_dual_add_nc_u32 v69, 0x60, v99
	global_load_b64 v[66:67], v[66:67], off
	v_ashrrev_i64 v[68:69], 29, v[68:69]
	v_add_nc_u64_e32 v[76:77], s[28:29], v[68:69]
	v_add_nc_u64_e32 v[68:69], s[24:25], v[68:69]
	global_store_b64 v[76:77], v[70:71], off
	s_wait_loadcnt 0x0
	global_store_b64 v[68:69], v[66:67], off
	s_wait_xcnt 0x0
	s_or_b32 exec_lo, exec_lo, s6
	s_and_saveexec_b32 s6, s12
	s_cbranch_execz .LBB90_96
.LBB90_145:                             ;   in Loop: Header=BB90_21 Depth=1
	v_add_nc_u64_e32 v[66:67], 0x400, v[100:101]
	v_add_nc_u64_e32 v[68:69], 0x700, v[88:89]
	s_delay_alu instid0(VALU_DEP_1) | instskip(SKIP_3) | instid1(VALU_DEP_1)
	v_dual_cndmask_b32 v67, v69, v67 :: v_dual_cndmask_b32 v66, v68, v66
	v_dual_mov_b32 v68, v98 :: v_dual_add_nc_u32 v69, 0x80, v99
	global_load_b64 v[66:67], v[66:67], off
	v_ashrrev_i64 v[68:69], 29, v[68:69]
	v_add_nc_u64_e32 v[70:71], s[28:29], v[68:69]
	v_add_nc_u64_e32 v[68:69], s[24:25], v[68:69]
	global_store_b64 v[70:71], v[72:73], off
	s_wait_loadcnt 0x0
	global_store_b64 v[68:69], v[66:67], off
	s_wait_xcnt 0x0
	s_or_b32 exec_lo, exec_lo, s6
	s_and_saveexec_b32 s6, s13
	s_cbranch_execz .LBB90_97
.LBB90_146:                             ;   in Loop: Header=BB90_21 Depth=1
	v_add_nc_u64_e32 v[66:67], 0x500, v[100:101]
	v_add_nc_u64_e32 v[68:69], 0x700, v[92:93]
	s_delay_alu instid0(VALU_DEP_1) | instskip(SKIP_3) | instid1(VALU_DEP_1)
	v_dual_cndmask_b32 v67, v69, v67 :: v_dual_cndmask_b32 v66, v68, v66
	v_dual_mov_b32 v68, v98 :: v_dual_add_nc_u32 v69, 0xa0, v99
	global_load_b64 v[66:67], v[66:67], off
	v_ashrrev_i64 v[68:69], 29, v[68:69]
	v_add_nc_u64_e32 v[70:71], s[28:29], v[68:69]
	v_add_nc_u64_e32 v[68:69], s[24:25], v[68:69]
	global_store_b64 v[70:71], v[74:75], off
	s_wait_loadcnt 0x0
	global_store_b64 v[68:69], v[66:67], off
	s_wait_xcnt 0x0
	s_or_b32 exec_lo, exec_lo, s6
	s_and_saveexec_b32 s6, s14
	s_cbranch_execz .LBB90_98
.LBB90_147:                             ;   in Loop: Header=BB90_21 Depth=1
	v_add_nc_u64_e32 v[66:67], 0x600, v[100:101]
	v_add_nc_u64_e32 v[68:69], 0x700, v[94:95]
	s_delay_alu instid0(VALU_DEP_1) | instskip(SKIP_3) | instid1(VALU_DEP_1)
	v_dual_cndmask_b32 v67, v69, v67 :: v_dual_cndmask_b32 v66, v68, v66
	v_dual_mov_b32 v68, v98 :: v_dual_add_nc_u32 v69, 0xc0, v99
	global_load_b64 v[66:67], v[66:67], off
	v_ashrrev_i64 v[68:69], 29, v[68:69]
	v_add_nc_u64_e32 v[70:71], s[28:29], v[68:69]
	v_add_nc_u64_e32 v[68:69], s[24:25], v[68:69]
	global_store_b64 v[70:71], v[78:79], off
	s_wait_loadcnt 0x0
	global_store_b64 v[68:69], v[66:67], off
	s_wait_xcnt 0x0
	s_or_b32 exec_lo, exec_lo, s6
	s_and_saveexec_b32 s6, s9
	s_cbranch_execz .LBB90_20
.LBB90_148:                             ;   in Loop: Header=BB90_21 Depth=1
	v_dual_cndmask_b32 v67, v97, v101 :: v_dual_cndmask_b32 v66, v96, v100
	v_add_nc_u32_e32 v99, 0xe0, v99
	global_load_b64 v[66:67], v[66:67], off offset:1792
	v_ashrrev_i64 v[68:69], 29, v[98:99]
	s_delay_alu instid0(VALU_DEP_1)
	v_add_nc_u64_e32 v[70:71], s[28:29], v[68:69]
	v_add_nc_u64_e32 v[68:69], s[24:25], v[68:69]
	global_store_b64 v[70:71], v[80:81], off
	s_wait_loadcnt 0x0
	global_store_b64 v[68:69], v[66:67], off
	s_branch .LBB90_20
.LBB90_149:
	s_sendmsg sendmsg(MSG_DEALLOC_VGPRS)
	s_endpgm
	.section	.rodata,"a",@progbits
	.p2align	6, 0x0
	.amdhsa_kernel _ZN9rocsparseL35bsr2csr_block_per_row_33_256_kernelILj1024ELj256ELj32ElilEEv20rocsparse_direction_T4_S2_21rocsparse_index_base_PKT2_PKT3_PKS2_S2_S3_PS4_PS7_PS2_
		.amdhsa_group_segment_fixed_size 0
		.amdhsa_private_segment_fixed_size 0
		.amdhsa_kernarg_size 96
		.amdhsa_user_sgpr_count 2
		.amdhsa_user_sgpr_dispatch_ptr 0
		.amdhsa_user_sgpr_queue_ptr 0
		.amdhsa_user_sgpr_kernarg_segment_ptr 1
		.amdhsa_user_sgpr_dispatch_id 0
		.amdhsa_user_sgpr_kernarg_preload_length 0
		.amdhsa_user_sgpr_kernarg_preload_offset 0
		.amdhsa_user_sgpr_private_segment_size 0
		.amdhsa_wavefront_size32 1
		.amdhsa_uses_dynamic_stack 0
		.amdhsa_enable_private_segment 0
		.amdhsa_system_sgpr_workgroup_id_x 1
		.amdhsa_system_sgpr_workgroup_id_y 0
		.amdhsa_system_sgpr_workgroup_id_z 0
		.amdhsa_system_sgpr_workgroup_info 0
		.amdhsa_system_vgpr_workitem_id 0
		.amdhsa_next_free_vgpr 108
		.amdhsa_next_free_sgpr 95
		.amdhsa_named_barrier_count 0
		.amdhsa_reserve_vcc 1
		.amdhsa_float_round_mode_32 0
		.amdhsa_float_round_mode_16_64 0
		.amdhsa_float_denorm_mode_32 3
		.amdhsa_float_denorm_mode_16_64 3
		.amdhsa_fp16_overflow 0
		.amdhsa_memory_ordered 1
		.amdhsa_forward_progress 1
		.amdhsa_inst_pref_size 76
		.amdhsa_round_robin_scheduling 0
		.amdhsa_exception_fp_ieee_invalid_op 0
		.amdhsa_exception_fp_denorm_src 0
		.amdhsa_exception_fp_ieee_div_zero 0
		.amdhsa_exception_fp_ieee_overflow 0
		.amdhsa_exception_fp_ieee_underflow 0
		.amdhsa_exception_fp_ieee_inexact 0
		.amdhsa_exception_int_div_zero 0
	.end_amdhsa_kernel
	.section	.text._ZN9rocsparseL35bsr2csr_block_per_row_33_256_kernelILj1024ELj256ELj32ElilEEv20rocsparse_direction_T4_S2_21rocsparse_index_base_PKT2_PKT3_PKS2_S2_S3_PS4_PS7_PS2_,"axG",@progbits,_ZN9rocsparseL35bsr2csr_block_per_row_33_256_kernelILj1024ELj256ELj32ElilEEv20rocsparse_direction_T4_S2_21rocsparse_index_base_PKT2_PKT3_PKS2_S2_S3_PS4_PS7_PS2_,comdat
.Lfunc_end90:
	.size	_ZN9rocsparseL35bsr2csr_block_per_row_33_256_kernelILj1024ELj256ELj32ElilEEv20rocsparse_direction_T4_S2_21rocsparse_index_base_PKT2_PKT3_PKS2_S2_S3_PS4_PS7_PS2_, .Lfunc_end90-_ZN9rocsparseL35bsr2csr_block_per_row_33_256_kernelILj1024ELj256ELj32ElilEEv20rocsparse_direction_T4_S2_21rocsparse_index_base_PKT2_PKT3_PKS2_S2_S3_PS4_PS7_PS2_
                                        ; -- End function
	.set _ZN9rocsparseL35bsr2csr_block_per_row_33_256_kernelILj1024ELj256ELj32ElilEEv20rocsparse_direction_T4_S2_21rocsparse_index_base_PKT2_PKT3_PKS2_S2_S3_PS4_PS7_PS2_.num_vgpr, 108
	.set _ZN9rocsparseL35bsr2csr_block_per_row_33_256_kernelILj1024ELj256ELj32ElilEEv20rocsparse_direction_T4_S2_21rocsparse_index_base_PKT2_PKT3_PKS2_S2_S3_PS4_PS7_PS2_.num_agpr, 0
	.set _ZN9rocsparseL35bsr2csr_block_per_row_33_256_kernelILj1024ELj256ELj32ElilEEv20rocsparse_direction_T4_S2_21rocsparse_index_base_PKT2_PKT3_PKS2_S2_S3_PS4_PS7_PS2_.numbered_sgpr, 95
	.set _ZN9rocsparseL35bsr2csr_block_per_row_33_256_kernelILj1024ELj256ELj32ElilEEv20rocsparse_direction_T4_S2_21rocsparse_index_base_PKT2_PKT3_PKS2_S2_S3_PS4_PS7_PS2_.num_named_barrier, 0
	.set _ZN9rocsparseL35bsr2csr_block_per_row_33_256_kernelILj1024ELj256ELj32ElilEEv20rocsparse_direction_T4_S2_21rocsparse_index_base_PKT2_PKT3_PKS2_S2_S3_PS4_PS7_PS2_.private_seg_size, 0
	.set _ZN9rocsparseL35bsr2csr_block_per_row_33_256_kernelILj1024ELj256ELj32ElilEEv20rocsparse_direction_T4_S2_21rocsparse_index_base_PKT2_PKT3_PKS2_S2_S3_PS4_PS7_PS2_.uses_vcc, 1
	.set _ZN9rocsparseL35bsr2csr_block_per_row_33_256_kernelILj1024ELj256ELj32ElilEEv20rocsparse_direction_T4_S2_21rocsparse_index_base_PKT2_PKT3_PKS2_S2_S3_PS4_PS7_PS2_.uses_flat_scratch, 0
	.set _ZN9rocsparseL35bsr2csr_block_per_row_33_256_kernelILj1024ELj256ELj32ElilEEv20rocsparse_direction_T4_S2_21rocsparse_index_base_PKT2_PKT3_PKS2_S2_S3_PS4_PS7_PS2_.has_dyn_sized_stack, 0
	.set _ZN9rocsparseL35bsr2csr_block_per_row_33_256_kernelILj1024ELj256ELj32ElilEEv20rocsparse_direction_T4_S2_21rocsparse_index_base_PKT2_PKT3_PKS2_S2_S3_PS4_PS7_PS2_.has_recursion, 0
	.set _ZN9rocsparseL35bsr2csr_block_per_row_33_256_kernelILj1024ELj256ELj32ElilEEv20rocsparse_direction_T4_S2_21rocsparse_index_base_PKT2_PKT3_PKS2_S2_S3_PS4_PS7_PS2_.has_indirect_call, 0
	.section	.AMDGPU.csdata,"",@progbits
; Kernel info:
; codeLenInByte = 9616
; TotalNumSgprs: 97
; NumVgprs: 108
; ScratchSize: 0
; MemoryBound: 0
; FloatMode: 240
; IeeeMode: 1
; LDSByteSize: 0 bytes/workgroup (compile time only)
; SGPRBlocks: 0
; VGPRBlocks: 6
; NumSGPRsForWavesPerEU: 97
; NumVGPRsForWavesPerEU: 108
; NamedBarCnt: 0
; Occupancy: 9
; WaveLimiterHint : 1
; COMPUTE_PGM_RSRC2:SCRATCH_EN: 0
; COMPUTE_PGM_RSRC2:USER_SGPR: 2
; COMPUTE_PGM_RSRC2:TRAP_HANDLER: 0
; COMPUTE_PGM_RSRC2:TGID_X_EN: 1
; COMPUTE_PGM_RSRC2:TGID_Y_EN: 0
; COMPUTE_PGM_RSRC2:TGID_Z_EN: 0
; COMPUTE_PGM_RSRC2:TIDIG_COMP_CNT: 0
	.section	.text._ZN9rocsparseL35bsr2csr_block_dim_equals_one_kernelILj1024ElllEEvT2_S1_21rocsparse_index_base_PKT0_PKT1_PKS1_S2_PS3_PS6_PS1_,"axG",@progbits,_ZN9rocsparseL35bsr2csr_block_dim_equals_one_kernelILj1024ElllEEvT2_S1_21rocsparse_index_base_PKT0_PKT1_PKS1_S2_PS3_PS6_PS1_,comdat
	.globl	_ZN9rocsparseL35bsr2csr_block_dim_equals_one_kernelILj1024ElllEEvT2_S1_21rocsparse_index_base_PKT0_PKT1_PKS1_S2_PS3_PS6_PS1_ ; -- Begin function _ZN9rocsparseL35bsr2csr_block_dim_equals_one_kernelILj1024ElllEEvT2_S1_21rocsparse_index_base_PKT0_PKT1_PKS1_S2_PS3_PS6_PS1_
	.p2align	8
	.type	_ZN9rocsparseL35bsr2csr_block_dim_equals_one_kernelILj1024ElllEEvT2_S1_21rocsparse_index_base_PKT0_PKT1_PKS1_S2_PS3_PS6_PS1_,@function
_ZN9rocsparseL35bsr2csr_block_dim_equals_one_kernelILj1024ElllEEvT2_S1_21rocsparse_index_base_PKT0_PKT1_PKS1_S2_PS3_PS6_PS1_: ; @_ZN9rocsparseL35bsr2csr_block_dim_equals_one_kernelILj1024ElllEEvT2_S1_21rocsparse_index_base_PKT0_PKT1_PKS1_S2_PS3_PS6_PS1_
; %bb.0:
	s_clause 0x3
	s_load_b32 s2, s[0:1], 0x10
	s_load_b64 s[8:9], s[0:1], 0x20
	s_load_b32 s4, s[0:1], 0x30
	s_load_b64 s[6:7], s[0:1], 0x0
	s_bfe_u32 s3, ttmp6, 0x4000c
	s_and_b32 s5, ttmp6, 15
	s_add_co_i32 s3, s3, 1
	s_getreg_b32 s10, hwreg(HW_REG_IB_STS2, 6, 4)
	s_mul_i32 s3, ttmp9, s3
	v_mov_b32_e32 v1, 0
	s_add_co_i32 s5, s5, s3
	s_cmp_eq_u32 s10, 0
	s_mov_b32 s14, exec_lo
	s_cselect_b32 s3, ttmp9, s5
	s_delay_alu instid0(SALU_CYCLE_1) | instskip(SKIP_1) | instid1(VALU_DEP_1)
	v_lshl_or_b32 v0, s3, 10, v0
	s_wait_kmcnt 0x0
	v_cmpx_gt_i64_e64 s[6:7], v[0:1]
	s_cbranch_execz .LBB91_6
; %bb.1:
                                        ; implicit-def: $sgpr12_sgpr13
	s_mov_b32 s3, exec_lo
	v_cmpx_ne_u32_e32 0, v0
	s_xor_b32 s10, exec_lo, s3
; %bb.2:
	s_mov_b32 s3, 0
	s_delay_alu instid0(SALU_CYCLE_1) | instskip(NEXT) | instid1(SALU_CYCLE_1)
	s_mov_b32 s5, s3
	s_sub_nc_u64 s[12:13], s[4:5], s[2:3]
; %bb.3:
	s_or_saveexec_b32 s15, s10
	s_load_b64 s[10:11], s[0:1], 0x40
	v_mov_b64_e32 v[2:3], s[12:13]
	s_xor_b32 exec_lo, exec_lo, s15
	s_cbranch_execz .LBB91_5
; %bb.4:
	s_load_b64 s[12:13], s[8:9], 0x0
	s_mov_b32 s5, 0
	v_mov_b32_e32 v6, 0
	s_mov_b32 s3, s5
	s_delay_alu instid0(SALU_CYCLE_1) | instskip(NEXT) | instid1(SALU_CYCLE_1)
	s_sub_nc_u64 s[16:17], s[4:5], s[2:3]
	v_mov_b64_e32 v[2:3], s[16:17]
	s_wait_kmcnt 0x0
	s_add_nc_u64 s[12:13], s[16:17], s[12:13]
	s_delay_alu instid0(SALU_CYCLE_1)
	v_mov_b64_e32 v[4:5], s[12:13]
	global_store_b64 v6, v[4:5], s[10:11]
.LBB91_5:
	s_wait_xcnt 0x0
	s_or_b32 exec_lo, exec_lo, s15
	v_lshlrev_b64_e32 v[4:5], 3, v[0:1]
	s_delay_alu instid0(VALU_DEP_1)
	v_add_nc_u64_e32 v[6:7], s[8:9], v[4:5]
	s_wait_kmcnt 0x0
	v_add_nc_u64_e32 v[4:5], s[10:11], v[4:5]
	global_load_b64 v[6:7], v[6:7], off offset:8
	s_wait_loadcnt 0x0
	v_add_nc_u64_e32 v[2:3], v[2:3], v[6:7]
	global_store_b64 v[4:5], v[2:3], off offset:8
.LBB91_6:
	s_wait_xcnt 0x0
	s_or_b32 exec_lo, exec_lo, s14
	s_lshl_b64 s[6:7], s[6:7], 3
	s_clause 0x3
	s_load_b64 s[10:11], s[0:1], 0x48
	s_load_b64 s[12:13], s[0:1], 0x18
	;; [unrolled: 1-line block ×4, first 2 shown]
	s_add_nc_u64 s[6:7], s[8:9], s[6:7]
	s_mov_b32 s3, exec_lo
	s_clause 0x1
	s_load_b64 s[18:19], s[6:7], 0x0
	s_load_b64 s[20:21], s[8:9], 0x0
	s_wait_kmcnt 0x0
	s_sub_nc_u64 s[6:7], s[18:19], s[20:21]
	s_delay_alu instid0(SALU_CYCLE_1)
	v_cmpx_gt_i64_e64 s[6:7], v[0:1]
	s_cbranch_execz .LBB91_9
; %bb.7:
	s_load_b32 s8, s[0:1], 0x50
	s_mov_b32 s3, 0
	v_lshlrev_b64_e32 v[2:3], 3, v[0:1]
	s_mov_b32 s5, s3
	s_wait_xcnt 0x0
	s_sub_nc_u64 s[0:1], s[4:5], s[2:3]
	s_wait_kmcnt 0x0
	s_lshl_b32 s2, s8, 10
	s_mov_b32 s8, s3
	s_lshl_b64 s[4:5], s[2:3], 3
.LBB91_8:                               ; =>This Inner Loop Header: Depth=1
	v_add_nc_u64_e32 v[4:5], s[14:15], v[2:3]
	v_add_nc_u64_e32 v[6:7], s[12:13], v[2:3]
	;; [unrolled: 1-line block ×3, first 2 shown]
	global_load_b64 v[8:9], v[4:5], off
	global_load_b64 v[10:11], v[6:7], off
	s_wait_xcnt 0x1
	v_add_nc_u64_e32 v[4:5], s[10:11], v[2:3]
	v_cmp_le_i64_e32 vcc_lo, s[6:7], v[0:1]
	s_wait_xcnt 0x0
	v_add_nc_u64_e32 v[6:7], s[16:17], v[2:3]
	v_add_nc_u64_e32 v[2:3], s[4:5], v[2:3]
	s_or_b32 s8, vcc_lo, s8
	s_wait_loadcnt 0x1
	v_add_nc_u64_e32 v[8:9], s[0:1], v[8:9]
	s_wait_loadcnt 0x0
	global_store_b64 v[6:7], v[10:11], off
	global_store_b64 v[4:5], v[8:9], off
	s_wait_xcnt 0x0
	s_and_not1_b32 exec_lo, exec_lo, s8
	s_cbranch_execnz .LBB91_8
.LBB91_9:
	s_endpgm
	.section	.rodata,"a",@progbits
	.p2align	6, 0x0
	.amdhsa_kernel _ZN9rocsparseL35bsr2csr_block_dim_equals_one_kernelILj1024ElllEEvT2_S1_21rocsparse_index_base_PKT0_PKT1_PKS1_S2_PS3_PS6_PS1_
		.amdhsa_group_segment_fixed_size 0
		.amdhsa_private_segment_fixed_size 0
		.amdhsa_kernarg_size 336
		.amdhsa_user_sgpr_count 2
		.amdhsa_user_sgpr_dispatch_ptr 0
		.amdhsa_user_sgpr_queue_ptr 0
		.amdhsa_user_sgpr_kernarg_segment_ptr 1
		.amdhsa_user_sgpr_dispatch_id 0
		.amdhsa_user_sgpr_kernarg_preload_length 0
		.amdhsa_user_sgpr_kernarg_preload_offset 0
		.amdhsa_user_sgpr_private_segment_size 0
		.amdhsa_wavefront_size32 1
		.amdhsa_uses_dynamic_stack 0
		.amdhsa_enable_private_segment 0
		.amdhsa_system_sgpr_workgroup_id_x 1
		.amdhsa_system_sgpr_workgroup_id_y 0
		.amdhsa_system_sgpr_workgroup_id_z 0
		.amdhsa_system_sgpr_workgroup_info 0
		.amdhsa_system_vgpr_workitem_id 0
		.amdhsa_next_free_vgpr 12
		.amdhsa_next_free_sgpr 22
		.amdhsa_named_barrier_count 0
		.amdhsa_reserve_vcc 1
		.amdhsa_float_round_mode_32 0
		.amdhsa_float_round_mode_16_64 0
		.amdhsa_float_denorm_mode_32 3
		.amdhsa_float_denorm_mode_16_64 3
		.amdhsa_fp16_overflow 0
		.amdhsa_memory_ordered 1
		.amdhsa_forward_progress 1
		.amdhsa_inst_pref_size 5
		.amdhsa_round_robin_scheduling 0
		.amdhsa_exception_fp_ieee_invalid_op 0
		.amdhsa_exception_fp_denorm_src 0
		.amdhsa_exception_fp_ieee_div_zero 0
		.amdhsa_exception_fp_ieee_overflow 0
		.amdhsa_exception_fp_ieee_underflow 0
		.amdhsa_exception_fp_ieee_inexact 0
		.amdhsa_exception_int_div_zero 0
	.end_amdhsa_kernel
	.section	.text._ZN9rocsparseL35bsr2csr_block_dim_equals_one_kernelILj1024ElllEEvT2_S1_21rocsparse_index_base_PKT0_PKT1_PKS1_S2_PS3_PS6_PS1_,"axG",@progbits,_ZN9rocsparseL35bsr2csr_block_dim_equals_one_kernelILj1024ElllEEvT2_S1_21rocsparse_index_base_PKT0_PKT1_PKS1_S2_PS3_PS6_PS1_,comdat
.Lfunc_end91:
	.size	_ZN9rocsparseL35bsr2csr_block_dim_equals_one_kernelILj1024ElllEEvT2_S1_21rocsparse_index_base_PKT0_PKT1_PKS1_S2_PS3_PS6_PS1_, .Lfunc_end91-_ZN9rocsparseL35bsr2csr_block_dim_equals_one_kernelILj1024ElllEEvT2_S1_21rocsparse_index_base_PKT0_PKT1_PKS1_S2_PS3_PS6_PS1_
                                        ; -- End function
	.set _ZN9rocsparseL35bsr2csr_block_dim_equals_one_kernelILj1024ElllEEvT2_S1_21rocsparse_index_base_PKT0_PKT1_PKS1_S2_PS3_PS6_PS1_.num_vgpr, 12
	.set _ZN9rocsparseL35bsr2csr_block_dim_equals_one_kernelILj1024ElllEEvT2_S1_21rocsparse_index_base_PKT0_PKT1_PKS1_S2_PS3_PS6_PS1_.num_agpr, 0
	.set _ZN9rocsparseL35bsr2csr_block_dim_equals_one_kernelILj1024ElllEEvT2_S1_21rocsparse_index_base_PKT0_PKT1_PKS1_S2_PS3_PS6_PS1_.numbered_sgpr, 22
	.set _ZN9rocsparseL35bsr2csr_block_dim_equals_one_kernelILj1024ElllEEvT2_S1_21rocsparse_index_base_PKT0_PKT1_PKS1_S2_PS3_PS6_PS1_.num_named_barrier, 0
	.set _ZN9rocsparseL35bsr2csr_block_dim_equals_one_kernelILj1024ElllEEvT2_S1_21rocsparse_index_base_PKT0_PKT1_PKS1_S2_PS3_PS6_PS1_.private_seg_size, 0
	.set _ZN9rocsparseL35bsr2csr_block_dim_equals_one_kernelILj1024ElllEEvT2_S1_21rocsparse_index_base_PKT0_PKT1_PKS1_S2_PS3_PS6_PS1_.uses_vcc, 1
	.set _ZN9rocsparseL35bsr2csr_block_dim_equals_one_kernelILj1024ElllEEvT2_S1_21rocsparse_index_base_PKT0_PKT1_PKS1_S2_PS3_PS6_PS1_.uses_flat_scratch, 0
	.set _ZN9rocsparseL35bsr2csr_block_dim_equals_one_kernelILj1024ElllEEvT2_S1_21rocsparse_index_base_PKT0_PKT1_PKS1_S2_PS3_PS6_PS1_.has_dyn_sized_stack, 0
	.set _ZN9rocsparseL35bsr2csr_block_dim_equals_one_kernelILj1024ElllEEvT2_S1_21rocsparse_index_base_PKT0_PKT1_PKS1_S2_PS3_PS6_PS1_.has_recursion, 0
	.set _ZN9rocsparseL35bsr2csr_block_dim_equals_one_kernelILj1024ElllEEvT2_S1_21rocsparse_index_base_PKT0_PKT1_PKS1_S2_PS3_PS6_PS1_.has_indirect_call, 0
	.section	.AMDGPU.csdata,"",@progbits
; Kernel info:
; codeLenInByte = 540
; TotalNumSgprs: 24
; NumVgprs: 12
; ScratchSize: 0
; MemoryBound: 0
; FloatMode: 240
; IeeeMode: 1
; LDSByteSize: 0 bytes/workgroup (compile time only)
; SGPRBlocks: 0
; VGPRBlocks: 0
; NumSGPRsForWavesPerEU: 24
; NumVGPRsForWavesPerEU: 12
; NamedBarCnt: 0
; Occupancy: 16
; WaveLimiterHint : 0
; COMPUTE_PGM_RSRC2:SCRATCH_EN: 0
; COMPUTE_PGM_RSRC2:USER_SGPR: 2
; COMPUTE_PGM_RSRC2:TRAP_HANDLER: 0
; COMPUTE_PGM_RSRC2:TGID_X_EN: 1
; COMPUTE_PGM_RSRC2:TGID_Y_EN: 0
; COMPUTE_PGM_RSRC2:TGID_Z_EN: 0
; COMPUTE_PGM_RSRC2:TIDIG_COMP_CNT: 0
	.section	.text._ZN9rocsparseL32bsr2csr_block_per_row_2_7_kernelILj256ELj2ElllEEv20rocsparse_direction_T3_S2_21rocsparse_index_base_PKT1_PKT2_PKS2_S2_S3_PS4_PS7_PS2_,"axG",@progbits,_ZN9rocsparseL32bsr2csr_block_per_row_2_7_kernelILj256ELj2ElllEEv20rocsparse_direction_T3_S2_21rocsparse_index_base_PKT1_PKT2_PKS2_S2_S3_PS4_PS7_PS2_,comdat
	.globl	_ZN9rocsparseL32bsr2csr_block_per_row_2_7_kernelILj256ELj2ElllEEv20rocsparse_direction_T3_S2_21rocsparse_index_base_PKT1_PKT2_PKS2_S2_S3_PS4_PS7_PS2_ ; -- Begin function _ZN9rocsparseL32bsr2csr_block_per_row_2_7_kernelILj256ELj2ElllEEv20rocsparse_direction_T3_S2_21rocsparse_index_base_PKT1_PKT2_PKS2_S2_S3_PS4_PS7_PS2_
	.p2align	8
	.type	_ZN9rocsparseL32bsr2csr_block_per_row_2_7_kernelILj256ELj2ElllEEv20rocsparse_direction_T3_S2_21rocsparse_index_base_PKT1_PKT2_PKS2_S2_S3_PS4_PS7_PS2_,@function
_ZN9rocsparseL32bsr2csr_block_per_row_2_7_kernelILj256ELj2ElllEEv20rocsparse_direction_T3_S2_21rocsparse_index_base_PKT1_PKT2_PKS2_S2_S3_PS4_PS7_PS2_: ; @_ZN9rocsparseL32bsr2csr_block_per_row_2_7_kernelILj256ELj2ElllEEv20rocsparse_direction_T3_S2_21rocsparse_index_base_PKT1_PKT2_PKS2_S2_S3_PS4_PS7_PS2_
; %bb.0:
	s_load_b64 s[4:5], s[0:1], 0x28
	s_bfe_u32 s2, ttmp6, 0x4000c
	s_and_b32 s3, ttmp6, 15
	s_add_co_i32 s2, s2, 1
	s_getreg_b32 s6, hwreg(HW_REG_IB_STS2, 6, 4)
	s_mul_i32 s2, ttmp9, s2
	s_clause 0x1
	s_load_b32 s8, s[0:1], 0x40
	s_load_b64 s[12:13], s[0:1], 0x50
	s_add_co_i32 s2, s3, s2
	s_cmp_eq_u32 s6, 0
	s_mov_b32 s3, 0
	s_cselect_b32 s10, ttmp9, s2
	s_mov_b32 s11, s3
	v_or_b32_e32 v1, s10, v0
	s_lshl_b64 s[6:7], s[10:11], 3
	s_mov_b32 s9, s3
	s_mov_b32 s2, exec_lo
	s_wait_kmcnt 0x0
	s_add_nc_u64 s[14:15], s[4:5], s[6:7]
	s_load_b128 s[4:7], s[14:15], 0x0
	v_cmpx_eq_u32_e32 0, v1
	s_cbranch_execz .LBB92_2
; %bb.1:
	v_mov_b64_e32 v[2:3], s[8:9]
	v_mov_b32_e32 v1, 0
	global_store_b64 v1, v[2:3], s[12:13]
.LBB92_2:
	s_wait_xcnt 0x0
	s_or_b32 exec_lo, exec_lo, s2
	s_load_b32 s2, s[0:1], 0x18
	v_dual_mov_b32 v3, 0 :: v_dual_bitop2_b32 v2, 1, v0 bitop3:0x40
	v_lshrrev_b32_e32 v6, 1, v0
	s_lshl_b64 s[10:11], s[10:11], 4
	s_delay_alu instid0(SALU_CYCLE_1) | instskip(NEXT) | instid1(VALU_DEP_2)
	s_add_nc_u64 s[10:11], s[12:13], s[10:11]
	v_mov_b32_e32 v7, v3
	s_wait_kmcnt 0x0
	s_sub_nc_u64 s[14:15], s[4:5], s[2:3]
	s_sub_nc_u64 s[6:7], s[6:7], s[2:3]
	s_delay_alu instid0(VALU_DEP_1) | instskip(SKIP_3) | instid1(SALU_CYCLE_1)
	v_add_nc_u64_e32 v[0:1], s[14:15], v[6:7]
	s_sub_nc_u64 s[16:17], s[6:7], s[14:15]
	s_lshl_b64 s[14:15], s[14:15], 2
	s_lshl_b64 s[16:17], s[16:17], 1
	v_mul_u64_e32 v[4:5], s[16:17], v[2:3]
	s_add_nc_u64 s[16:17], s[16:17], s[8:9]
	s_delay_alu instid0(SALU_CYCLE_1)
	s_add_nc_u64 s[14:15], s[16:17], s[14:15]
	s_delay_alu instid0(VALU_DEP_1) | instid1(SALU_CYCLE_1)
	v_add_nc_u64_e32 v[8:9], s[14:15], v[4:5]
	global_store_b64 v2, v[8:9], s[10:11] offset:8 scale_offset
	s_wait_xcnt 0x0
	s_mov_b32 s10, exec_lo
	v_cmpx_gt_i64_e64 s[6:7], v[0:1]
	s_cbranch_execz .LBB92_5
; %bb.3:
	s_clause 0x2
	s_load_b64 s[10:11], s[0:1], 0x30
	s_load_b64 s[12:13], s[0:1], 0x48
	s_load_b32 s16, s[0:1], 0x0
	v_lshl_add_u64 v[4:5], s[4:5], 2, v[4:5]
	v_dual_mov_b32 v7, v3 :: v_dual_lshlrev_b32 v6, 1, v6
	s_clause 0x1
	s_load_b64 s[4:5], s[0:1], 0x20
	s_load_b64 s[14:15], s[0:1], 0x58
	s_delay_alu instid0(VALU_DEP_1)
	v_add_nc_u64_e32 v[4:5], v[4:5], v[6:7]
	v_lshlrev_b64_e32 v[6:7], 5, v[0:1]
	s_wait_kmcnt 0x0
	v_lshl_add_u64 v[12:13], v[0:1], 3, s[10:11]
	s_cmp_eq_u32 s16, 0
	s_cselect_b32 vcc_lo, -1, 0
	s_lshl_b64 s[0:1], s[2:3], 2
	s_delay_alu instid0(VALU_DEP_2) | instskip(SKIP_2) | instid1(VALU_DEP_1)
	v_add_nc_u64_e32 v[6:7], s[4:5], v[6:7]
	v_sub_nc_u64_e64 v[4:5], v[4:5], s[0:1]
	s_mov_b32 s1, 0
	v_lshl_add_u64 v[10:11], v[4:5], 3, 8
	v_dual_mov_b32 v5, v3 :: v_dual_lshlrev_b32 v4, 3, v2
	v_lshlrev_b32_e32 v2, 4, v2
	s_delay_alu instid0(VALU_DEP_3)
	v_add_nc_u64_e32 v[8:9], s[12:13], v[10:11]
	v_add_nc_u64_e32 v[10:11], s[14:15], v[10:11]
.LBB92_4:                               ; =>This Inner Loop Header: Depth=1
	global_load_b64 v[18:19], v[12:13], off
	v_add_nc_u64_e32 v[14:15], v[6:7], v[2:3]
	v_add_nc_u64_e32 v[16:17], v[6:7], v[4:5]
	;; [unrolled: 1-line block ×3, first 2 shown]
	s_wait_xcnt 0x0
	v_add_nc_u64_e32 v[12:13], 0x400, v[12:13]
	v_add_nc_u64_e32 v[6:7], 0x1000, v[6:7]
	v_add_nc_u64_e32 v[20:21], 8, v[14:15]
	v_add_nc_u64_e32 v[22:23], 16, v[16:17]
	v_dual_cndmask_b32 v25, v17, v15 :: v_dual_cndmask_b32 v24, v16, v14
	v_cmp_le_i64_e64 s0, s[6:7], v[0:1]
	s_delay_alu instid0(VALU_DEP_3)
	v_dual_cndmask_b32 v21, v23, v21 :: v_dual_cndmask_b32 v20, v22, v20
	global_load_b64 v[14:15], v[24:25], off
	global_load_b64 v[16:17], v[20:21], off
	s_or_b32 s1, s0, s1
	s_wait_loadcnt 0x2
	v_sub_nc_u64_e64 v[18:19], v[18:19], s[2:3]
	s_delay_alu instid0(VALU_DEP_1) | instskip(SKIP_1) | instid1(VALU_DEP_1)
	v_lshl_add_u64 v[18:19], v[18:19], 1, s[8:9]
	s_wait_xcnt 0x0
	v_add_nc_u64_e32 v[20:21], 1, v[18:19]
	global_store_b128 v[10:11], v[18:21], off offset:-8
	s_wait_loadcnt 0x0
	global_store_b128 v[8:9], v[14:17], off offset:-8
	s_wait_xcnt 0x0
	v_add_nc_u64_e32 v[8:9], 0x800, v[8:9]
	v_add_nc_u64_e32 v[10:11], 0x800, v[10:11]
	s_and_not1_b32 exec_lo, exec_lo, s1
	s_cbranch_execnz .LBB92_4
.LBB92_5:
	s_endpgm
	.section	.rodata,"a",@progbits
	.p2align	6, 0x0
	.amdhsa_kernel _ZN9rocsparseL32bsr2csr_block_per_row_2_7_kernelILj256ELj2ElllEEv20rocsparse_direction_T3_S2_21rocsparse_index_base_PKT1_PKT2_PKS2_S2_S3_PS4_PS7_PS2_
		.amdhsa_group_segment_fixed_size 0
		.amdhsa_private_segment_fixed_size 0
		.amdhsa_kernarg_size 96
		.amdhsa_user_sgpr_count 2
		.amdhsa_user_sgpr_dispatch_ptr 0
		.amdhsa_user_sgpr_queue_ptr 0
		.amdhsa_user_sgpr_kernarg_segment_ptr 1
		.amdhsa_user_sgpr_dispatch_id 0
		.amdhsa_user_sgpr_kernarg_preload_length 0
		.amdhsa_user_sgpr_kernarg_preload_offset 0
		.amdhsa_user_sgpr_private_segment_size 0
		.amdhsa_wavefront_size32 1
		.amdhsa_uses_dynamic_stack 0
		.amdhsa_enable_private_segment 0
		.amdhsa_system_sgpr_workgroup_id_x 1
		.amdhsa_system_sgpr_workgroup_id_y 0
		.amdhsa_system_sgpr_workgroup_id_z 0
		.amdhsa_system_sgpr_workgroup_info 0
		.amdhsa_system_vgpr_workitem_id 0
		.amdhsa_next_free_vgpr 26
		.amdhsa_next_free_sgpr 18
		.amdhsa_named_barrier_count 0
		.amdhsa_reserve_vcc 1
		.amdhsa_float_round_mode_32 0
		.amdhsa_float_round_mode_16_64 0
		.amdhsa_float_denorm_mode_32 3
		.amdhsa_float_denorm_mode_16_64 3
		.amdhsa_fp16_overflow 0
		.amdhsa_memory_ordered 1
		.amdhsa_forward_progress 1
		.amdhsa_inst_pref_size 5
		.amdhsa_round_robin_scheduling 0
		.amdhsa_exception_fp_ieee_invalid_op 0
		.amdhsa_exception_fp_denorm_src 0
		.amdhsa_exception_fp_ieee_div_zero 0
		.amdhsa_exception_fp_ieee_overflow 0
		.amdhsa_exception_fp_ieee_underflow 0
		.amdhsa_exception_fp_ieee_inexact 0
		.amdhsa_exception_int_div_zero 0
	.end_amdhsa_kernel
	.section	.text._ZN9rocsparseL32bsr2csr_block_per_row_2_7_kernelILj256ELj2ElllEEv20rocsparse_direction_T3_S2_21rocsparse_index_base_PKT1_PKT2_PKS2_S2_S3_PS4_PS7_PS2_,"axG",@progbits,_ZN9rocsparseL32bsr2csr_block_per_row_2_7_kernelILj256ELj2ElllEEv20rocsparse_direction_T3_S2_21rocsparse_index_base_PKT1_PKT2_PKS2_S2_S3_PS4_PS7_PS2_,comdat
.Lfunc_end92:
	.size	_ZN9rocsparseL32bsr2csr_block_per_row_2_7_kernelILj256ELj2ElllEEv20rocsparse_direction_T3_S2_21rocsparse_index_base_PKT1_PKT2_PKS2_S2_S3_PS4_PS7_PS2_, .Lfunc_end92-_ZN9rocsparseL32bsr2csr_block_per_row_2_7_kernelILj256ELj2ElllEEv20rocsparse_direction_T3_S2_21rocsparse_index_base_PKT1_PKT2_PKS2_S2_S3_PS4_PS7_PS2_
                                        ; -- End function
	.set _ZN9rocsparseL32bsr2csr_block_per_row_2_7_kernelILj256ELj2ElllEEv20rocsparse_direction_T3_S2_21rocsparse_index_base_PKT1_PKT2_PKS2_S2_S3_PS4_PS7_PS2_.num_vgpr, 26
	.set _ZN9rocsparseL32bsr2csr_block_per_row_2_7_kernelILj256ELj2ElllEEv20rocsparse_direction_T3_S2_21rocsparse_index_base_PKT1_PKT2_PKS2_S2_S3_PS4_PS7_PS2_.num_agpr, 0
	.set _ZN9rocsparseL32bsr2csr_block_per_row_2_7_kernelILj256ELj2ElllEEv20rocsparse_direction_T3_S2_21rocsparse_index_base_PKT1_PKT2_PKS2_S2_S3_PS4_PS7_PS2_.numbered_sgpr, 18
	.set _ZN9rocsparseL32bsr2csr_block_per_row_2_7_kernelILj256ELj2ElllEEv20rocsparse_direction_T3_S2_21rocsparse_index_base_PKT1_PKT2_PKS2_S2_S3_PS4_PS7_PS2_.num_named_barrier, 0
	.set _ZN9rocsparseL32bsr2csr_block_per_row_2_7_kernelILj256ELj2ElllEEv20rocsparse_direction_T3_S2_21rocsparse_index_base_PKT1_PKT2_PKS2_S2_S3_PS4_PS7_PS2_.private_seg_size, 0
	.set _ZN9rocsparseL32bsr2csr_block_per_row_2_7_kernelILj256ELj2ElllEEv20rocsparse_direction_T3_S2_21rocsparse_index_base_PKT1_PKT2_PKS2_S2_S3_PS4_PS7_PS2_.uses_vcc, 1
	.set _ZN9rocsparseL32bsr2csr_block_per_row_2_7_kernelILj256ELj2ElllEEv20rocsparse_direction_T3_S2_21rocsparse_index_base_PKT1_PKT2_PKS2_S2_S3_PS4_PS7_PS2_.uses_flat_scratch, 0
	.set _ZN9rocsparseL32bsr2csr_block_per_row_2_7_kernelILj256ELj2ElllEEv20rocsparse_direction_T3_S2_21rocsparse_index_base_PKT1_PKT2_PKS2_S2_S3_PS4_PS7_PS2_.has_dyn_sized_stack, 0
	.set _ZN9rocsparseL32bsr2csr_block_per_row_2_7_kernelILj256ELj2ElllEEv20rocsparse_direction_T3_S2_21rocsparse_index_base_PKT1_PKT2_PKS2_S2_S3_PS4_PS7_PS2_.has_recursion, 0
	.set _ZN9rocsparseL32bsr2csr_block_per_row_2_7_kernelILj256ELj2ElllEEv20rocsparse_direction_T3_S2_21rocsparse_index_base_PKT1_PKT2_PKS2_S2_S3_PS4_PS7_PS2_.has_indirect_call, 0
	.section	.AMDGPU.csdata,"",@progbits
; Kernel info:
; codeLenInByte = 624
; TotalNumSgprs: 20
; NumVgprs: 26
; ScratchSize: 0
; MemoryBound: 0
; FloatMode: 240
; IeeeMode: 1
; LDSByteSize: 0 bytes/workgroup (compile time only)
; SGPRBlocks: 0
; VGPRBlocks: 1
; NumSGPRsForWavesPerEU: 20
; NumVGPRsForWavesPerEU: 26
; NamedBarCnt: 0
; Occupancy: 16
; WaveLimiterHint : 0
; COMPUTE_PGM_RSRC2:SCRATCH_EN: 0
; COMPUTE_PGM_RSRC2:USER_SGPR: 2
; COMPUTE_PGM_RSRC2:TRAP_HANDLER: 0
; COMPUTE_PGM_RSRC2:TGID_X_EN: 1
; COMPUTE_PGM_RSRC2:TGID_Y_EN: 0
; COMPUTE_PGM_RSRC2:TGID_Z_EN: 0
; COMPUTE_PGM_RSRC2:TIDIG_COMP_CNT: 0
	.section	.text._ZN9rocsparseL32bsr2csr_block_per_row_2_7_kernelILj256ELj3ElllEEv20rocsparse_direction_T3_S2_21rocsparse_index_base_PKT1_PKT2_PKS2_S2_S3_PS4_PS7_PS2_,"axG",@progbits,_ZN9rocsparseL32bsr2csr_block_per_row_2_7_kernelILj256ELj3ElllEEv20rocsparse_direction_T3_S2_21rocsparse_index_base_PKT1_PKT2_PKS2_S2_S3_PS4_PS7_PS2_,comdat
	.globl	_ZN9rocsparseL32bsr2csr_block_per_row_2_7_kernelILj256ELj3ElllEEv20rocsparse_direction_T3_S2_21rocsparse_index_base_PKT1_PKT2_PKS2_S2_S3_PS4_PS7_PS2_ ; -- Begin function _ZN9rocsparseL32bsr2csr_block_per_row_2_7_kernelILj256ELj3ElllEEv20rocsparse_direction_T3_S2_21rocsparse_index_base_PKT1_PKT2_PKS2_S2_S3_PS4_PS7_PS2_
	.p2align	8
	.type	_ZN9rocsparseL32bsr2csr_block_per_row_2_7_kernelILj256ELj3ElllEEv20rocsparse_direction_T3_S2_21rocsparse_index_base_PKT1_PKT2_PKS2_S2_S3_PS4_PS7_PS2_,@function
_ZN9rocsparseL32bsr2csr_block_per_row_2_7_kernelILj256ELj3ElllEEv20rocsparse_direction_T3_S2_21rocsparse_index_base_PKT1_PKT2_PKS2_S2_S3_PS4_PS7_PS2_: ; @_ZN9rocsparseL32bsr2csr_block_per_row_2_7_kernelILj256ELj3ElllEEv20rocsparse_direction_T3_S2_21rocsparse_index_base_PKT1_PKT2_PKS2_S2_S3_PS4_PS7_PS2_
; %bb.0:
	s_clause 0x1
	s_load_b32 s2, s[0:1], 0x40
	s_load_b64 s[10:11], s[0:1], 0x50
	s_bfe_u32 s3, ttmp6, 0x4000c
	s_and_b32 s4, ttmp6, 15
	s_add_co_i32 s3, s3, 1
	s_getreg_b32 s5, hwreg(HW_REG_IB_STS2, 6, 4)
	s_mul_i32 s3, ttmp9, s3
	s_mov_b32 s13, 0
	s_add_co_i32 s4, s4, s3
	s_cmp_eq_u32 s5, 0
	s_mov_b32 s3, exec_lo
	s_cselect_b32 s12, ttmp9, s4
	s_delay_alu instid0(SALU_CYCLE_1) | instskip(NEXT) | instid1(VALU_DEP_1)
	v_or_b32_e32 v1, s12, v0
	v_cmpx_eq_u32_e32 0, v1
	s_cbranch_execz .LBB93_2
; %bb.1:
	s_wait_kmcnt 0x0
	v_dual_mov_b32 v2, s2 :: v_dual_mov_b32 v3, 0
	global_store_b64 v3, v[2:3], s[10:11]
.LBB93_2:
	s_wait_xcnt 0x0
	s_or_b32 exec_lo, exec_lo, s3
	v_and_b32_e32 v4, 3, v0
	s_mov_b32 s3, exec_lo
	s_delay_alu instid0(VALU_DEP_1)
	v_cmpx_ne_u32_e32 3, v4
	s_cbranch_execz .LBB93_6
; %bb.3:
	s_clause 0x1
	s_load_b64 s[4:5], s[0:1], 0x28
	s_load_b32 s8, s[0:1], 0x18
	s_lshl_b64 s[6:7], s[12:13], 3
	s_mov_b32 s9, 0
	v_dual_mov_b32 v5, 0 :: v_dual_lshrrev_b32 v2, 2, v0
	s_mov_b32 s3, s9
	s_mul_u64 s[12:13], s[12:13], 24
	s_delay_alu instid0(VALU_DEP_1)
	v_mov_b32_e32 v3, v5
	s_wait_kmcnt 0x0
	s_add_nc_u64 s[10:11], s[10:11], s[12:13]
	s_add_nc_u64 s[14:15], s[4:5], s[6:7]
	s_load_b128 s[4:7], s[14:15], 0x0
	s_wait_kmcnt 0x0
	s_sub_nc_u64 s[14:15], s[4:5], s[8:9]
	s_sub_nc_u64 s[6:7], s[6:7], s[8:9]
	v_add_nc_u64_e32 v[0:1], s[14:15], v[2:3]
	s_sub_nc_u64 s[16:17], s[6:7], s[14:15]
	s_mul_u64 s[14:15], s[14:15], 9
	s_mul_u64 s[16:17], s[16:17], 3
	s_delay_alu instid0(SALU_CYCLE_1) | instskip(SKIP_1) | instid1(VALU_DEP_2)
	v_mul_u64_e32 v[6:7], s[16:17], v[4:5]
	s_add_nc_u64 s[16:17], s[16:17], s[2:3]
	v_cmp_gt_i64_e32 vcc_lo, s[6:7], v[0:1]
	s_add_nc_u64 s[14:15], s[16:17], s[14:15]
	s_delay_alu instid0(VALU_DEP_2) | instid1(SALU_CYCLE_1)
	v_add_nc_u64_e32 v[8:9], s[14:15], v[6:7]
	global_store_b64 v4, v[8:9], s[10:11] offset:8 scale_offset
	s_wait_xcnt 0x0
	s_and_b32 exec_lo, exec_lo, vcc_lo
	s_cbranch_execz .LBB93_6
; %bb.4:
	v_mad_nc_u64_u32 v[6:7], s4, 9, v[6:7]
	s_clause 0x3
	s_load_b64 s[10:11], s[0:1], 0x30
	s_load_b64 s[12:13], s[0:1], 0x48
	s_load_b32 s16, s[0:1], 0x0
	s_load_b64 s[14:15], s[0:1], 0x58
	s_delay_alu instid0(VALU_DEP_1)
	v_mad_u32 v7, s5, 9, v7
	s_load_b64 s[4:5], s[0:1], 0x20
	s_wait_xcnt 0x0
	s_mul_u64 s[0:1], s[8:9], 9
	s_wait_kmcnt 0x0
	s_cmp_eq_u32 s16, 0
	s_cselect_b32 vcc_lo, -1, 0
	s_delay_alu instid0(VALU_DEP_1) | instskip(SKIP_1) | instid1(VALU_DEP_2)
	v_mad_nc_u64_u32 v[6:7], v2, 3, v[6:7]
	v_mad_nc_u64_u32 v[2:3], 0x48, v0, s[4:5]
	v_sub_nc_u64_e64 v[8:9], v[6:7], s[0:1]
	v_dual_mov_b32 v7, v5 :: v_dual_lshlrev_b32 v6, 3, v4
	v_mul_hi_u32_u24_e32 v5, 24, v4
	v_mul_u32_u24_e32 v4, 24, v4
	s_mov_b32 s1, s9
	s_delay_alu instid0(VALU_DEP_4) | instskip(SKIP_2) | instid1(VALU_DEP_3)
	v_lshl_add_u64 v[12:13], v[8:9], 3, 8
	v_lshl_add_u64 v[8:9], v[0:1], 3, s[10:11]
	v_mad_u32 v3, 0x48, v1, v3
	v_add_nc_u64_e32 v[10:11], s[12:13], v[12:13]
	v_add_nc_u64_e32 v[12:13], s[14:15], v[12:13]
.LBB93_5:                               ; =>This Inner Loop Header: Depth=1
	global_load_b64 v[18:19], v[8:9], off
	v_add_nc_u64_e32 v[14:15], v[2:3], v[6:7]
	v_add_nc_u64_e32 v[16:17], v[2:3], v[4:5]
	;; [unrolled: 1-line block ×3, first 2 shown]
	s_wait_xcnt 0x0
	v_add_nc_u64_e32 v[8:9], 0x200, v[8:9]
	v_add_nc_u64_e32 v[2:3], 0x1200, v[2:3]
	;; [unrolled: 1-line block ×4, first 2 shown]
	v_dual_cndmask_b32 v21, v15, v17 :: v_dual_cndmask_b32 v20, v14, v16
	v_add_nc_u64_e32 v[16:17], 16, v[16:17]
	v_add_nc_u64_e32 v[26:27], 48, v[14:15]
	v_cmp_le_i64_e64 s0, s[6:7], v[0:1]
	global_load_b64 v[14:15], v[20:21], off
	s_wait_xcnt 0x0
	v_dual_cndmask_b32 v21, v25, v23 :: v_dual_cndmask_b32 v20, v24, v22
	v_dual_cndmask_b32 v23, v27, v17 :: v_dual_cndmask_b32 v22, v26, v16
	global_load_b64 v[16:17], v[20:21], off
	global_load_b64 v[24:25], v[22:23], off
	s_or_b32 s1, s0, s1
	s_wait_loadcnt 0x1
	global_store_b128 v[10:11], v[14:17], off offset:-8
	s_wait_loadcnt 0x0
	global_store_b64 v[10:11], v[24:25], off offset:8
	s_wait_xcnt 0x3
	v_sub_nc_u64_e64 v[20:21], v[18:19], s[8:9]
	s_wait_xcnt 0x0
	v_add_nc_u64_e32 v[10:11], 0x600, v[10:11]
	s_delay_alu instid0(VALU_DEP_2) | instskip(NEXT) | instid1(VALU_DEP_1)
	v_mad_nc_u64_u32 v[18:19], v20, 3, s[2:3]
	v_mad_u32 v19, v21, 3, v19
	s_delay_alu instid0(VALU_DEP_1)
	v_add_nc_u64_e32 v[20:21], 1, v[18:19]
	v_add_nc_u64_e32 v[22:23], 2, v[18:19]
	s_clause 0x1
	global_store_b128 v[12:13], v[18:21], off offset:-8
	global_store_b64 v[12:13], v[22:23], off offset:8
	s_wait_xcnt 0x0
	v_add_nc_u64_e32 v[12:13], 0x600, v[12:13]
	s_and_not1_b32 exec_lo, exec_lo, s1
	s_cbranch_execnz .LBB93_5
.LBB93_6:
	s_endpgm
	.section	.rodata,"a",@progbits
	.p2align	6, 0x0
	.amdhsa_kernel _ZN9rocsparseL32bsr2csr_block_per_row_2_7_kernelILj256ELj3ElllEEv20rocsparse_direction_T3_S2_21rocsparse_index_base_PKT1_PKT2_PKS2_S2_S3_PS4_PS7_PS2_
		.amdhsa_group_segment_fixed_size 0
		.amdhsa_private_segment_fixed_size 0
		.amdhsa_kernarg_size 96
		.amdhsa_user_sgpr_count 2
		.amdhsa_user_sgpr_dispatch_ptr 0
		.amdhsa_user_sgpr_queue_ptr 0
		.amdhsa_user_sgpr_kernarg_segment_ptr 1
		.amdhsa_user_sgpr_dispatch_id 0
		.amdhsa_user_sgpr_kernarg_preload_length 0
		.amdhsa_user_sgpr_kernarg_preload_offset 0
		.amdhsa_user_sgpr_private_segment_size 0
		.amdhsa_wavefront_size32 1
		.amdhsa_uses_dynamic_stack 0
		.amdhsa_enable_private_segment 0
		.amdhsa_system_sgpr_workgroup_id_x 1
		.amdhsa_system_sgpr_workgroup_id_y 0
		.amdhsa_system_sgpr_workgroup_id_z 0
		.amdhsa_system_sgpr_workgroup_info 0
		.amdhsa_system_vgpr_workitem_id 0
		.amdhsa_next_free_vgpr 28
		.amdhsa_next_free_sgpr 18
		.amdhsa_named_barrier_count 0
		.amdhsa_reserve_vcc 1
		.amdhsa_float_round_mode_32 0
		.amdhsa_float_round_mode_16_64 0
		.amdhsa_float_denorm_mode_32 3
		.amdhsa_float_denorm_mode_16_64 3
		.amdhsa_fp16_overflow 0
		.amdhsa_memory_ordered 1
		.amdhsa_forward_progress 1
		.amdhsa_inst_pref_size 6
		.amdhsa_round_robin_scheduling 0
		.amdhsa_exception_fp_ieee_invalid_op 0
		.amdhsa_exception_fp_denorm_src 0
		.amdhsa_exception_fp_ieee_div_zero 0
		.amdhsa_exception_fp_ieee_overflow 0
		.amdhsa_exception_fp_ieee_underflow 0
		.amdhsa_exception_fp_ieee_inexact 0
		.amdhsa_exception_int_div_zero 0
	.end_amdhsa_kernel
	.section	.text._ZN9rocsparseL32bsr2csr_block_per_row_2_7_kernelILj256ELj3ElllEEv20rocsparse_direction_T3_S2_21rocsparse_index_base_PKT1_PKT2_PKS2_S2_S3_PS4_PS7_PS2_,"axG",@progbits,_ZN9rocsparseL32bsr2csr_block_per_row_2_7_kernelILj256ELj3ElllEEv20rocsparse_direction_T3_S2_21rocsparse_index_base_PKT1_PKT2_PKS2_S2_S3_PS4_PS7_PS2_,comdat
.Lfunc_end93:
	.size	_ZN9rocsparseL32bsr2csr_block_per_row_2_7_kernelILj256ELj3ElllEEv20rocsparse_direction_T3_S2_21rocsparse_index_base_PKT1_PKT2_PKS2_S2_S3_PS4_PS7_PS2_, .Lfunc_end93-_ZN9rocsparseL32bsr2csr_block_per_row_2_7_kernelILj256ELj3ElllEEv20rocsparse_direction_T3_S2_21rocsparse_index_base_PKT1_PKT2_PKS2_S2_S3_PS4_PS7_PS2_
                                        ; -- End function
	.set _ZN9rocsparseL32bsr2csr_block_per_row_2_7_kernelILj256ELj3ElllEEv20rocsparse_direction_T3_S2_21rocsparse_index_base_PKT1_PKT2_PKS2_S2_S3_PS4_PS7_PS2_.num_vgpr, 28
	.set _ZN9rocsparseL32bsr2csr_block_per_row_2_7_kernelILj256ELj3ElllEEv20rocsparse_direction_T3_S2_21rocsparse_index_base_PKT1_PKT2_PKS2_S2_S3_PS4_PS7_PS2_.num_agpr, 0
	.set _ZN9rocsparseL32bsr2csr_block_per_row_2_7_kernelILj256ELj3ElllEEv20rocsparse_direction_T3_S2_21rocsparse_index_base_PKT1_PKT2_PKS2_S2_S3_PS4_PS7_PS2_.numbered_sgpr, 18
	.set _ZN9rocsparseL32bsr2csr_block_per_row_2_7_kernelILj256ELj3ElllEEv20rocsparse_direction_T3_S2_21rocsparse_index_base_PKT1_PKT2_PKS2_S2_S3_PS4_PS7_PS2_.num_named_barrier, 0
	.set _ZN9rocsparseL32bsr2csr_block_per_row_2_7_kernelILj256ELj3ElllEEv20rocsparse_direction_T3_S2_21rocsparse_index_base_PKT1_PKT2_PKS2_S2_S3_PS4_PS7_PS2_.private_seg_size, 0
	.set _ZN9rocsparseL32bsr2csr_block_per_row_2_7_kernelILj256ELj3ElllEEv20rocsparse_direction_T3_S2_21rocsparse_index_base_PKT1_PKT2_PKS2_S2_S3_PS4_PS7_PS2_.uses_vcc, 1
	.set _ZN9rocsparseL32bsr2csr_block_per_row_2_7_kernelILj256ELj3ElllEEv20rocsparse_direction_T3_S2_21rocsparse_index_base_PKT1_PKT2_PKS2_S2_S3_PS4_PS7_PS2_.uses_flat_scratch, 0
	.set _ZN9rocsparseL32bsr2csr_block_per_row_2_7_kernelILj256ELj3ElllEEv20rocsparse_direction_T3_S2_21rocsparse_index_base_PKT1_PKT2_PKS2_S2_S3_PS4_PS7_PS2_.has_dyn_sized_stack, 0
	.set _ZN9rocsparseL32bsr2csr_block_per_row_2_7_kernelILj256ELj3ElllEEv20rocsparse_direction_T3_S2_21rocsparse_index_base_PKT1_PKT2_PKS2_S2_S3_PS4_PS7_PS2_.has_recursion, 0
	.set _ZN9rocsparseL32bsr2csr_block_per_row_2_7_kernelILj256ELj3ElllEEv20rocsparse_direction_T3_S2_21rocsparse_index_base_PKT1_PKT2_PKS2_S2_S3_PS4_PS7_PS2_.has_indirect_call, 0
	.section	.AMDGPU.csdata,"",@progbits
; Kernel info:
; codeLenInByte = 736
; TotalNumSgprs: 20
; NumVgprs: 28
; ScratchSize: 0
; MemoryBound: 0
; FloatMode: 240
; IeeeMode: 1
; LDSByteSize: 0 bytes/workgroup (compile time only)
; SGPRBlocks: 0
; VGPRBlocks: 1
; NumSGPRsForWavesPerEU: 20
; NumVGPRsForWavesPerEU: 28
; NamedBarCnt: 0
; Occupancy: 16
; WaveLimiterHint : 0
; COMPUTE_PGM_RSRC2:SCRATCH_EN: 0
; COMPUTE_PGM_RSRC2:USER_SGPR: 2
; COMPUTE_PGM_RSRC2:TRAP_HANDLER: 0
; COMPUTE_PGM_RSRC2:TGID_X_EN: 1
; COMPUTE_PGM_RSRC2:TGID_Y_EN: 0
; COMPUTE_PGM_RSRC2:TGID_Z_EN: 0
; COMPUTE_PGM_RSRC2:TIDIG_COMP_CNT: 0
	.section	.text._ZN9rocsparseL32bsr2csr_block_per_row_2_7_kernelILj256ELj4ElllEEv20rocsparse_direction_T3_S2_21rocsparse_index_base_PKT1_PKT2_PKS2_S2_S3_PS4_PS7_PS2_,"axG",@progbits,_ZN9rocsparseL32bsr2csr_block_per_row_2_7_kernelILj256ELj4ElllEEv20rocsparse_direction_T3_S2_21rocsparse_index_base_PKT1_PKT2_PKS2_S2_S3_PS4_PS7_PS2_,comdat
	.globl	_ZN9rocsparseL32bsr2csr_block_per_row_2_7_kernelILj256ELj4ElllEEv20rocsparse_direction_T3_S2_21rocsparse_index_base_PKT1_PKT2_PKS2_S2_S3_PS4_PS7_PS2_ ; -- Begin function _ZN9rocsparseL32bsr2csr_block_per_row_2_7_kernelILj256ELj4ElllEEv20rocsparse_direction_T3_S2_21rocsparse_index_base_PKT1_PKT2_PKS2_S2_S3_PS4_PS7_PS2_
	.p2align	8
	.type	_ZN9rocsparseL32bsr2csr_block_per_row_2_7_kernelILj256ELj4ElllEEv20rocsparse_direction_T3_S2_21rocsparse_index_base_PKT1_PKT2_PKS2_S2_S3_PS4_PS7_PS2_,@function
_ZN9rocsparseL32bsr2csr_block_per_row_2_7_kernelILj256ELj4ElllEEv20rocsparse_direction_T3_S2_21rocsparse_index_base_PKT1_PKT2_PKS2_S2_S3_PS4_PS7_PS2_: ; @_ZN9rocsparseL32bsr2csr_block_per_row_2_7_kernelILj256ELj4ElllEEv20rocsparse_direction_T3_S2_21rocsparse_index_base_PKT1_PKT2_PKS2_S2_S3_PS4_PS7_PS2_
; %bb.0:
	s_load_b64 s[4:5], s[0:1], 0x28
	s_bfe_u32 s2, ttmp6, 0x4000c
	s_and_b32 s3, ttmp6, 15
	s_add_co_i32 s2, s2, 1
	s_getreg_b32 s6, hwreg(HW_REG_IB_STS2, 6, 4)
	s_mul_i32 s2, ttmp9, s2
	s_clause 0x1
	s_load_b32 s8, s[0:1], 0x40
	s_load_b64 s[12:13], s[0:1], 0x50
	s_add_co_i32 s2, s3, s2
	s_cmp_eq_u32 s6, 0
	s_mov_b32 s3, 0
	s_cselect_b32 s10, ttmp9, s2
	s_mov_b32 s11, s3
	v_or_b32_e32 v1, s10, v0
	s_lshl_b64 s[6:7], s[10:11], 3
	s_mov_b32 s9, s3
	s_mov_b32 s2, exec_lo
	s_wait_kmcnt 0x0
	s_add_nc_u64 s[14:15], s[4:5], s[6:7]
	s_load_b128 s[4:7], s[14:15], 0x0
	v_cmpx_eq_u32_e32 0, v1
	s_cbranch_execz .LBB94_2
; %bb.1:
	v_mov_b64_e32 v[2:3], s[8:9]
	v_mov_b32_e32 v1, 0
	global_store_b64 v1, v[2:3], s[12:13]
.LBB94_2:
	s_wait_xcnt 0x0
	s_or_b32 exec_lo, exec_lo, s2
	s_load_b32 s2, s[0:1], 0x18
	v_dual_mov_b32 v5, 0 :: v_dual_bitop2_b32 v4, 3, v0 bitop3:0x40
	v_lshrrev_b32_e32 v6, 2, v0
	s_lshl_b64 s[10:11], s[10:11], 5
	s_delay_alu instid0(SALU_CYCLE_1) | instskip(NEXT) | instid1(VALU_DEP_2)
	s_add_nc_u64 s[10:11], s[12:13], s[10:11]
	v_mov_b32_e32 v7, v5
	s_wait_kmcnt 0x0
	s_sub_nc_u64 s[14:15], s[4:5], s[2:3]
	s_sub_nc_u64 s[6:7], s[6:7], s[2:3]
	s_delay_alu instid0(VALU_DEP_1) | instskip(SKIP_3) | instid1(SALU_CYCLE_1)
	v_add_nc_u64_e32 v[0:1], s[14:15], v[6:7]
	s_sub_nc_u64 s[16:17], s[6:7], s[14:15]
	s_lshl_b64 s[14:15], s[14:15], 4
	s_lshl_b64 s[16:17], s[16:17], 2
	v_mul_u64_e32 v[8:9], s[16:17], v[4:5]
	s_add_nc_u64 s[16:17], s[16:17], s[8:9]
	s_delay_alu instid0(SALU_CYCLE_1)
	s_add_nc_u64 s[14:15], s[16:17], s[14:15]
	s_delay_alu instid0(VALU_DEP_1) | instid1(SALU_CYCLE_1)
	v_add_nc_u64_e32 v[2:3], s[14:15], v[8:9]
	global_store_b64 v4, v[2:3], s[10:11] offset:8 scale_offset
	s_wait_xcnt 0x0
	s_mov_b32 s10, exec_lo
	v_cmpx_gt_i64_e64 s[6:7], v[0:1]
	s_cbranch_execz .LBB94_5
; %bb.3:
	s_clause 0x2
	s_load_b64 s[10:11], s[0:1], 0x30
	s_load_b64 s[12:13], s[0:1], 0x48
	s_load_b32 s16, s[0:1], 0x0
	v_lshlrev_b64_e32 v[10:11], 7, v[0:1]
	v_mul_hi_u32_u24_e32 v3, 24, v4
	v_mul_u32_u24_e32 v2, 24, v4
	v_lshl_add_u64 v[8:9], s[4:5], 4, v[8:9]
	s_clause 0x1
	s_load_b64 s[4:5], s[0:1], 0x20
	s_load_b64 s[14:15], s[0:1], 0x58
	v_lshl_or_b32 v10, v4, 3, v10
	v_lshlrev_b32_e32 v4, 2, v6
	s_delay_alu instid0(VALU_DEP_1)
	v_add_nc_u64_e32 v[4:5], v[8:9], v[4:5]
	s_wait_kmcnt 0x0
	s_cmp_eq_u32 s16, 0
	s_cselect_b32 vcc_lo, -1, 0
	s_lshl_b64 s[0:1], s[2:3], 4
	s_delay_alu instid0(VALU_DEP_1) | instid1(SALU_CYCLE_1)
	v_sub_nc_u64_e64 v[4:5], v[4:5], s[0:1]
	s_mov_b32 s1, 0
	s_delay_alu instid0(VALU_DEP_1) | instskip(SKIP_2) | instid1(VALU_DEP_3)
	v_lshl_add_u64 v[8:9], v[4:5], 3, 16
	v_add_nc_u64_e32 v[4:5], s[4:5], v[10:11]
	v_lshl_add_u64 v[10:11], v[0:1], 3, s[10:11]
	v_add_nc_u64_e32 v[6:7], s[12:13], v[8:9]
	v_add_nc_u64_e32 v[8:9], s[14:15], v[8:9]
.LBB94_4:                               ; =>This Inner Loop Header: Depth=1
	s_delay_alu instid0(VALU_DEP_4)
	v_add_nc_u64_e32 v[12:13], v[4:5], v[2:3]
	global_load_b64 v[20:21], v[10:11], off
	v_add_nc_u64_e32 v[14:15], 32, v[4:5]
	v_add_nc_u64_e32 v[16:17], 64, v[4:5]
	;; [unrolled: 1-line block ×4, first 2 shown]
	s_wait_xcnt 0x0
	v_add_nc_u64_e32 v[10:11], 0x200, v[10:11]
	v_add_nc_u64_e32 v[24:25], 8, v[12:13]
	;; [unrolled: 1-line block ×3, first 2 shown]
	v_dual_cndmask_b32 v23, v5, v13 :: v_dual_cndmask_b32 v22, v4, v12
	v_add_nc_u64_e32 v[28:29], 24, v[12:13]
	v_cmp_le_i64_e64 s0, s[6:7], v[0:1]
	v_add_nc_u64_e32 v[4:5], 0x2000, v[4:5]
	global_load_b64 v[12:13], v[22:23], off
	s_wait_xcnt 0x0
	v_dual_cndmask_b32 v23, v15, v25 :: v_dual_cndmask_b32 v22, v14, v24
	v_dual_cndmask_b32 v25, v17, v27 :: v_dual_cndmask_b32 v24, v16, v26
	;; [unrolled: 1-line block ×3, first 2 shown]
	global_load_b64 v[14:15], v[22:23], off
	global_load_b64 v[16:17], v[24:25], off
	global_load_b64 v[18:19], v[26:27], off
	s_or_b32 s1, s0, s1
	s_wait_loadcnt 0x4
	v_sub_nc_u64_e64 v[20:21], v[20:21], s[2:3]
	s_delay_alu instid0(VALU_DEP_1) | instskip(SKIP_1) | instid1(VALU_DEP_1)
	v_lshl_add_u64 v[20:21], v[20:21], 2, s[8:9]
	s_wait_xcnt 0x2
	v_add_nc_u64_e32 v[22:23], 1, v[20:21]
	s_wait_xcnt 0x1
	v_add_nc_u64_e32 v[24:25], 2, v[20:21]
	;; [unrolled: 2-line block ×3, first 2 shown]
	s_clause 0x1
	global_store_b128 v[8:9], v[20:23], off offset:-16
	global_store_b128 v[8:9], v[24:27], off
	s_wait_loadcnt 0x2
	global_store_b128 v[6:7], v[12:15], off offset:-16
	s_wait_loadcnt 0x0
	global_store_b128 v[6:7], v[16:19], off
	s_wait_xcnt 0x0
	v_add_nc_u64_e32 v[6:7], 0x800, v[6:7]
	v_add_nc_u64_e32 v[8:9], 0x800, v[8:9]
	s_and_not1_b32 exec_lo, exec_lo, s1
	s_cbranch_execnz .LBB94_4
.LBB94_5:
	s_endpgm
	.section	.rodata,"a",@progbits
	.p2align	6, 0x0
	.amdhsa_kernel _ZN9rocsparseL32bsr2csr_block_per_row_2_7_kernelILj256ELj4ElllEEv20rocsparse_direction_T3_S2_21rocsparse_index_base_PKT1_PKT2_PKS2_S2_S3_PS4_PS7_PS2_
		.amdhsa_group_segment_fixed_size 0
		.amdhsa_private_segment_fixed_size 0
		.amdhsa_kernarg_size 96
		.amdhsa_user_sgpr_count 2
		.amdhsa_user_sgpr_dispatch_ptr 0
		.amdhsa_user_sgpr_queue_ptr 0
		.amdhsa_user_sgpr_kernarg_segment_ptr 1
		.amdhsa_user_sgpr_dispatch_id 0
		.amdhsa_user_sgpr_kernarg_preload_length 0
		.amdhsa_user_sgpr_kernarg_preload_offset 0
		.amdhsa_user_sgpr_private_segment_size 0
		.amdhsa_wavefront_size32 1
		.amdhsa_uses_dynamic_stack 0
		.amdhsa_enable_private_segment 0
		.amdhsa_system_sgpr_workgroup_id_x 1
		.amdhsa_system_sgpr_workgroup_id_y 0
		.amdhsa_system_sgpr_workgroup_id_z 0
		.amdhsa_system_sgpr_workgroup_info 0
		.amdhsa_system_vgpr_workitem_id 0
		.amdhsa_next_free_vgpr 30
		.amdhsa_next_free_sgpr 18
		.amdhsa_named_barrier_count 0
		.amdhsa_reserve_vcc 1
		.amdhsa_float_round_mode_32 0
		.amdhsa_float_round_mode_16_64 0
		.amdhsa_float_denorm_mode_32 3
		.amdhsa_float_denorm_mode_16_64 3
		.amdhsa_fp16_overflow 0
		.amdhsa_memory_ordered 1
		.amdhsa_forward_progress 1
		.amdhsa_inst_pref_size 6
		.amdhsa_round_robin_scheduling 0
		.amdhsa_exception_fp_ieee_invalid_op 0
		.amdhsa_exception_fp_denorm_src 0
		.amdhsa_exception_fp_ieee_div_zero 0
		.amdhsa_exception_fp_ieee_overflow 0
		.amdhsa_exception_fp_ieee_underflow 0
		.amdhsa_exception_fp_ieee_inexact 0
		.amdhsa_exception_int_div_zero 0
	.end_amdhsa_kernel
	.section	.text._ZN9rocsparseL32bsr2csr_block_per_row_2_7_kernelILj256ELj4ElllEEv20rocsparse_direction_T3_S2_21rocsparse_index_base_PKT1_PKT2_PKS2_S2_S3_PS4_PS7_PS2_,"axG",@progbits,_ZN9rocsparseL32bsr2csr_block_per_row_2_7_kernelILj256ELj4ElllEEv20rocsparse_direction_T3_S2_21rocsparse_index_base_PKT1_PKT2_PKS2_S2_S3_PS4_PS7_PS2_,comdat
.Lfunc_end94:
	.size	_ZN9rocsparseL32bsr2csr_block_per_row_2_7_kernelILj256ELj4ElllEEv20rocsparse_direction_T3_S2_21rocsparse_index_base_PKT1_PKT2_PKS2_S2_S3_PS4_PS7_PS2_, .Lfunc_end94-_ZN9rocsparseL32bsr2csr_block_per_row_2_7_kernelILj256ELj4ElllEEv20rocsparse_direction_T3_S2_21rocsparse_index_base_PKT1_PKT2_PKS2_S2_S3_PS4_PS7_PS2_
                                        ; -- End function
	.set _ZN9rocsparseL32bsr2csr_block_per_row_2_7_kernelILj256ELj4ElllEEv20rocsparse_direction_T3_S2_21rocsparse_index_base_PKT1_PKT2_PKS2_S2_S3_PS4_PS7_PS2_.num_vgpr, 30
	.set _ZN9rocsparseL32bsr2csr_block_per_row_2_7_kernelILj256ELj4ElllEEv20rocsparse_direction_T3_S2_21rocsparse_index_base_PKT1_PKT2_PKS2_S2_S3_PS4_PS7_PS2_.num_agpr, 0
	.set _ZN9rocsparseL32bsr2csr_block_per_row_2_7_kernelILj256ELj4ElllEEv20rocsparse_direction_T3_S2_21rocsparse_index_base_PKT1_PKT2_PKS2_S2_S3_PS4_PS7_PS2_.numbered_sgpr, 18
	.set _ZN9rocsparseL32bsr2csr_block_per_row_2_7_kernelILj256ELj4ElllEEv20rocsparse_direction_T3_S2_21rocsparse_index_base_PKT1_PKT2_PKS2_S2_S3_PS4_PS7_PS2_.num_named_barrier, 0
	.set _ZN9rocsparseL32bsr2csr_block_per_row_2_7_kernelILj256ELj4ElllEEv20rocsparse_direction_T3_S2_21rocsparse_index_base_PKT1_PKT2_PKS2_S2_S3_PS4_PS7_PS2_.private_seg_size, 0
	.set _ZN9rocsparseL32bsr2csr_block_per_row_2_7_kernelILj256ELj4ElllEEv20rocsparse_direction_T3_S2_21rocsparse_index_base_PKT1_PKT2_PKS2_S2_S3_PS4_PS7_PS2_.uses_vcc, 1
	.set _ZN9rocsparseL32bsr2csr_block_per_row_2_7_kernelILj256ELj4ElllEEv20rocsparse_direction_T3_S2_21rocsparse_index_base_PKT1_PKT2_PKS2_S2_S3_PS4_PS7_PS2_.uses_flat_scratch, 0
	.set _ZN9rocsparseL32bsr2csr_block_per_row_2_7_kernelILj256ELj4ElllEEv20rocsparse_direction_T3_S2_21rocsparse_index_base_PKT1_PKT2_PKS2_S2_S3_PS4_PS7_PS2_.has_dyn_sized_stack, 0
	.set _ZN9rocsparseL32bsr2csr_block_per_row_2_7_kernelILj256ELj4ElllEEv20rocsparse_direction_T3_S2_21rocsparse_index_base_PKT1_PKT2_PKS2_S2_S3_PS4_PS7_PS2_.has_recursion, 0
	.set _ZN9rocsparseL32bsr2csr_block_per_row_2_7_kernelILj256ELj4ElllEEv20rocsparse_direction_T3_S2_21rocsparse_index_base_PKT1_PKT2_PKS2_S2_S3_PS4_PS7_PS2_.has_indirect_call, 0
	.section	.AMDGPU.csdata,"",@progbits
; Kernel info:
; codeLenInByte = 728
; TotalNumSgprs: 20
; NumVgprs: 30
; ScratchSize: 0
; MemoryBound: 0
; FloatMode: 240
; IeeeMode: 1
; LDSByteSize: 0 bytes/workgroup (compile time only)
; SGPRBlocks: 0
; VGPRBlocks: 1
; NumSGPRsForWavesPerEU: 20
; NumVGPRsForWavesPerEU: 30
; NamedBarCnt: 0
; Occupancy: 16
; WaveLimiterHint : 0
; COMPUTE_PGM_RSRC2:SCRATCH_EN: 0
; COMPUTE_PGM_RSRC2:USER_SGPR: 2
; COMPUTE_PGM_RSRC2:TRAP_HANDLER: 0
; COMPUTE_PGM_RSRC2:TGID_X_EN: 1
; COMPUTE_PGM_RSRC2:TGID_Y_EN: 0
; COMPUTE_PGM_RSRC2:TGID_Z_EN: 0
; COMPUTE_PGM_RSRC2:TIDIG_COMP_CNT: 0
	.section	.text._ZN9rocsparseL32bsr2csr_block_per_row_2_7_kernelILj256ELj5ElllEEv20rocsparse_direction_T3_S2_21rocsparse_index_base_PKT1_PKT2_PKS2_S2_S3_PS4_PS7_PS2_,"axG",@progbits,_ZN9rocsparseL32bsr2csr_block_per_row_2_7_kernelILj256ELj5ElllEEv20rocsparse_direction_T3_S2_21rocsparse_index_base_PKT1_PKT2_PKS2_S2_S3_PS4_PS7_PS2_,comdat
	.globl	_ZN9rocsparseL32bsr2csr_block_per_row_2_7_kernelILj256ELj5ElllEEv20rocsparse_direction_T3_S2_21rocsparse_index_base_PKT1_PKT2_PKS2_S2_S3_PS4_PS7_PS2_ ; -- Begin function _ZN9rocsparseL32bsr2csr_block_per_row_2_7_kernelILj256ELj5ElllEEv20rocsparse_direction_T3_S2_21rocsparse_index_base_PKT1_PKT2_PKS2_S2_S3_PS4_PS7_PS2_
	.p2align	8
	.type	_ZN9rocsparseL32bsr2csr_block_per_row_2_7_kernelILj256ELj5ElllEEv20rocsparse_direction_T3_S2_21rocsparse_index_base_PKT1_PKT2_PKS2_S2_S3_PS4_PS7_PS2_,@function
_ZN9rocsparseL32bsr2csr_block_per_row_2_7_kernelILj256ELj5ElllEEv20rocsparse_direction_T3_S2_21rocsparse_index_base_PKT1_PKT2_PKS2_S2_S3_PS4_PS7_PS2_: ; @_ZN9rocsparseL32bsr2csr_block_per_row_2_7_kernelILj256ELj5ElllEEv20rocsparse_direction_T3_S2_21rocsparse_index_base_PKT1_PKT2_PKS2_S2_S3_PS4_PS7_PS2_
; %bb.0:
	s_clause 0x1
	s_load_b32 s2, s[0:1], 0x40
	s_load_b64 s[10:11], s[0:1], 0x50
	s_bfe_u32 s3, ttmp6, 0x4000c
	s_and_b32 s4, ttmp6, 15
	s_add_co_i32 s3, s3, 1
	s_getreg_b32 s5, hwreg(HW_REG_IB_STS2, 6, 4)
	s_mul_i32 s3, ttmp9, s3
	s_mov_b32 s13, 0
	s_add_co_i32 s4, s4, s3
	s_cmp_eq_u32 s5, 0
	s_mov_b32 s3, exec_lo
	s_cselect_b32 s12, ttmp9, s4
	s_delay_alu instid0(SALU_CYCLE_1) | instskip(NEXT) | instid1(VALU_DEP_1)
	v_or_b32_e32 v1, s12, v0
	v_cmpx_eq_u32_e32 0, v1
	s_cbranch_execz .LBB95_2
; %bb.1:
	s_wait_kmcnt 0x0
	v_dual_mov_b32 v2, s2 :: v_dual_mov_b32 v3, 0
	global_store_b64 v3, v[2:3], s[10:11]
.LBB95_2:
	s_wait_xcnt 0x0
	s_or_b32 exec_lo, exec_lo, s3
	v_and_b32_e32 v12, 7, v0
	s_mov_b32 s3, exec_lo
	s_delay_alu instid0(VALU_DEP_1)
	v_cmpx_gt_u32_e32 5, v12
	s_cbranch_execz .LBB95_6
; %bb.3:
	s_clause 0x1
	s_load_b64 s[4:5], s[0:1], 0x28
	s_load_b32 s8, s[0:1], 0x18
	s_lshl_b64 s[6:7], s[12:13], 3
	s_mov_b32 s9, 0
	v_dual_mov_b32 v13, 0 :: v_dual_lshrrev_b32 v2, 3, v0
	s_mov_b32 s3, s9
	s_mul_u64 s[12:13], s[12:13], 40
	s_delay_alu instid0(VALU_DEP_1)
	v_mov_b32_e32 v3, v13
	s_wait_kmcnt 0x0
	s_add_nc_u64 s[10:11], s[10:11], s[12:13]
	s_add_nc_u64 s[14:15], s[4:5], s[6:7]
	s_load_b128 s[4:7], s[14:15], 0x0
	s_wait_kmcnt 0x0
	s_sub_nc_u64 s[14:15], s[4:5], s[8:9]
	s_sub_nc_u64 s[6:7], s[6:7], s[8:9]
	v_add_nc_u64_e32 v[0:1], s[14:15], v[2:3]
	s_sub_nc_u64 s[16:17], s[6:7], s[14:15]
	s_mul_u64 s[14:15], s[14:15], 25
	s_mul_u64 s[16:17], s[16:17], 5
	s_delay_alu instid0(SALU_CYCLE_1) | instskip(SKIP_1) | instid1(VALU_DEP_2)
	v_mul_u64_e32 v[4:5], s[16:17], v[12:13]
	s_add_nc_u64 s[16:17], s[16:17], s[2:3]
	v_cmp_gt_i64_e32 vcc_lo, s[6:7], v[0:1]
	s_add_nc_u64 s[14:15], s[16:17], s[14:15]
	s_delay_alu instid0(VALU_DEP_2) | instid1(SALU_CYCLE_1)
	v_add_nc_u64_e32 v[6:7], s[14:15], v[4:5]
	global_store_b64 v12, v[6:7], s[10:11] offset:8 scale_offset
	s_wait_xcnt 0x0
	s_and_b32 exec_lo, exec_lo, vcc_lo
	s_cbranch_execz .LBB95_6
; %bb.4:
	v_mad_nc_u64_u32 v[4:5], s4, 25, v[4:5]
	s_clause 0x3
	s_load_b64 s[10:11], s[0:1], 0x30
	s_load_b64 s[12:13], s[0:1], 0x48
	s_load_b32 s16, s[0:1], 0x0
	s_load_b64 s[14:15], s[0:1], 0x58
	s_delay_alu instid0(VALU_DEP_1)
	v_mad_u32 v5, s5, 25, v5
	s_load_b64 s[4:5], s[0:1], 0x20
	s_wait_xcnt 0x0
	s_mul_u64 s[0:1], s[8:9], 25
	s_wait_kmcnt 0x0
	s_cmp_eq_u32 s16, 0
	s_cselect_b32 vcc_lo, -1, 0
	s_delay_alu instid0(VALU_DEP_1) | instskip(SKIP_1) | instid1(VALU_DEP_2)
	v_mad_nc_u64_u32 v[4:5], v2, 5, v[4:5]
	v_mad_nc_u64_u32 v[2:3], 0xc8, v0, s[4:5]
	v_sub_nc_u64_e64 v[6:7], v[4:5], s[0:1]
	v_dual_mov_b32 v5, v13 :: v_dual_lshlrev_b32 v4, 3, v12
	v_mul_hi_u32_u24_e32 v13, 40, v12
	v_mul_u32_u24_e32 v12, 40, v12
	s_mov_b32 s1, s9
	s_delay_alu instid0(VALU_DEP_4) | instskip(SKIP_2) | instid1(VALU_DEP_3)
	v_lshl_add_u64 v[10:11], v[6:7], 3, 16
	v_lshl_add_u64 v[6:7], v[0:1], 3, s[10:11]
	v_mad_u32 v3, 0xc8, v1, v3
	v_add_nc_u64_e32 v[8:9], s[12:13], v[10:11]
	v_add_nc_u64_e32 v[10:11], s[14:15], v[10:11]
.LBB95_5:                               ; =>This Inner Loop Header: Depth=1
	global_load_b64 v[22:23], v[6:7], off
	v_add_nc_u64_e32 v[14:15], v[2:3], v[4:5]
	v_add_nc_u64_e32 v[16:17], v[2:3], v[12:13]
	;; [unrolled: 1-line block ×3, first 2 shown]
	s_wait_xcnt 0x0
	v_add_nc_u64_e32 v[6:7], 0x100, v[6:7]
	v_add_nc_u64_e32 v[2:3], 0x1900, v[2:3]
	;; [unrolled: 1-line block ×8, first 2 shown]
	v_dual_cndmask_b32 v19, v15, v17 :: v_dual_cndmask_b32 v18, v14, v16
	v_add_nc_u64_e32 v[16:17], 32, v[16:17]
	v_add_nc_u64_e32 v[34:35], 0xa0, v[14:15]
	v_dual_cndmask_b32 v25, v25, v21 :: v_dual_cndmask_b32 v24, v24, v20
	v_dual_cndmask_b32 v27, v29, v27 :: v_dual_cndmask_b32 v26, v28, v26
	global_load_b64 v[14:15], v[18:19], off
	v_dual_cndmask_b32 v29, v33, v31 :: v_dual_cndmask_b32 v28, v32, v30
	v_dual_cndmask_b32 v31, v35, v17 :: v_dual_cndmask_b32 v30, v34, v16
	global_load_b64 v[16:17], v[24:25], off
	global_load_b64 v[18:19], v[26:27], off
	;; [unrolled: 1-line block ×4, first 2 shown]
	v_cmp_le_i64_e64 s0, s[6:7], v[0:1]
	s_or_b32 s1, s0, s1
	s_wait_loadcnt 0x5
	s_wait_xcnt 0x3
	v_sub_nc_u64_e64 v[24:25], v[22:23], s[8:9]
	s_delay_alu instid0(VALU_DEP_1) | instskip(NEXT) | instid1(VALU_DEP_1)
	v_mad_nc_u64_u32 v[22:23], v24, 5, s[2:3]
	v_mad_u32 v23, v25, 5, v23
	s_wait_loadcnt 0x3
	global_store_b128 v[8:9], v[14:17], off offset:-16
	s_wait_loadcnt 0x1
	global_store_b128 v[8:9], v[18:21], off
	s_wait_loadcnt 0x0
	global_store_b64 v[8:9], v[32:33], off offset:16
	v_add_nc_u64_e32 v[24:25], 1, v[22:23]
	s_wait_xcnt 0x2
	v_add_nc_u64_e32 v[14:15], 2, v[22:23]
	v_add_nc_u64_e32 v[16:17], 3, v[22:23]
	;; [unrolled: 1-line block ×3, first 2 shown]
	s_wait_xcnt 0x0
	v_add_nc_u64_e32 v[8:9], 0x500, v[8:9]
	s_clause 0x2
	global_store_b128 v[10:11], v[22:25], off offset:-16
	global_store_b128 v[10:11], v[14:17], off
	global_store_b64 v[10:11], v[26:27], off offset:16
	s_wait_xcnt 0x0
	v_add_nc_u64_e32 v[10:11], 0x500, v[10:11]
	s_and_not1_b32 exec_lo, exec_lo, s1
	s_cbranch_execnz .LBB95_5
.LBB95_6:
	s_endpgm
	.section	.rodata,"a",@progbits
	.p2align	6, 0x0
	.amdhsa_kernel _ZN9rocsparseL32bsr2csr_block_per_row_2_7_kernelILj256ELj5ElllEEv20rocsparse_direction_T3_S2_21rocsparse_index_base_PKT1_PKT2_PKS2_S2_S3_PS4_PS7_PS2_
		.amdhsa_group_segment_fixed_size 0
		.amdhsa_private_segment_fixed_size 0
		.amdhsa_kernarg_size 96
		.amdhsa_user_sgpr_count 2
		.amdhsa_user_sgpr_dispatch_ptr 0
		.amdhsa_user_sgpr_queue_ptr 0
		.amdhsa_user_sgpr_kernarg_segment_ptr 1
		.amdhsa_user_sgpr_dispatch_id 0
		.amdhsa_user_sgpr_kernarg_preload_length 0
		.amdhsa_user_sgpr_kernarg_preload_offset 0
		.amdhsa_user_sgpr_private_segment_size 0
		.amdhsa_wavefront_size32 1
		.amdhsa_uses_dynamic_stack 0
		.amdhsa_enable_private_segment 0
		.amdhsa_system_sgpr_workgroup_id_x 1
		.amdhsa_system_sgpr_workgroup_id_y 0
		.amdhsa_system_sgpr_workgroup_id_z 0
		.amdhsa_system_sgpr_workgroup_info 0
		.amdhsa_system_vgpr_workitem_id 0
		.amdhsa_next_free_vgpr 36
		.amdhsa_next_free_sgpr 18
		.amdhsa_named_barrier_count 0
		.amdhsa_reserve_vcc 1
		.amdhsa_float_round_mode_32 0
		.amdhsa_float_round_mode_16_64 0
		.amdhsa_float_denorm_mode_32 3
		.amdhsa_float_denorm_mode_16_64 3
		.amdhsa_fp16_overflow 0
		.amdhsa_memory_ordered 1
		.amdhsa_forward_progress 1
		.amdhsa_inst_pref_size 7
		.amdhsa_round_robin_scheduling 0
		.amdhsa_exception_fp_ieee_invalid_op 0
		.amdhsa_exception_fp_denorm_src 0
		.amdhsa_exception_fp_ieee_div_zero 0
		.amdhsa_exception_fp_ieee_overflow 0
		.amdhsa_exception_fp_ieee_underflow 0
		.amdhsa_exception_fp_ieee_inexact 0
		.amdhsa_exception_int_div_zero 0
	.end_amdhsa_kernel
	.section	.text._ZN9rocsparseL32bsr2csr_block_per_row_2_7_kernelILj256ELj5ElllEEv20rocsparse_direction_T3_S2_21rocsparse_index_base_PKT1_PKT2_PKS2_S2_S3_PS4_PS7_PS2_,"axG",@progbits,_ZN9rocsparseL32bsr2csr_block_per_row_2_7_kernelILj256ELj5ElllEEv20rocsparse_direction_T3_S2_21rocsparse_index_base_PKT1_PKT2_PKS2_S2_S3_PS4_PS7_PS2_,comdat
.Lfunc_end95:
	.size	_ZN9rocsparseL32bsr2csr_block_per_row_2_7_kernelILj256ELj5ElllEEv20rocsparse_direction_T3_S2_21rocsparse_index_base_PKT1_PKT2_PKS2_S2_S3_PS4_PS7_PS2_, .Lfunc_end95-_ZN9rocsparseL32bsr2csr_block_per_row_2_7_kernelILj256ELj5ElllEEv20rocsparse_direction_T3_S2_21rocsparse_index_base_PKT1_PKT2_PKS2_S2_S3_PS4_PS7_PS2_
                                        ; -- End function
	.set _ZN9rocsparseL32bsr2csr_block_per_row_2_7_kernelILj256ELj5ElllEEv20rocsparse_direction_T3_S2_21rocsparse_index_base_PKT1_PKT2_PKS2_S2_S3_PS4_PS7_PS2_.num_vgpr, 36
	.set _ZN9rocsparseL32bsr2csr_block_per_row_2_7_kernelILj256ELj5ElllEEv20rocsparse_direction_T3_S2_21rocsparse_index_base_PKT1_PKT2_PKS2_S2_S3_PS4_PS7_PS2_.num_agpr, 0
	.set _ZN9rocsparseL32bsr2csr_block_per_row_2_7_kernelILj256ELj5ElllEEv20rocsparse_direction_T3_S2_21rocsparse_index_base_PKT1_PKT2_PKS2_S2_S3_PS4_PS7_PS2_.numbered_sgpr, 18
	.set _ZN9rocsparseL32bsr2csr_block_per_row_2_7_kernelILj256ELj5ElllEEv20rocsparse_direction_T3_S2_21rocsparse_index_base_PKT1_PKT2_PKS2_S2_S3_PS4_PS7_PS2_.num_named_barrier, 0
	.set _ZN9rocsparseL32bsr2csr_block_per_row_2_7_kernelILj256ELj5ElllEEv20rocsparse_direction_T3_S2_21rocsparse_index_base_PKT1_PKT2_PKS2_S2_S3_PS4_PS7_PS2_.private_seg_size, 0
	.set _ZN9rocsparseL32bsr2csr_block_per_row_2_7_kernelILj256ELj5ElllEEv20rocsparse_direction_T3_S2_21rocsparse_index_base_PKT1_PKT2_PKS2_S2_S3_PS4_PS7_PS2_.uses_vcc, 1
	.set _ZN9rocsparseL32bsr2csr_block_per_row_2_7_kernelILj256ELj5ElllEEv20rocsparse_direction_T3_S2_21rocsparse_index_base_PKT1_PKT2_PKS2_S2_S3_PS4_PS7_PS2_.uses_flat_scratch, 0
	.set _ZN9rocsparseL32bsr2csr_block_per_row_2_7_kernelILj256ELj5ElllEEv20rocsparse_direction_T3_S2_21rocsparse_index_base_PKT1_PKT2_PKS2_S2_S3_PS4_PS7_PS2_.has_dyn_sized_stack, 0
	.set _ZN9rocsparseL32bsr2csr_block_per_row_2_7_kernelILj256ELj5ElllEEv20rocsparse_direction_T3_S2_21rocsparse_index_base_PKT1_PKT2_PKS2_S2_S3_PS4_PS7_PS2_.has_recursion, 0
	.set _ZN9rocsparseL32bsr2csr_block_per_row_2_7_kernelILj256ELj5ElllEEv20rocsparse_direction_T3_S2_21rocsparse_index_base_PKT1_PKT2_PKS2_S2_S3_PS4_PS7_PS2_.has_indirect_call, 0
	.section	.AMDGPU.csdata,"",@progbits
; Kernel info:
; codeLenInByte = 840
; TotalNumSgprs: 20
; NumVgprs: 36
; ScratchSize: 0
; MemoryBound: 0
; FloatMode: 240
; IeeeMode: 1
; LDSByteSize: 0 bytes/workgroup (compile time only)
; SGPRBlocks: 0
; VGPRBlocks: 2
; NumSGPRsForWavesPerEU: 20
; NumVGPRsForWavesPerEU: 36
; NamedBarCnt: 0
; Occupancy: 16
; WaveLimiterHint : 0
; COMPUTE_PGM_RSRC2:SCRATCH_EN: 0
; COMPUTE_PGM_RSRC2:USER_SGPR: 2
; COMPUTE_PGM_RSRC2:TRAP_HANDLER: 0
; COMPUTE_PGM_RSRC2:TGID_X_EN: 1
; COMPUTE_PGM_RSRC2:TGID_Y_EN: 0
; COMPUTE_PGM_RSRC2:TGID_Z_EN: 0
; COMPUTE_PGM_RSRC2:TIDIG_COMP_CNT: 0
	.section	.text._ZN9rocsparseL32bsr2csr_block_per_row_2_7_kernelILj256ELj6ElllEEv20rocsparse_direction_T3_S2_21rocsparse_index_base_PKT1_PKT2_PKS2_S2_S3_PS4_PS7_PS2_,"axG",@progbits,_ZN9rocsparseL32bsr2csr_block_per_row_2_7_kernelILj256ELj6ElllEEv20rocsparse_direction_T3_S2_21rocsparse_index_base_PKT1_PKT2_PKS2_S2_S3_PS4_PS7_PS2_,comdat
	.globl	_ZN9rocsparseL32bsr2csr_block_per_row_2_7_kernelILj256ELj6ElllEEv20rocsparse_direction_T3_S2_21rocsparse_index_base_PKT1_PKT2_PKS2_S2_S3_PS4_PS7_PS2_ ; -- Begin function _ZN9rocsparseL32bsr2csr_block_per_row_2_7_kernelILj256ELj6ElllEEv20rocsparse_direction_T3_S2_21rocsparse_index_base_PKT1_PKT2_PKS2_S2_S3_PS4_PS7_PS2_
	.p2align	8
	.type	_ZN9rocsparseL32bsr2csr_block_per_row_2_7_kernelILj256ELj6ElllEEv20rocsparse_direction_T3_S2_21rocsparse_index_base_PKT1_PKT2_PKS2_S2_S3_PS4_PS7_PS2_,@function
_ZN9rocsparseL32bsr2csr_block_per_row_2_7_kernelILj256ELj6ElllEEv20rocsparse_direction_T3_S2_21rocsparse_index_base_PKT1_PKT2_PKS2_S2_S3_PS4_PS7_PS2_: ; @_ZN9rocsparseL32bsr2csr_block_per_row_2_7_kernelILj256ELj6ElllEEv20rocsparse_direction_T3_S2_21rocsparse_index_base_PKT1_PKT2_PKS2_S2_S3_PS4_PS7_PS2_
; %bb.0:
	s_clause 0x1
	s_load_b32 s2, s[0:1], 0x40
	s_load_b64 s[10:11], s[0:1], 0x50
	s_bfe_u32 s3, ttmp6, 0x4000c
	s_and_b32 s4, ttmp6, 15
	s_add_co_i32 s3, s3, 1
	s_getreg_b32 s5, hwreg(HW_REG_IB_STS2, 6, 4)
	s_mul_i32 s3, ttmp9, s3
	s_mov_b32 s13, 0
	s_add_co_i32 s4, s4, s3
	s_cmp_eq_u32 s5, 0
	s_mov_b32 s3, exec_lo
	s_cselect_b32 s12, ttmp9, s4
	s_delay_alu instid0(SALU_CYCLE_1) | instskip(NEXT) | instid1(VALU_DEP_1)
	v_or_b32_e32 v1, s12, v0
	v_cmpx_eq_u32_e32 0, v1
	s_cbranch_execz .LBB96_2
; %bb.1:
	s_wait_kmcnt 0x0
	v_dual_mov_b32 v2, s2 :: v_dual_mov_b32 v3, 0
	global_store_b64 v3, v[2:3], s[10:11]
.LBB96_2:
	s_wait_xcnt 0x0
	s_or_b32 exec_lo, exec_lo, s3
	v_and_b32_e32 v4, 7, v0
	s_mov_b32 s3, exec_lo
	s_delay_alu instid0(VALU_DEP_1)
	v_cmpx_gt_u32_e32 6, v4
	s_cbranch_execz .LBB96_6
; %bb.3:
	s_clause 0x1
	s_load_b64 s[4:5], s[0:1], 0x28
	s_load_b32 s8, s[0:1], 0x18
	s_lshl_b64 s[6:7], s[12:13], 3
	s_mov_b32 s9, 0
	v_dual_mov_b32 v5, 0 :: v_dual_lshrrev_b32 v6, 3, v0
	s_mov_b32 s3, s9
	s_mul_u64 s[12:13], s[12:13], 48
	s_delay_alu instid0(VALU_DEP_1)
	v_mov_b32_e32 v7, v5
	s_wait_kmcnt 0x0
	s_add_nc_u64 s[10:11], s[10:11], s[12:13]
	s_add_nc_u64 s[14:15], s[4:5], s[6:7]
	s_load_b128 s[4:7], s[14:15], 0x0
	s_wait_kmcnt 0x0
	s_sub_nc_u64 s[14:15], s[4:5], s[8:9]
	s_sub_nc_u64 s[6:7], s[6:7], s[8:9]
	v_add_nc_u64_e32 v[0:1], s[14:15], v[6:7]
	s_sub_nc_u64 s[16:17], s[6:7], s[14:15]
	s_mul_u64 s[14:15], s[14:15], 36
	s_mul_u64 s[16:17], s[16:17], 6
	s_delay_alu instid0(SALU_CYCLE_1) | instskip(SKIP_1) | instid1(VALU_DEP_2)
	v_mul_u64_e32 v[2:3], s[16:17], v[4:5]
	s_add_nc_u64 s[16:17], s[16:17], s[2:3]
	v_cmp_gt_i64_e32 vcc_lo, s[6:7], v[0:1]
	s_add_nc_u64 s[14:15], s[16:17], s[14:15]
	s_delay_alu instid0(VALU_DEP_2) | instid1(SALU_CYCLE_1)
	v_add_nc_u64_e32 v[8:9], s[14:15], v[2:3]
	global_store_b64 v4, v[8:9], s[10:11] offset:8 scale_offset
	s_wait_xcnt 0x0
	s_and_b32 exec_lo, exec_lo, vcc_lo
	s_cbranch_execz .LBB96_6
; %bb.4:
	v_mad_nc_u64_u32 v[8:9], s4, 36, v[2:3]
	v_mul_hi_u32_u24_e32 v3, 40, v4
	v_mul_u32_u24_e32 v2, 40, v4
	v_lshlrev_b32_e32 v4, 3, v4
	s_delay_alu instid0(VALU_DEP_1)
	v_mad_nc_u64_u32 v[4:5], 0x120, v0, v[4:5]
	v_mad_u32 v9, s5, 36, v9
	s_clause 0x4
	s_load_b64 s[4:5], s[0:1], 0x58
	s_load_b64 s[10:11], s[0:1], 0x20
	;; [unrolled: 1-line block ×4, first 2 shown]
	s_load_b32 s16, s[0:1], 0x0
	s_wait_xcnt 0x0
	s_mul_u64 s[0:1], s[8:9], 36
	s_delay_alu instid0(VALU_DEP_2) | instskip(NEXT) | instid1(VALU_DEP_2)
	v_mad_u32 v5, 0x120, v1, v5
	v_mad_nc_u64_u32 v[6:7], v6, 6, v[8:9]
	s_wait_kmcnt 0x0
	s_delay_alu instid0(VALU_DEP_2) | instskip(SKIP_2) | instid1(VALU_DEP_3)
	v_add_nc_u64_e32 v[4:5], s[10:11], v[4:5]
	v_lshl_add_u64 v[10:11], v[0:1], 3, s[14:15]
	s_cmp_eq_u32 s16, 0
	v_sub_nc_u64_e64 v[6:7], v[6:7], s[0:1]
	s_cselect_b32 vcc_lo, -1, 0
	s_mov_b32 s1, s9
	s_delay_alu instid0(VALU_DEP_1) | instskip(NEXT) | instid1(VALU_DEP_1)
	v_lshl_add_u64 v[8:9], v[6:7], 3, 24
	v_add_nc_u64_e32 v[6:7], s[12:13], v[8:9]
	v_add_nc_u64_e32 v[8:9], s[4:5], v[8:9]
.LBB96_5:                               ; =>This Inner Loop Header: Depth=1
	global_load_b64 v[24:25], v[10:11], off
	v_add_nc_u64_e32 v[12:13], v[4:5], v[2:3]
	v_add_nc_u64_e32 v[14:15], 48, v[4:5]
	;; [unrolled: 1-line block ×9, first 2 shown]
	v_dual_cndmask_b32 v27, v5, v13 :: v_dual_cndmask_b32 v26, v4, v12
	v_add_nc_u64_e32 v[32:33], 24, v[12:13]
	v_add_nc_u64_e32 v[34:35], 32, v[12:13]
	v_add_nc_u64_e32 v[36:37], 40, v[12:13]
	v_cmp_le_i64_e64 s0, s[6:7], v[0:1]
	global_load_b64 v[12:13], v[26:27], off
	s_wait_xcnt 0x0
	v_dual_cndmask_b32 v27, v15, v29 :: v_dual_cndmask_b32 v26, v14, v28
	v_dual_cndmask_b32 v29, v17, v31 :: v_dual_cndmask_b32 v28, v16, v30
	;; [unrolled: 1-line block ×5, first 2 shown]
	global_load_b64 v[14:15], v[26:27], off
	global_load_b64 v[16:17], v[28:29], off
	;; [unrolled: 1-line block ×5, first 2 shown]
	v_add_nc_u64_e32 v[10:11], 0x100, v[10:11]
	v_add_nc_u64_e32 v[4:5], 0x2400, v[4:5]
	s_or_b32 s1, s0, s1
	s_wait_loadcnt 0x6
	s_wait_xcnt 0x4
	v_sub_nc_u64_e64 v[26:27], v[24:25], s[8:9]
	s_delay_alu instid0(VALU_DEP_1) | instskip(NEXT) | instid1(VALU_DEP_1)
	v_mad_nc_u64_u32 v[24:25], v26, 6, s[2:3]
	v_mad_u32 v25, v27, 6, v25
	s_wait_loadcnt 0x4
	global_store_b128 v[6:7], v[12:15], off offset:-24
	s_wait_loadcnt 0x2
	global_store_b128 v[6:7], v[16:19], off offset:-8
	s_wait_loadcnt 0x0
	global_store_b128 v[6:7], v[20:23], off offset:8
	s_wait_xcnt 0x0
	v_add_nc_u64_e32 v[6:7], 0x600, v[6:7]
	v_add_nc_u64_e32 v[26:27], 1, v[24:25]
	;; [unrolled: 1-line block ×6, first 2 shown]
	s_clause 0x2
	global_store_b128 v[8:9], v[24:27], off offset:-24
	global_store_b128 v[8:9], v[12:15], off offset:-8
	global_store_b128 v[8:9], v[28:31], off offset:8
	s_wait_xcnt 0x0
	v_add_nc_u64_e32 v[8:9], 0x600, v[8:9]
	s_and_not1_b32 exec_lo, exec_lo, s1
	s_cbranch_execnz .LBB96_5
.LBB96_6:
	s_endpgm
	.section	.rodata,"a",@progbits
	.p2align	6, 0x0
	.amdhsa_kernel _ZN9rocsparseL32bsr2csr_block_per_row_2_7_kernelILj256ELj6ElllEEv20rocsparse_direction_T3_S2_21rocsparse_index_base_PKT1_PKT2_PKS2_S2_S3_PS4_PS7_PS2_
		.amdhsa_group_segment_fixed_size 0
		.amdhsa_private_segment_fixed_size 0
		.amdhsa_kernarg_size 96
		.amdhsa_user_sgpr_count 2
		.amdhsa_user_sgpr_dispatch_ptr 0
		.amdhsa_user_sgpr_queue_ptr 0
		.amdhsa_user_sgpr_kernarg_segment_ptr 1
		.amdhsa_user_sgpr_dispatch_id 0
		.amdhsa_user_sgpr_kernarg_preload_length 0
		.amdhsa_user_sgpr_kernarg_preload_offset 0
		.amdhsa_user_sgpr_private_segment_size 0
		.amdhsa_wavefront_size32 1
		.amdhsa_uses_dynamic_stack 0
		.amdhsa_enable_private_segment 0
		.amdhsa_system_sgpr_workgroup_id_x 1
		.amdhsa_system_sgpr_workgroup_id_y 0
		.amdhsa_system_sgpr_workgroup_id_z 0
		.amdhsa_system_sgpr_workgroup_info 0
		.amdhsa_system_vgpr_workitem_id 0
		.amdhsa_next_free_vgpr 38
		.amdhsa_next_free_sgpr 18
		.amdhsa_named_barrier_count 0
		.amdhsa_reserve_vcc 1
		.amdhsa_float_round_mode_32 0
		.amdhsa_float_round_mode_16_64 0
		.amdhsa_float_denorm_mode_32 3
		.amdhsa_float_denorm_mode_16_64 3
		.amdhsa_fp16_overflow 0
		.amdhsa_memory_ordered 1
		.amdhsa_forward_progress 1
		.amdhsa_inst_pref_size 7
		.amdhsa_round_robin_scheduling 0
		.amdhsa_exception_fp_ieee_invalid_op 0
		.amdhsa_exception_fp_denorm_src 0
		.amdhsa_exception_fp_ieee_div_zero 0
		.amdhsa_exception_fp_ieee_overflow 0
		.amdhsa_exception_fp_ieee_underflow 0
		.amdhsa_exception_fp_ieee_inexact 0
		.amdhsa_exception_int_div_zero 0
	.end_amdhsa_kernel
	.section	.text._ZN9rocsparseL32bsr2csr_block_per_row_2_7_kernelILj256ELj6ElllEEv20rocsparse_direction_T3_S2_21rocsparse_index_base_PKT1_PKT2_PKS2_S2_S3_PS4_PS7_PS2_,"axG",@progbits,_ZN9rocsparseL32bsr2csr_block_per_row_2_7_kernelILj256ELj6ElllEEv20rocsparse_direction_T3_S2_21rocsparse_index_base_PKT1_PKT2_PKS2_S2_S3_PS4_PS7_PS2_,comdat
.Lfunc_end96:
	.size	_ZN9rocsparseL32bsr2csr_block_per_row_2_7_kernelILj256ELj6ElllEEv20rocsparse_direction_T3_S2_21rocsparse_index_base_PKT1_PKT2_PKS2_S2_S3_PS4_PS7_PS2_, .Lfunc_end96-_ZN9rocsparseL32bsr2csr_block_per_row_2_7_kernelILj256ELj6ElllEEv20rocsparse_direction_T3_S2_21rocsparse_index_base_PKT1_PKT2_PKS2_S2_S3_PS4_PS7_PS2_
                                        ; -- End function
	.set _ZN9rocsparseL32bsr2csr_block_per_row_2_7_kernelILj256ELj6ElllEEv20rocsparse_direction_T3_S2_21rocsparse_index_base_PKT1_PKT2_PKS2_S2_S3_PS4_PS7_PS2_.num_vgpr, 38
	.set _ZN9rocsparseL32bsr2csr_block_per_row_2_7_kernelILj256ELj6ElllEEv20rocsparse_direction_T3_S2_21rocsparse_index_base_PKT1_PKT2_PKS2_S2_S3_PS4_PS7_PS2_.num_agpr, 0
	.set _ZN9rocsparseL32bsr2csr_block_per_row_2_7_kernelILj256ELj6ElllEEv20rocsparse_direction_T3_S2_21rocsparse_index_base_PKT1_PKT2_PKS2_S2_S3_PS4_PS7_PS2_.numbered_sgpr, 18
	.set _ZN9rocsparseL32bsr2csr_block_per_row_2_7_kernelILj256ELj6ElllEEv20rocsparse_direction_T3_S2_21rocsparse_index_base_PKT1_PKT2_PKS2_S2_S3_PS4_PS7_PS2_.num_named_barrier, 0
	.set _ZN9rocsparseL32bsr2csr_block_per_row_2_7_kernelILj256ELj6ElllEEv20rocsparse_direction_T3_S2_21rocsparse_index_base_PKT1_PKT2_PKS2_S2_S3_PS4_PS7_PS2_.private_seg_size, 0
	.set _ZN9rocsparseL32bsr2csr_block_per_row_2_7_kernelILj256ELj6ElllEEv20rocsparse_direction_T3_S2_21rocsparse_index_base_PKT1_PKT2_PKS2_S2_S3_PS4_PS7_PS2_.uses_vcc, 1
	.set _ZN9rocsparseL32bsr2csr_block_per_row_2_7_kernelILj256ELj6ElllEEv20rocsparse_direction_T3_S2_21rocsparse_index_base_PKT1_PKT2_PKS2_S2_S3_PS4_PS7_PS2_.uses_flat_scratch, 0
	.set _ZN9rocsparseL32bsr2csr_block_per_row_2_7_kernelILj256ELj6ElllEEv20rocsparse_direction_T3_S2_21rocsparse_index_base_PKT1_PKT2_PKS2_S2_S3_PS4_PS7_PS2_.has_dyn_sized_stack, 0
	.set _ZN9rocsparseL32bsr2csr_block_per_row_2_7_kernelILj256ELj6ElllEEv20rocsparse_direction_T3_S2_21rocsparse_index_base_PKT1_PKT2_PKS2_S2_S3_PS4_PS7_PS2_.has_recursion, 0
	.set _ZN9rocsparseL32bsr2csr_block_per_row_2_7_kernelILj256ELj6ElllEEv20rocsparse_direction_T3_S2_21rocsparse_index_base_PKT1_PKT2_PKS2_S2_S3_PS4_PS7_PS2_.has_indirect_call, 0
	.section	.AMDGPU.csdata,"",@progbits
; Kernel info:
; codeLenInByte = 872
; TotalNumSgprs: 20
; NumVgprs: 38
; ScratchSize: 0
; MemoryBound: 0
; FloatMode: 240
; IeeeMode: 1
; LDSByteSize: 0 bytes/workgroup (compile time only)
; SGPRBlocks: 0
; VGPRBlocks: 2
; NumSGPRsForWavesPerEU: 20
; NumVGPRsForWavesPerEU: 38
; NamedBarCnt: 0
; Occupancy: 16
; WaveLimiterHint : 0
; COMPUTE_PGM_RSRC2:SCRATCH_EN: 0
; COMPUTE_PGM_RSRC2:USER_SGPR: 2
; COMPUTE_PGM_RSRC2:TRAP_HANDLER: 0
; COMPUTE_PGM_RSRC2:TGID_X_EN: 1
; COMPUTE_PGM_RSRC2:TGID_Y_EN: 0
; COMPUTE_PGM_RSRC2:TGID_Z_EN: 0
; COMPUTE_PGM_RSRC2:TIDIG_COMP_CNT: 0
	.section	.text._ZN9rocsparseL32bsr2csr_block_per_row_2_7_kernelILj256ELj7ElllEEv20rocsparse_direction_T3_S2_21rocsparse_index_base_PKT1_PKT2_PKS2_S2_S3_PS4_PS7_PS2_,"axG",@progbits,_ZN9rocsparseL32bsr2csr_block_per_row_2_7_kernelILj256ELj7ElllEEv20rocsparse_direction_T3_S2_21rocsparse_index_base_PKT1_PKT2_PKS2_S2_S3_PS4_PS7_PS2_,comdat
	.globl	_ZN9rocsparseL32bsr2csr_block_per_row_2_7_kernelILj256ELj7ElllEEv20rocsparse_direction_T3_S2_21rocsparse_index_base_PKT1_PKT2_PKS2_S2_S3_PS4_PS7_PS2_ ; -- Begin function _ZN9rocsparseL32bsr2csr_block_per_row_2_7_kernelILj256ELj7ElllEEv20rocsparse_direction_T3_S2_21rocsparse_index_base_PKT1_PKT2_PKS2_S2_S3_PS4_PS7_PS2_
	.p2align	8
	.type	_ZN9rocsparseL32bsr2csr_block_per_row_2_7_kernelILj256ELj7ElllEEv20rocsparse_direction_T3_S2_21rocsparse_index_base_PKT1_PKT2_PKS2_S2_S3_PS4_PS7_PS2_,@function
_ZN9rocsparseL32bsr2csr_block_per_row_2_7_kernelILj256ELj7ElllEEv20rocsparse_direction_T3_S2_21rocsparse_index_base_PKT1_PKT2_PKS2_S2_S3_PS4_PS7_PS2_: ; @_ZN9rocsparseL32bsr2csr_block_per_row_2_7_kernelILj256ELj7ElllEEv20rocsparse_direction_T3_S2_21rocsparse_index_base_PKT1_PKT2_PKS2_S2_S3_PS4_PS7_PS2_
; %bb.0:
	s_clause 0x1
	s_load_b32 s2, s[0:1], 0x40
	s_load_b64 s[10:11], s[0:1], 0x50
	s_bfe_u32 s3, ttmp6, 0x4000c
	s_and_b32 s4, ttmp6, 15
	s_add_co_i32 s3, s3, 1
	s_getreg_b32 s5, hwreg(HW_REG_IB_STS2, 6, 4)
	s_mul_i32 s3, ttmp9, s3
	s_mov_b32 s13, 0
	s_add_co_i32 s4, s4, s3
	s_cmp_eq_u32 s5, 0
	s_mov_b32 s3, exec_lo
	s_cselect_b32 s12, ttmp9, s4
	s_delay_alu instid0(SALU_CYCLE_1) | instskip(NEXT) | instid1(VALU_DEP_1)
	v_or_b32_e32 v1, s12, v0
	v_cmpx_eq_u32_e32 0, v1
	s_cbranch_execz .LBB97_2
; %bb.1:
	s_wait_kmcnt 0x0
	v_dual_mov_b32 v2, s2 :: v_dual_mov_b32 v3, 0
	global_store_b64 v3, v[2:3], s[10:11]
.LBB97_2:
	s_wait_xcnt 0x0
	s_or_b32 exec_lo, exec_lo, s3
	v_and_b32_e32 v4, 7, v0
	s_mov_b32 s3, exec_lo
	s_delay_alu instid0(VALU_DEP_1)
	v_cmpx_ne_u32_e32 7, v4
	s_cbranch_execz .LBB97_6
; %bb.3:
	s_clause 0x1
	s_load_b64 s[4:5], s[0:1], 0x28
	s_load_b32 s8, s[0:1], 0x18
	s_lshl_b64 s[6:7], s[12:13], 3
	s_mov_b32 s9, 0
	v_dual_mov_b32 v5, 0 :: v_dual_lshrrev_b32 v6, 3, v0
	s_mov_b32 s3, s9
	s_mul_u64 s[12:13], s[12:13], 56
	s_delay_alu instid0(VALU_DEP_1)
	v_mov_b32_e32 v7, v5
	s_wait_kmcnt 0x0
	s_add_nc_u64 s[10:11], s[10:11], s[12:13]
	s_add_nc_u64 s[14:15], s[4:5], s[6:7]
	s_load_b128 s[4:7], s[14:15], 0x0
	s_wait_kmcnt 0x0
	s_sub_nc_u64 s[14:15], s[4:5], s[8:9]
	s_sub_nc_u64 s[6:7], s[6:7], s[8:9]
	v_add_nc_u64_e32 v[0:1], s[14:15], v[6:7]
	s_sub_nc_u64 s[16:17], s[6:7], s[14:15]
	s_mul_u64 s[14:15], s[14:15], 49
	s_mul_u64 s[16:17], s[16:17], 7
	s_delay_alu instid0(SALU_CYCLE_1) | instskip(SKIP_1) | instid1(VALU_DEP_2)
	v_mul_u64_e32 v[2:3], s[16:17], v[4:5]
	s_add_nc_u64 s[16:17], s[16:17], s[2:3]
	v_cmp_gt_i64_e32 vcc_lo, s[6:7], v[0:1]
	s_add_nc_u64 s[14:15], s[16:17], s[14:15]
	s_delay_alu instid0(VALU_DEP_2) | instid1(SALU_CYCLE_1)
	v_add_nc_u64_e32 v[8:9], s[14:15], v[2:3]
	global_store_b64 v4, v[8:9], s[10:11] offset:8 scale_offset
	s_wait_xcnt 0x0
	s_and_b32 exec_lo, exec_lo, vcc_lo
	s_cbranch_execz .LBB97_6
; %bb.4:
	v_mad_nc_u64_u32 v[8:9], s4, 49, v[2:3]
	v_mul_hi_u32_u24_e32 v3, 48, v4
	v_mul_u32_u24_e32 v2, 48, v4
	v_lshlrev_b32_e32 v4, 3, v4
	s_delay_alu instid0(VALU_DEP_1)
	v_mad_nc_u64_u32 v[4:5], 0x188, v0, v[4:5]
	v_mad_u32 v9, s5, 49, v9
	s_clause 0x4
	s_load_b64 s[4:5], s[0:1], 0x58
	s_load_b64 s[10:11], s[0:1], 0x20
	;; [unrolled: 1-line block ×4, first 2 shown]
	s_load_b32 s16, s[0:1], 0x0
	s_wait_xcnt 0x0
	s_mul_u64 s[0:1], s[8:9], 49
	s_delay_alu instid0(VALU_DEP_2) | instskip(NEXT) | instid1(VALU_DEP_2)
	v_mad_u32 v5, 0x188, v1, v5
	v_mad_nc_u64_u32 v[6:7], v6, 7, v[8:9]
	s_wait_kmcnt 0x0
	s_delay_alu instid0(VALU_DEP_2) | instskip(SKIP_2) | instid1(VALU_DEP_3)
	v_add_nc_u64_e32 v[4:5], s[10:11], v[4:5]
	v_lshl_add_u64 v[10:11], v[0:1], 3, s[14:15]
	s_cmp_eq_u32 s16, 0
	v_sub_nc_u64_e64 v[6:7], v[6:7], s[0:1]
	s_cselect_b32 vcc_lo, -1, 0
	s_mov_b32 s1, s9
	s_delay_alu instid0(VALU_DEP_1) | instskip(NEXT) | instid1(VALU_DEP_1)
	v_lshl_add_u64 v[8:9], v[6:7], 3, 24
	v_add_nc_u64_e32 v[6:7], s[12:13], v[8:9]
	v_add_nc_u64_e32 v[8:9], s[4:5], v[8:9]
.LBB97_5:                               ; =>This Inner Loop Header: Depth=1
	global_load_b64 v[24:25], v[10:11], off
	v_add_nc_u64_e32 v[12:13], v[4:5], v[2:3]
	v_add_nc_u64_e32 v[14:15], 56, v[4:5]
	;; [unrolled: 1-line block ×9, first 2 shown]
	v_dual_cndmask_b32 v29, v5, v13 :: v_dual_cndmask_b32 v28, v4, v12
	v_add_nc_u64_e32 v[34:35], 24, v[12:13]
	v_add_nc_u64_e32 v[36:37], 32, v[12:13]
	;; [unrolled: 1-line block ×4, first 2 shown]
	global_load_b64 v[12:13], v[28:29], off
	s_wait_xcnt 0x0
	v_dual_cndmask_b32 v29, v15, v31 :: v_dual_cndmask_b32 v28, v14, v30
	v_dual_cndmask_b32 v31, v17, v33 :: v_dual_cndmask_b32 v30, v16, v32
	;; [unrolled: 1-line block ×6, first 2 shown]
	global_load_b64 v[14:15], v[28:29], off
	global_load_b64 v[16:17], v[30:31], off
	;; [unrolled: 1-line block ×6, first 2 shown]
	v_add_nc_u64_e32 v[0:1], 32, v[0:1]
	v_add_nc_u64_e32 v[10:11], 0x100, v[10:11]
	;; [unrolled: 1-line block ×3, first 2 shown]
	s_wait_loadcnt 0x5
	global_store_b128 v[6:7], v[12:15], off offset:-24
	s_wait_loadcnt 0x3
	global_store_b128 v[6:7], v[16:19], off offset:-8
	s_wait_loadcnt 0x1
	global_store_b128 v[6:7], v[20:23], off offset:8
	s_wait_xcnt 0x3
	v_sub_nc_u64_e64 v[26:27], v[24:25], s[8:9]
	v_cmp_le_i64_e64 s0, s[6:7], v[0:1]
	s_wait_loadcnt 0x0
	global_store_b64 v[6:7], v[38:39], off offset:24
	s_wait_xcnt 0x0
	v_add_nc_u64_e32 v[6:7], 0x700, v[6:7]
	v_mad_nc_u64_u32 v[24:25], v26, 7, s[2:3]
	s_or_b32 s1, s0, s1
	s_delay_alu instid0(VALU_DEP_1) | instskip(NEXT) | instid1(VALU_DEP_1)
	v_mad_u32 v25, v27, 7, v25
	v_add_nc_u64_e32 v[26:27], 1, v[24:25]
	v_add_nc_u64_e32 v[12:13], 2, v[24:25]
	;; [unrolled: 1-line block ×6, first 2 shown]
	s_clause 0x3
	global_store_b128 v[8:9], v[24:27], off offset:-24
	global_store_b128 v[8:9], v[12:15], off offset:-8
	global_store_b128 v[8:9], v[16:19], off offset:8
	global_store_b64 v[8:9], v[20:21], off offset:24
	s_wait_xcnt 0x0
	v_add_nc_u64_e32 v[8:9], 0x700, v[8:9]
	s_and_not1_b32 exec_lo, exec_lo, s1
	s_cbranch_execnz .LBB97_5
.LBB97_6:
	s_endpgm
	.section	.rodata,"a",@progbits
	.p2align	6, 0x0
	.amdhsa_kernel _ZN9rocsparseL32bsr2csr_block_per_row_2_7_kernelILj256ELj7ElllEEv20rocsparse_direction_T3_S2_21rocsparse_index_base_PKT1_PKT2_PKS2_S2_S3_PS4_PS7_PS2_
		.amdhsa_group_segment_fixed_size 0
		.amdhsa_private_segment_fixed_size 0
		.amdhsa_kernarg_size 96
		.amdhsa_user_sgpr_count 2
		.amdhsa_user_sgpr_dispatch_ptr 0
		.amdhsa_user_sgpr_queue_ptr 0
		.amdhsa_user_sgpr_kernarg_segment_ptr 1
		.amdhsa_user_sgpr_dispatch_id 0
		.amdhsa_user_sgpr_kernarg_preload_length 0
		.amdhsa_user_sgpr_kernarg_preload_offset 0
		.amdhsa_user_sgpr_private_segment_size 0
		.amdhsa_wavefront_size32 1
		.amdhsa_uses_dynamic_stack 0
		.amdhsa_enable_private_segment 0
		.amdhsa_system_sgpr_workgroup_id_x 1
		.amdhsa_system_sgpr_workgroup_id_y 0
		.amdhsa_system_sgpr_workgroup_id_z 0
		.amdhsa_system_sgpr_workgroup_info 0
		.amdhsa_system_vgpr_workitem_id 0
		.amdhsa_next_free_vgpr 42
		.amdhsa_next_free_sgpr 18
		.amdhsa_named_barrier_count 0
		.amdhsa_reserve_vcc 1
		.amdhsa_float_round_mode_32 0
		.amdhsa_float_round_mode_16_64 0
		.amdhsa_float_denorm_mode_32 3
		.amdhsa_float_denorm_mode_16_64 3
		.amdhsa_fp16_overflow 0
		.amdhsa_memory_ordered 1
		.amdhsa_forward_progress 1
		.amdhsa_inst_pref_size 8
		.amdhsa_round_robin_scheduling 0
		.amdhsa_exception_fp_ieee_invalid_op 0
		.amdhsa_exception_fp_denorm_src 0
		.amdhsa_exception_fp_ieee_div_zero 0
		.amdhsa_exception_fp_ieee_overflow 0
		.amdhsa_exception_fp_ieee_underflow 0
		.amdhsa_exception_fp_ieee_inexact 0
		.amdhsa_exception_int_div_zero 0
	.end_amdhsa_kernel
	.section	.text._ZN9rocsparseL32bsr2csr_block_per_row_2_7_kernelILj256ELj7ElllEEv20rocsparse_direction_T3_S2_21rocsparse_index_base_PKT1_PKT2_PKS2_S2_S3_PS4_PS7_PS2_,"axG",@progbits,_ZN9rocsparseL32bsr2csr_block_per_row_2_7_kernelILj256ELj7ElllEEv20rocsparse_direction_T3_S2_21rocsparse_index_base_PKT1_PKT2_PKS2_S2_S3_PS4_PS7_PS2_,comdat
.Lfunc_end97:
	.size	_ZN9rocsparseL32bsr2csr_block_per_row_2_7_kernelILj256ELj7ElllEEv20rocsparse_direction_T3_S2_21rocsparse_index_base_PKT1_PKT2_PKS2_S2_S3_PS4_PS7_PS2_, .Lfunc_end97-_ZN9rocsparseL32bsr2csr_block_per_row_2_7_kernelILj256ELj7ElllEEv20rocsparse_direction_T3_S2_21rocsparse_index_base_PKT1_PKT2_PKS2_S2_S3_PS4_PS7_PS2_
                                        ; -- End function
	.set _ZN9rocsparseL32bsr2csr_block_per_row_2_7_kernelILj256ELj7ElllEEv20rocsparse_direction_T3_S2_21rocsparse_index_base_PKT1_PKT2_PKS2_S2_S3_PS4_PS7_PS2_.num_vgpr, 42
	.set _ZN9rocsparseL32bsr2csr_block_per_row_2_7_kernelILj256ELj7ElllEEv20rocsparse_direction_T3_S2_21rocsparse_index_base_PKT1_PKT2_PKS2_S2_S3_PS4_PS7_PS2_.num_agpr, 0
	.set _ZN9rocsparseL32bsr2csr_block_per_row_2_7_kernelILj256ELj7ElllEEv20rocsparse_direction_T3_S2_21rocsparse_index_base_PKT1_PKT2_PKS2_S2_S3_PS4_PS7_PS2_.numbered_sgpr, 18
	.set _ZN9rocsparseL32bsr2csr_block_per_row_2_7_kernelILj256ELj7ElllEEv20rocsparse_direction_T3_S2_21rocsparse_index_base_PKT1_PKT2_PKS2_S2_S3_PS4_PS7_PS2_.num_named_barrier, 0
	.set _ZN9rocsparseL32bsr2csr_block_per_row_2_7_kernelILj256ELj7ElllEEv20rocsparse_direction_T3_S2_21rocsparse_index_base_PKT1_PKT2_PKS2_S2_S3_PS4_PS7_PS2_.private_seg_size, 0
	.set _ZN9rocsparseL32bsr2csr_block_per_row_2_7_kernelILj256ELj7ElllEEv20rocsparse_direction_T3_S2_21rocsparse_index_base_PKT1_PKT2_PKS2_S2_S3_PS4_PS7_PS2_.uses_vcc, 1
	.set _ZN9rocsparseL32bsr2csr_block_per_row_2_7_kernelILj256ELj7ElllEEv20rocsparse_direction_T3_S2_21rocsparse_index_base_PKT1_PKT2_PKS2_S2_S3_PS4_PS7_PS2_.uses_flat_scratch, 0
	.set _ZN9rocsparseL32bsr2csr_block_per_row_2_7_kernelILj256ELj7ElllEEv20rocsparse_direction_T3_S2_21rocsparse_index_base_PKT1_PKT2_PKS2_S2_S3_PS4_PS7_PS2_.has_dyn_sized_stack, 0
	.set _ZN9rocsparseL32bsr2csr_block_per_row_2_7_kernelILj256ELj7ElllEEv20rocsparse_direction_T3_S2_21rocsparse_index_base_PKT1_PKT2_PKS2_S2_S3_PS4_PS7_PS2_.has_recursion, 0
	.set _ZN9rocsparseL32bsr2csr_block_per_row_2_7_kernelILj256ELj7ElllEEv20rocsparse_direction_T3_S2_21rocsparse_index_base_PKT1_PKT2_PKS2_S2_S3_PS4_PS7_PS2_.has_indirect_call, 0
	.section	.AMDGPU.csdata,"",@progbits
; Kernel info:
; codeLenInByte = 932
; TotalNumSgprs: 20
; NumVgprs: 42
; ScratchSize: 0
; MemoryBound: 0
; FloatMode: 240
; IeeeMode: 1
; LDSByteSize: 0 bytes/workgroup (compile time only)
; SGPRBlocks: 0
; VGPRBlocks: 2
; NumSGPRsForWavesPerEU: 20
; NumVGPRsForWavesPerEU: 42
; NamedBarCnt: 0
; Occupancy: 16
; WaveLimiterHint : 0
; COMPUTE_PGM_RSRC2:SCRATCH_EN: 0
; COMPUTE_PGM_RSRC2:USER_SGPR: 2
; COMPUTE_PGM_RSRC2:TRAP_HANDLER: 0
; COMPUTE_PGM_RSRC2:TGID_X_EN: 1
; COMPUTE_PGM_RSRC2:TGID_Y_EN: 0
; COMPUTE_PGM_RSRC2:TGID_Z_EN: 0
; COMPUTE_PGM_RSRC2:TIDIG_COMP_CNT: 0
	.section	.text._ZN9rocsparseL33bsr2csr_block_per_row_8_32_kernelILj1024ELj8ElllEEv20rocsparse_direction_T3_S2_21rocsparse_index_base_PKT1_PKT2_PKS2_S2_S3_PS4_PS7_PS2_,"axG",@progbits,_ZN9rocsparseL33bsr2csr_block_per_row_8_32_kernelILj1024ELj8ElllEEv20rocsparse_direction_T3_S2_21rocsparse_index_base_PKT1_PKT2_PKS2_S2_S3_PS4_PS7_PS2_,comdat
	.globl	_ZN9rocsparseL33bsr2csr_block_per_row_8_32_kernelILj1024ELj8ElllEEv20rocsparse_direction_T3_S2_21rocsparse_index_base_PKT1_PKT2_PKS2_S2_S3_PS4_PS7_PS2_ ; -- Begin function _ZN9rocsparseL33bsr2csr_block_per_row_8_32_kernelILj1024ELj8ElllEEv20rocsparse_direction_T3_S2_21rocsparse_index_base_PKT1_PKT2_PKS2_S2_S3_PS4_PS7_PS2_
	.p2align	8
	.type	_ZN9rocsparseL33bsr2csr_block_per_row_8_32_kernelILj1024ELj8ElllEEv20rocsparse_direction_T3_S2_21rocsparse_index_base_PKT1_PKT2_PKS2_S2_S3_PS4_PS7_PS2_,@function
_ZN9rocsparseL33bsr2csr_block_per_row_8_32_kernelILj1024ELj8ElllEEv20rocsparse_direction_T3_S2_21rocsparse_index_base_PKT1_PKT2_PKS2_S2_S3_PS4_PS7_PS2_: ; @_ZN9rocsparseL33bsr2csr_block_per_row_8_32_kernelILj1024ELj8ElllEEv20rocsparse_direction_T3_S2_21rocsparse_index_base_PKT1_PKT2_PKS2_S2_S3_PS4_PS7_PS2_
; %bb.0:
	s_clause 0x1
	s_load_b32 s6, s[0:1], 0x40
	s_load_b64 s[12:13], s[0:1], 0x50
	s_bfe_u32 s2, ttmp6, 0x4000c
	s_and_b32 s3, ttmp6, 15
	s_add_co_i32 s2, s2, 1
	s_getreg_b32 s4, hwreg(HW_REG_IB_STS2, 6, 4)
	s_mul_i32 s2, ttmp9, s2
	s_mov_b32 s15, 0
	s_add_co_i32 s3, s3, s2
	s_cmp_eq_u32 s4, 0
	s_mov_b32 s2, exec_lo
	s_cselect_b32 s14, ttmp9, s3
	s_delay_alu instid0(SALU_CYCLE_1) | instskip(NEXT) | instid1(VALU_DEP_1)
	v_or_b32_e32 v1, s14, v0
	v_cmpx_eq_u32_e32 0, v1
	s_cbranch_execz .LBB98_2
; %bb.1:
	s_wait_kmcnt 0x0
	v_dual_mov_b32 v2, s6 :: v_dual_mov_b32 v3, 0
	global_store_b64 v3, v[2:3], s[12:13]
.LBB98_2:
	s_wait_xcnt 0x0
	s_or_b32 exec_lo, exec_lo, s2
	v_dual_mov_b32 v3, 0 :: v_dual_bitop2_b32 v2, 7, v0 bitop3:0x40
	v_bfe_u32 v4, v0, 3, 3
	s_load_b64 s[2:3], s[0:1], 0x38
	s_mov_b32 s4, exec_lo
	s_delay_alu instid0(VALU_DEP_2) | instskip(NEXT) | instid1(VALU_DEP_1)
	v_mov_b32_e32 v5, v3
	v_max_i64 v[6:7], v[4:5], v[2:3]
	s_wait_kmcnt 0x0
	s_delay_alu instid0(VALU_DEP_1)
	v_cmpx_gt_i64_e64 s[2:3], v[6:7]
	s_cbranch_execz .LBB98_6
; %bb.3:
	s_clause 0x1
	s_load_b64 s[8:9], s[0:1], 0x28
	s_load_b32 s4, s[0:1], 0x18
	s_lshl_b64 s[10:11], s[14:15], 3
	s_mov_b32 s5, 0
	v_dual_mov_b32 v7, v3 :: v_dual_lshrrev_b32 v6, 6, v0
	s_mov_b32 s7, s5
	s_mul_u64 s[14:15], s[2:3], s[14:15]
	s_delay_alu instid0(SALU_CYCLE_1) | instskip(NEXT) | instid1(SALU_CYCLE_1)
	s_lshl_b64 s[14:15], s[14:15], 3
	s_add_nc_u64 s[12:13], s[12:13], s[14:15]
	s_wait_kmcnt 0x0
	s_add_nc_u64 s[16:17], s[8:9], s[10:11]
	s_load_b128 s[8:11], s[16:17], 0x0
	s_wait_kmcnt 0x0
	s_sub_nc_u64 s[18:19], s[8:9], s[4:5]
	s_sub_nc_u64 s[8:9], s[10:11], s[4:5]
	s_mul_u64 s[10:11], s[2:3], s[2:3]
	s_sub_nc_u64 s[16:17], s[8:9], s[18:19]
	s_mul_u64 s[22:23], s[18:19], s[10:11]
	s_mul_u64 s[20:21], s[16:17], s[2:3]
	v_add_nc_u64_e32 v[0:1], s[18:19], v[6:7]
	s_add_nc_u64 s[24:25], s[20:21], s[6:7]
	s_delay_alu instid0(SALU_CYCLE_1) | instskip(NEXT) | instid1(SALU_CYCLE_1)
	s_add_nc_u64 s[22:23], s[24:25], s[22:23]
	v_mad_nc_u64_u32 v[8:9], s20, v4, s[22:23]
	s_delay_alu instid0(VALU_DEP_2) | instskip(NEXT) | instid1(VALU_DEP_2)
	v_cmp_gt_i64_e32 vcc_lo, s[8:9], v[0:1]
	v_mad_u32 v9, s21, v4, v9
	global_store_b64 v4, v[8:9], s[12:13] offset:8 scale_offset
	s_wait_xcnt 0x0
	s_and_b32 exec_lo, exec_lo, vcc_lo
	s_cbranch_execz .LBB98_6
; %bb.4:
	v_mad_nc_u64_u32 v[6:7], s2, s18, v[6:7]
	s_mul_i32 s12, s3, s18
	s_mul_i32 s13, s2, s19
	v_mul_u64_e32 v[8:9], s[2:3], v[2:3]
	v_mul_u64_e32 v[10:11], s[2:3], v[4:5]
	s_load_b64 s[14:15], s[0:1], 0x20
	v_mul_u64_e32 v[12:13], s[10:11], v[0:1]
	v_dual_mov_b32 v15, 0 :: v_dual_lshlrev_b32 v14, 3, v4
	v_add3_u32 v7, s13, s12, v7
	s_delay_alu instid0(VALU_DEP_1) | instskip(NEXT) | instid1(VALU_DEP_1)
	v_mad_nc_u64_u32 v[6:7], s16, v4, v[6:7]
	v_mad_u32 v7, s17, v4, v7
	s_clause 0x2
	s_load_b64 s[16:17], s[0:1], 0x30
	s_load_b64 s[12:13], s[0:1], 0x48
	s_load_b32 s18, s[0:1], 0x0
	s_wait_kmcnt 0x0
	v_lshl_add_u64 v[4:5], v[8:9], 3, s[14:15]
	v_lshl_add_u64 v[8:9], v[10:11], 3, s[14:15]
	s_load_b64 s[0:1], s[0:1], 0x58
	s_delay_alu instid0(VALU_DEP_3)
	v_mul_u64_e32 v[6:7], s[2:3], v[6:7]
	s_mov_b32 s14, s5
	v_add_nc_u64_e32 v[4:5], v[4:5], v[14:15]
	s_cmp_eq_u32 s18, 0
	s_cselect_b32 vcc_lo, -1, 0
	v_lshlrev_b32_e32 v14, 3, v2
	v_add_nc_u64_e32 v[2:3], s[6:7], v[2:3]
	s_lshl_b64 s[6:7], s[10:11], 7
	s_lshl_b64 s[10:11], s[2:3], 7
	s_delay_alu instid0(VALU_DEP_2) | instskip(NEXT) | instid1(VALU_DEP_1)
	v_add_nc_u64_e32 v[8:9], v[8:9], v[14:15]
	v_dual_cndmask_b32 v5, v5, v9 :: v_dual_cndmask_b32 v4, v4, v8
	v_lshl_add_u64 v[8:9], v[0:1], 3, s[16:17]
	s_delay_alu instid0(VALU_DEP_2)
	v_lshl_add_u64 v[4:5], v[12:13], 3, v[4:5]
	v_lshl_add_u64 v[6:7], v[6:7], 3, v[14:15]
.LBB98_5:                               ; =>This Inner Loop Header: Depth=1
	global_load_b64 v[10:11], v[8:9], off
	global_load_b64 v[12:13], v[4:5], off
	v_add_nc_u64_e32 v[0:1], 16, v[0:1]
	s_wait_kmcnt 0x0
	v_add_nc_u64_e32 v[16:17], s[0:1], v[6:7]
	s_wait_xcnt 0x0
	v_add_nc_u64_e32 v[4:5], s[6:7], v[4:5]
	v_add_nc_u64_e32 v[8:9], 0x80, v[8:9]
	s_delay_alu instid0(VALU_DEP_4) | instskip(SKIP_3) | instid1(VALU_DEP_1)
	v_cmp_le_i64_e32 vcc_lo, s[8:9], v[0:1]
	s_or_b32 s14, vcc_lo, s14
	s_wait_loadcnt 0x1
	v_sub_nc_u64_e64 v[10:11], v[10:11], s[4:5]
	v_mad_nc_u64_u32 v[14:15], v10, s2, v[2:3]
	s_delay_alu instid0(VALU_DEP_1) | instskip(NEXT) | instid1(VALU_DEP_1)
	v_mad_u32 v11, v11, s2, v15
	v_mad_u32 v15, v10, s3, v11
	v_add_nc_u64_e32 v[10:11], s[12:13], v[6:7]
	v_add_nc_u64_e32 v[6:7], s[10:11], v[6:7]
	s_wait_loadcnt 0x0
	global_store_b64 v[10:11], v[12:13], off
	global_store_b64 v[16:17], v[14:15], off
	s_wait_xcnt 0x0
	s_and_not1_b32 exec_lo, exec_lo, s14
	s_cbranch_execnz .LBB98_5
.LBB98_6:
	s_endpgm
	.section	.rodata,"a",@progbits
	.p2align	6, 0x0
	.amdhsa_kernel _ZN9rocsparseL33bsr2csr_block_per_row_8_32_kernelILj1024ELj8ElllEEv20rocsparse_direction_T3_S2_21rocsparse_index_base_PKT1_PKT2_PKS2_S2_S3_PS4_PS7_PS2_
		.amdhsa_group_segment_fixed_size 0
		.amdhsa_private_segment_fixed_size 0
		.amdhsa_kernarg_size 96
		.amdhsa_user_sgpr_count 2
		.amdhsa_user_sgpr_dispatch_ptr 0
		.amdhsa_user_sgpr_queue_ptr 0
		.amdhsa_user_sgpr_kernarg_segment_ptr 1
		.amdhsa_user_sgpr_dispatch_id 0
		.amdhsa_user_sgpr_kernarg_preload_length 0
		.amdhsa_user_sgpr_kernarg_preload_offset 0
		.amdhsa_user_sgpr_private_segment_size 0
		.amdhsa_wavefront_size32 1
		.amdhsa_uses_dynamic_stack 0
		.amdhsa_enable_private_segment 0
		.amdhsa_system_sgpr_workgroup_id_x 1
		.amdhsa_system_sgpr_workgroup_id_y 0
		.amdhsa_system_sgpr_workgroup_id_z 0
		.amdhsa_system_sgpr_workgroup_info 0
		.amdhsa_system_vgpr_workitem_id 0
		.amdhsa_next_free_vgpr 18
		.amdhsa_next_free_sgpr 26
		.amdhsa_named_barrier_count 0
		.amdhsa_reserve_vcc 1
		.amdhsa_float_round_mode_32 0
		.amdhsa_float_round_mode_16_64 0
		.amdhsa_float_denorm_mode_32 3
		.amdhsa_float_denorm_mode_16_64 3
		.amdhsa_fp16_overflow 0
		.amdhsa_memory_ordered 1
		.amdhsa_forward_progress 1
		.amdhsa_inst_pref_size 6
		.amdhsa_round_robin_scheduling 0
		.amdhsa_exception_fp_ieee_invalid_op 0
		.amdhsa_exception_fp_denorm_src 0
		.amdhsa_exception_fp_ieee_div_zero 0
		.amdhsa_exception_fp_ieee_overflow 0
		.amdhsa_exception_fp_ieee_underflow 0
		.amdhsa_exception_fp_ieee_inexact 0
		.amdhsa_exception_int_div_zero 0
	.end_amdhsa_kernel
	.section	.text._ZN9rocsparseL33bsr2csr_block_per_row_8_32_kernelILj1024ELj8ElllEEv20rocsparse_direction_T3_S2_21rocsparse_index_base_PKT1_PKT2_PKS2_S2_S3_PS4_PS7_PS2_,"axG",@progbits,_ZN9rocsparseL33bsr2csr_block_per_row_8_32_kernelILj1024ELj8ElllEEv20rocsparse_direction_T3_S2_21rocsparse_index_base_PKT1_PKT2_PKS2_S2_S3_PS4_PS7_PS2_,comdat
.Lfunc_end98:
	.size	_ZN9rocsparseL33bsr2csr_block_per_row_8_32_kernelILj1024ELj8ElllEEv20rocsparse_direction_T3_S2_21rocsparse_index_base_PKT1_PKT2_PKS2_S2_S3_PS4_PS7_PS2_, .Lfunc_end98-_ZN9rocsparseL33bsr2csr_block_per_row_8_32_kernelILj1024ELj8ElllEEv20rocsparse_direction_T3_S2_21rocsparse_index_base_PKT1_PKT2_PKS2_S2_S3_PS4_PS7_PS2_
                                        ; -- End function
	.set _ZN9rocsparseL33bsr2csr_block_per_row_8_32_kernelILj1024ELj8ElllEEv20rocsparse_direction_T3_S2_21rocsparse_index_base_PKT1_PKT2_PKS2_S2_S3_PS4_PS7_PS2_.num_vgpr, 18
	.set _ZN9rocsparseL33bsr2csr_block_per_row_8_32_kernelILj1024ELj8ElllEEv20rocsparse_direction_T3_S2_21rocsparse_index_base_PKT1_PKT2_PKS2_S2_S3_PS4_PS7_PS2_.num_agpr, 0
	.set _ZN9rocsparseL33bsr2csr_block_per_row_8_32_kernelILj1024ELj8ElllEEv20rocsparse_direction_T3_S2_21rocsparse_index_base_PKT1_PKT2_PKS2_S2_S3_PS4_PS7_PS2_.numbered_sgpr, 26
	.set _ZN9rocsparseL33bsr2csr_block_per_row_8_32_kernelILj1024ELj8ElllEEv20rocsparse_direction_T3_S2_21rocsparse_index_base_PKT1_PKT2_PKS2_S2_S3_PS4_PS7_PS2_.num_named_barrier, 0
	.set _ZN9rocsparseL33bsr2csr_block_per_row_8_32_kernelILj1024ELj8ElllEEv20rocsparse_direction_T3_S2_21rocsparse_index_base_PKT1_PKT2_PKS2_S2_S3_PS4_PS7_PS2_.private_seg_size, 0
	.set _ZN9rocsparseL33bsr2csr_block_per_row_8_32_kernelILj1024ELj8ElllEEv20rocsparse_direction_T3_S2_21rocsparse_index_base_PKT1_PKT2_PKS2_S2_S3_PS4_PS7_PS2_.uses_vcc, 1
	.set _ZN9rocsparseL33bsr2csr_block_per_row_8_32_kernelILj1024ELj8ElllEEv20rocsparse_direction_T3_S2_21rocsparse_index_base_PKT1_PKT2_PKS2_S2_S3_PS4_PS7_PS2_.uses_flat_scratch, 0
	.set _ZN9rocsparseL33bsr2csr_block_per_row_8_32_kernelILj1024ELj8ElllEEv20rocsparse_direction_T3_S2_21rocsparse_index_base_PKT1_PKT2_PKS2_S2_S3_PS4_PS7_PS2_.has_dyn_sized_stack, 0
	.set _ZN9rocsparseL33bsr2csr_block_per_row_8_32_kernelILj1024ELj8ElllEEv20rocsparse_direction_T3_S2_21rocsparse_index_base_PKT1_PKT2_PKS2_S2_S3_PS4_PS7_PS2_.has_recursion, 0
	.set _ZN9rocsparseL33bsr2csr_block_per_row_8_32_kernelILj1024ELj8ElllEEv20rocsparse_direction_T3_S2_21rocsparse_index_base_PKT1_PKT2_PKS2_S2_S3_PS4_PS7_PS2_.has_indirect_call, 0
	.section	.AMDGPU.csdata,"",@progbits
; Kernel info:
; codeLenInByte = 712
; TotalNumSgprs: 28
; NumVgprs: 18
; ScratchSize: 0
; MemoryBound: 0
; FloatMode: 240
; IeeeMode: 1
; LDSByteSize: 0 bytes/workgroup (compile time only)
; SGPRBlocks: 0
; VGPRBlocks: 1
; NumSGPRsForWavesPerEU: 28
; NumVGPRsForWavesPerEU: 18
; NamedBarCnt: 0
; Occupancy: 16
; WaveLimiterHint : 0
; COMPUTE_PGM_RSRC2:SCRATCH_EN: 0
; COMPUTE_PGM_RSRC2:USER_SGPR: 2
; COMPUTE_PGM_RSRC2:TRAP_HANDLER: 0
; COMPUTE_PGM_RSRC2:TGID_X_EN: 1
; COMPUTE_PGM_RSRC2:TGID_Y_EN: 0
; COMPUTE_PGM_RSRC2:TGID_Z_EN: 0
; COMPUTE_PGM_RSRC2:TIDIG_COMP_CNT: 0
	.section	.text._ZN9rocsparseL33bsr2csr_block_per_row_8_32_kernelILj1024ELj16ElllEEv20rocsparse_direction_T3_S2_21rocsparse_index_base_PKT1_PKT2_PKS2_S2_S3_PS4_PS7_PS2_,"axG",@progbits,_ZN9rocsparseL33bsr2csr_block_per_row_8_32_kernelILj1024ELj16ElllEEv20rocsparse_direction_T3_S2_21rocsparse_index_base_PKT1_PKT2_PKS2_S2_S3_PS4_PS7_PS2_,comdat
	.globl	_ZN9rocsparseL33bsr2csr_block_per_row_8_32_kernelILj1024ELj16ElllEEv20rocsparse_direction_T3_S2_21rocsparse_index_base_PKT1_PKT2_PKS2_S2_S3_PS4_PS7_PS2_ ; -- Begin function _ZN9rocsparseL33bsr2csr_block_per_row_8_32_kernelILj1024ELj16ElllEEv20rocsparse_direction_T3_S2_21rocsparse_index_base_PKT1_PKT2_PKS2_S2_S3_PS4_PS7_PS2_
	.p2align	8
	.type	_ZN9rocsparseL33bsr2csr_block_per_row_8_32_kernelILj1024ELj16ElllEEv20rocsparse_direction_T3_S2_21rocsparse_index_base_PKT1_PKT2_PKS2_S2_S3_PS4_PS7_PS2_,@function
_ZN9rocsparseL33bsr2csr_block_per_row_8_32_kernelILj1024ELj16ElllEEv20rocsparse_direction_T3_S2_21rocsparse_index_base_PKT1_PKT2_PKS2_S2_S3_PS4_PS7_PS2_: ; @_ZN9rocsparseL33bsr2csr_block_per_row_8_32_kernelILj1024ELj16ElllEEv20rocsparse_direction_T3_S2_21rocsparse_index_base_PKT1_PKT2_PKS2_S2_S3_PS4_PS7_PS2_
; %bb.0:
	s_clause 0x1
	s_load_b32 s6, s[0:1], 0x40
	s_load_b64 s[12:13], s[0:1], 0x50
	s_bfe_u32 s2, ttmp6, 0x4000c
	s_and_b32 s3, ttmp6, 15
	s_add_co_i32 s2, s2, 1
	s_getreg_b32 s4, hwreg(HW_REG_IB_STS2, 6, 4)
	s_mul_i32 s2, ttmp9, s2
	s_mov_b32 s15, 0
	s_add_co_i32 s3, s3, s2
	s_cmp_eq_u32 s4, 0
	s_mov_b32 s2, exec_lo
	s_cselect_b32 s14, ttmp9, s3
	s_delay_alu instid0(SALU_CYCLE_1) | instskip(NEXT) | instid1(VALU_DEP_1)
	v_or_b32_e32 v1, s14, v0
	v_cmpx_eq_u32_e32 0, v1
	s_cbranch_execz .LBB99_2
; %bb.1:
	s_wait_kmcnt 0x0
	v_dual_mov_b32 v2, s6 :: v_dual_mov_b32 v3, 0
	global_store_b64 v3, v[2:3], s[12:13]
.LBB99_2:
	s_wait_xcnt 0x0
	s_or_b32 exec_lo, exec_lo, s2
	v_dual_mov_b32 v3, 0 :: v_dual_bitop2_b32 v2, 15, v0 bitop3:0x40
	v_bfe_u32 v4, v0, 4, 4
	s_load_b64 s[2:3], s[0:1], 0x38
	s_mov_b32 s4, exec_lo
	s_delay_alu instid0(VALU_DEP_2) | instskip(NEXT) | instid1(VALU_DEP_1)
	v_mov_b32_e32 v5, v3
	v_max_i64 v[6:7], v[4:5], v[2:3]
	s_wait_kmcnt 0x0
	s_delay_alu instid0(VALU_DEP_1)
	v_cmpx_gt_i64_e64 s[2:3], v[6:7]
	s_cbranch_execz .LBB99_6
; %bb.3:
	s_clause 0x1
	s_load_b64 s[8:9], s[0:1], 0x28
	s_load_b32 s4, s[0:1], 0x18
	s_lshl_b64 s[10:11], s[14:15], 3
	s_mov_b32 s5, 0
	v_dual_mov_b32 v7, v3 :: v_dual_lshrrev_b32 v6, 8, v0
	s_mov_b32 s7, s5
	s_mul_u64 s[14:15], s[2:3], s[14:15]
	s_delay_alu instid0(SALU_CYCLE_1) | instskip(NEXT) | instid1(SALU_CYCLE_1)
	s_lshl_b64 s[14:15], s[14:15], 3
	s_add_nc_u64 s[12:13], s[12:13], s[14:15]
	s_wait_kmcnt 0x0
	s_add_nc_u64 s[16:17], s[8:9], s[10:11]
	s_load_b128 s[8:11], s[16:17], 0x0
	s_wait_kmcnt 0x0
	s_sub_nc_u64 s[18:19], s[8:9], s[4:5]
	s_sub_nc_u64 s[8:9], s[10:11], s[4:5]
	s_mul_u64 s[10:11], s[2:3], s[2:3]
	s_sub_nc_u64 s[16:17], s[8:9], s[18:19]
	s_mul_u64 s[22:23], s[18:19], s[10:11]
	s_mul_u64 s[20:21], s[16:17], s[2:3]
	v_add_nc_u64_e32 v[0:1], s[18:19], v[6:7]
	s_add_nc_u64 s[24:25], s[20:21], s[6:7]
	s_delay_alu instid0(SALU_CYCLE_1) | instskip(NEXT) | instid1(SALU_CYCLE_1)
	s_add_nc_u64 s[22:23], s[24:25], s[22:23]
	v_mad_nc_u64_u32 v[8:9], s20, v4, s[22:23]
	s_delay_alu instid0(VALU_DEP_2) | instskip(NEXT) | instid1(VALU_DEP_2)
	v_cmp_gt_i64_e32 vcc_lo, s[8:9], v[0:1]
	v_mad_u32 v9, s21, v4, v9
	global_store_b64 v4, v[8:9], s[12:13] offset:8 scale_offset
	s_wait_xcnt 0x0
	s_and_b32 exec_lo, exec_lo, vcc_lo
	s_cbranch_execz .LBB99_6
; %bb.4:
	v_mad_nc_u64_u32 v[6:7], s2, s18, v[6:7]
	s_mul_i32 s12, s3, s18
	s_mul_i32 s13, s2, s19
	v_mul_u64_e32 v[8:9], s[2:3], v[2:3]
	v_mul_u64_e32 v[10:11], s[2:3], v[4:5]
	s_load_b64 s[14:15], s[0:1], 0x20
	v_mul_u64_e32 v[12:13], s[10:11], v[0:1]
	v_dual_mov_b32 v15, 0 :: v_dual_lshlrev_b32 v14, 3, v4
	v_add3_u32 v7, s13, s12, v7
	s_delay_alu instid0(VALU_DEP_1) | instskip(NEXT) | instid1(VALU_DEP_1)
	v_mad_nc_u64_u32 v[6:7], s16, v4, v[6:7]
	v_mad_u32 v7, s17, v4, v7
	s_clause 0x2
	s_load_b64 s[16:17], s[0:1], 0x30
	s_load_b64 s[12:13], s[0:1], 0x48
	s_load_b32 s18, s[0:1], 0x0
	s_wait_kmcnt 0x0
	v_lshl_add_u64 v[4:5], v[8:9], 3, s[14:15]
	v_lshl_add_u64 v[8:9], v[10:11], 3, s[14:15]
	s_load_b64 s[0:1], s[0:1], 0x58
	s_delay_alu instid0(VALU_DEP_3)
	v_mul_u64_e32 v[6:7], s[2:3], v[6:7]
	s_mov_b32 s14, s5
	v_add_nc_u64_e32 v[4:5], v[4:5], v[14:15]
	s_cmp_eq_u32 s18, 0
	s_cselect_b32 vcc_lo, -1, 0
	v_lshlrev_b32_e32 v14, 3, v2
	v_add_nc_u64_e32 v[2:3], s[6:7], v[2:3]
	s_lshl_b64 s[6:7], s[10:11], 5
	s_lshl_b64 s[10:11], s[2:3], 5
	s_delay_alu instid0(VALU_DEP_2) | instskip(NEXT) | instid1(VALU_DEP_1)
	v_add_nc_u64_e32 v[8:9], v[8:9], v[14:15]
	v_dual_cndmask_b32 v5, v5, v9 :: v_dual_cndmask_b32 v4, v4, v8
	v_lshl_add_u64 v[8:9], v[0:1], 3, s[16:17]
	s_delay_alu instid0(VALU_DEP_2)
	v_lshl_add_u64 v[4:5], v[12:13], 3, v[4:5]
	v_lshl_add_u64 v[6:7], v[6:7], 3, v[14:15]
.LBB99_5:                               ; =>This Inner Loop Header: Depth=1
	global_load_b64 v[10:11], v[8:9], off
	global_load_b64 v[12:13], v[4:5], off
	v_add_nc_u64_e32 v[0:1], 4, v[0:1]
	s_wait_kmcnt 0x0
	v_add_nc_u64_e32 v[16:17], s[0:1], v[6:7]
	s_wait_xcnt 0x0
	v_add_nc_u64_e32 v[4:5], s[6:7], v[4:5]
	v_add_nc_u64_e32 v[8:9], 32, v[8:9]
	s_delay_alu instid0(VALU_DEP_4) | instskip(SKIP_3) | instid1(VALU_DEP_1)
	v_cmp_le_i64_e32 vcc_lo, s[8:9], v[0:1]
	s_or_b32 s14, vcc_lo, s14
	s_wait_loadcnt 0x1
	v_sub_nc_u64_e64 v[10:11], v[10:11], s[4:5]
	v_mad_nc_u64_u32 v[14:15], v10, s2, v[2:3]
	s_delay_alu instid0(VALU_DEP_1) | instskip(NEXT) | instid1(VALU_DEP_1)
	v_mad_u32 v11, v11, s2, v15
	v_mad_u32 v15, v10, s3, v11
	v_add_nc_u64_e32 v[10:11], s[12:13], v[6:7]
	v_add_nc_u64_e32 v[6:7], s[10:11], v[6:7]
	s_wait_loadcnt 0x0
	global_store_b64 v[10:11], v[12:13], off
	global_store_b64 v[16:17], v[14:15], off
	s_wait_xcnt 0x0
	s_and_not1_b32 exec_lo, exec_lo, s14
	s_cbranch_execnz .LBB99_5
.LBB99_6:
	s_endpgm
	.section	.rodata,"a",@progbits
	.p2align	6, 0x0
	.amdhsa_kernel _ZN9rocsparseL33bsr2csr_block_per_row_8_32_kernelILj1024ELj16ElllEEv20rocsparse_direction_T3_S2_21rocsparse_index_base_PKT1_PKT2_PKS2_S2_S3_PS4_PS7_PS2_
		.amdhsa_group_segment_fixed_size 0
		.amdhsa_private_segment_fixed_size 0
		.amdhsa_kernarg_size 96
		.amdhsa_user_sgpr_count 2
		.amdhsa_user_sgpr_dispatch_ptr 0
		.amdhsa_user_sgpr_queue_ptr 0
		.amdhsa_user_sgpr_kernarg_segment_ptr 1
		.amdhsa_user_sgpr_dispatch_id 0
		.amdhsa_user_sgpr_kernarg_preload_length 0
		.amdhsa_user_sgpr_kernarg_preload_offset 0
		.amdhsa_user_sgpr_private_segment_size 0
		.amdhsa_wavefront_size32 1
		.amdhsa_uses_dynamic_stack 0
		.amdhsa_enable_private_segment 0
		.amdhsa_system_sgpr_workgroup_id_x 1
		.amdhsa_system_sgpr_workgroup_id_y 0
		.amdhsa_system_sgpr_workgroup_id_z 0
		.amdhsa_system_sgpr_workgroup_info 0
		.amdhsa_system_vgpr_workitem_id 0
		.amdhsa_next_free_vgpr 18
		.amdhsa_next_free_sgpr 26
		.amdhsa_named_barrier_count 0
		.amdhsa_reserve_vcc 1
		.amdhsa_float_round_mode_32 0
		.amdhsa_float_round_mode_16_64 0
		.amdhsa_float_denorm_mode_32 3
		.amdhsa_float_denorm_mode_16_64 3
		.amdhsa_fp16_overflow 0
		.amdhsa_memory_ordered 1
		.amdhsa_forward_progress 1
		.amdhsa_inst_pref_size 6
		.amdhsa_round_robin_scheduling 0
		.amdhsa_exception_fp_ieee_invalid_op 0
		.amdhsa_exception_fp_denorm_src 0
		.amdhsa_exception_fp_ieee_div_zero 0
		.amdhsa_exception_fp_ieee_overflow 0
		.amdhsa_exception_fp_ieee_underflow 0
		.amdhsa_exception_fp_ieee_inexact 0
		.amdhsa_exception_int_div_zero 0
	.end_amdhsa_kernel
	.section	.text._ZN9rocsparseL33bsr2csr_block_per_row_8_32_kernelILj1024ELj16ElllEEv20rocsparse_direction_T3_S2_21rocsparse_index_base_PKT1_PKT2_PKS2_S2_S3_PS4_PS7_PS2_,"axG",@progbits,_ZN9rocsparseL33bsr2csr_block_per_row_8_32_kernelILj1024ELj16ElllEEv20rocsparse_direction_T3_S2_21rocsparse_index_base_PKT1_PKT2_PKS2_S2_S3_PS4_PS7_PS2_,comdat
.Lfunc_end99:
	.size	_ZN9rocsparseL33bsr2csr_block_per_row_8_32_kernelILj1024ELj16ElllEEv20rocsparse_direction_T3_S2_21rocsparse_index_base_PKT1_PKT2_PKS2_S2_S3_PS4_PS7_PS2_, .Lfunc_end99-_ZN9rocsparseL33bsr2csr_block_per_row_8_32_kernelILj1024ELj16ElllEEv20rocsparse_direction_T3_S2_21rocsparse_index_base_PKT1_PKT2_PKS2_S2_S3_PS4_PS7_PS2_
                                        ; -- End function
	.set _ZN9rocsparseL33bsr2csr_block_per_row_8_32_kernelILj1024ELj16ElllEEv20rocsparse_direction_T3_S2_21rocsparse_index_base_PKT1_PKT2_PKS2_S2_S3_PS4_PS7_PS2_.num_vgpr, 18
	.set _ZN9rocsparseL33bsr2csr_block_per_row_8_32_kernelILj1024ELj16ElllEEv20rocsparse_direction_T3_S2_21rocsparse_index_base_PKT1_PKT2_PKS2_S2_S3_PS4_PS7_PS2_.num_agpr, 0
	.set _ZN9rocsparseL33bsr2csr_block_per_row_8_32_kernelILj1024ELj16ElllEEv20rocsparse_direction_T3_S2_21rocsparse_index_base_PKT1_PKT2_PKS2_S2_S3_PS4_PS7_PS2_.numbered_sgpr, 26
	.set _ZN9rocsparseL33bsr2csr_block_per_row_8_32_kernelILj1024ELj16ElllEEv20rocsparse_direction_T3_S2_21rocsparse_index_base_PKT1_PKT2_PKS2_S2_S3_PS4_PS7_PS2_.num_named_barrier, 0
	.set _ZN9rocsparseL33bsr2csr_block_per_row_8_32_kernelILj1024ELj16ElllEEv20rocsparse_direction_T3_S2_21rocsparse_index_base_PKT1_PKT2_PKS2_S2_S3_PS4_PS7_PS2_.private_seg_size, 0
	.set _ZN9rocsparseL33bsr2csr_block_per_row_8_32_kernelILj1024ELj16ElllEEv20rocsparse_direction_T3_S2_21rocsparse_index_base_PKT1_PKT2_PKS2_S2_S3_PS4_PS7_PS2_.uses_vcc, 1
	.set _ZN9rocsparseL33bsr2csr_block_per_row_8_32_kernelILj1024ELj16ElllEEv20rocsparse_direction_T3_S2_21rocsparse_index_base_PKT1_PKT2_PKS2_S2_S3_PS4_PS7_PS2_.uses_flat_scratch, 0
	.set _ZN9rocsparseL33bsr2csr_block_per_row_8_32_kernelILj1024ELj16ElllEEv20rocsparse_direction_T3_S2_21rocsparse_index_base_PKT1_PKT2_PKS2_S2_S3_PS4_PS7_PS2_.has_dyn_sized_stack, 0
	.set _ZN9rocsparseL33bsr2csr_block_per_row_8_32_kernelILj1024ELj16ElllEEv20rocsparse_direction_T3_S2_21rocsparse_index_base_PKT1_PKT2_PKS2_S2_S3_PS4_PS7_PS2_.has_recursion, 0
	.set _ZN9rocsparseL33bsr2csr_block_per_row_8_32_kernelILj1024ELj16ElllEEv20rocsparse_direction_T3_S2_21rocsparse_index_base_PKT1_PKT2_PKS2_S2_S3_PS4_PS7_PS2_.has_indirect_call, 0
	.section	.AMDGPU.csdata,"",@progbits
; Kernel info:
; codeLenInByte = 708
; TotalNumSgprs: 28
; NumVgprs: 18
; ScratchSize: 0
; MemoryBound: 0
; FloatMode: 240
; IeeeMode: 1
; LDSByteSize: 0 bytes/workgroup (compile time only)
; SGPRBlocks: 0
; VGPRBlocks: 1
; NumSGPRsForWavesPerEU: 28
; NumVGPRsForWavesPerEU: 18
; NamedBarCnt: 0
; Occupancy: 16
; WaveLimiterHint : 0
; COMPUTE_PGM_RSRC2:SCRATCH_EN: 0
; COMPUTE_PGM_RSRC2:USER_SGPR: 2
; COMPUTE_PGM_RSRC2:TRAP_HANDLER: 0
; COMPUTE_PGM_RSRC2:TGID_X_EN: 1
; COMPUTE_PGM_RSRC2:TGID_Y_EN: 0
; COMPUTE_PGM_RSRC2:TGID_Z_EN: 0
; COMPUTE_PGM_RSRC2:TIDIG_COMP_CNT: 0
	.section	.text._ZN9rocsparseL33bsr2csr_block_per_row_8_32_kernelILj1024ELj32ElllEEv20rocsparse_direction_T3_S2_21rocsparse_index_base_PKT1_PKT2_PKS2_S2_S3_PS4_PS7_PS2_,"axG",@progbits,_ZN9rocsparseL33bsr2csr_block_per_row_8_32_kernelILj1024ELj32ElllEEv20rocsparse_direction_T3_S2_21rocsparse_index_base_PKT1_PKT2_PKS2_S2_S3_PS4_PS7_PS2_,comdat
	.globl	_ZN9rocsparseL33bsr2csr_block_per_row_8_32_kernelILj1024ELj32ElllEEv20rocsparse_direction_T3_S2_21rocsparse_index_base_PKT1_PKT2_PKS2_S2_S3_PS4_PS7_PS2_ ; -- Begin function _ZN9rocsparseL33bsr2csr_block_per_row_8_32_kernelILj1024ELj32ElllEEv20rocsparse_direction_T3_S2_21rocsparse_index_base_PKT1_PKT2_PKS2_S2_S3_PS4_PS7_PS2_
	.p2align	8
	.type	_ZN9rocsparseL33bsr2csr_block_per_row_8_32_kernelILj1024ELj32ElllEEv20rocsparse_direction_T3_S2_21rocsparse_index_base_PKT1_PKT2_PKS2_S2_S3_PS4_PS7_PS2_,@function
_ZN9rocsparseL33bsr2csr_block_per_row_8_32_kernelILj1024ELj32ElllEEv20rocsparse_direction_T3_S2_21rocsparse_index_base_PKT1_PKT2_PKS2_S2_S3_PS4_PS7_PS2_: ; @_ZN9rocsparseL33bsr2csr_block_per_row_8_32_kernelILj1024ELj32ElllEEv20rocsparse_direction_T3_S2_21rocsparse_index_base_PKT1_PKT2_PKS2_S2_S3_PS4_PS7_PS2_
; %bb.0:
	s_clause 0x1
	s_load_b32 s10, s[0:1], 0x40
	s_load_b64 s[16:17], s[0:1], 0x50
	s_bfe_u32 s2, ttmp6, 0x4000c
	s_and_b32 s3, ttmp6, 15
	s_add_co_i32 s2, s2, 1
	s_getreg_b32 s4, hwreg(HW_REG_IB_STS2, 6, 4)
	s_mul_i32 s2, ttmp9, s2
	s_mov_b32 s23, 0
	s_add_co_i32 s3, s3, s2
	s_cmp_eq_u32 s4, 0
	s_mov_b32 s2, exec_lo
	s_cselect_b32 s22, ttmp9, s3
	s_delay_alu instid0(SALU_CYCLE_1) | instskip(NEXT) | instid1(VALU_DEP_1)
	v_or_b32_e32 v1, s22, v0
	v_cmpx_eq_u32_e32 0, v1
	s_cbranch_execz .LBB100_2
; %bb.1:
	s_wait_kmcnt 0x0
	v_dual_mov_b32 v2, s10 :: v_dual_mov_b32 v3, 0
	global_store_b64 v3, v[2:3], s[16:17]
.LBB100_2:
	s_wait_xcnt 0x0
	s_or_b32 exec_lo, exec_lo, s2
	v_dual_mov_b32 v3, 0 :: v_dual_bitop2_b32 v2, 31, v0 bitop3:0x40
	v_lshrrev_b32_e32 v0, 5, v0
	s_load_b64 s[2:3], s[0:1], 0x38
	s_mov_b32 s4, exec_lo
	s_delay_alu instid0(VALU_DEP_2) | instskip(NEXT) | instid1(VALU_DEP_1)
	v_mov_b32_e32 v1, v3
	v_max_i64 v[4:5], v[0:1], v[2:3]
	s_wait_kmcnt 0x0
	s_delay_alu instid0(VALU_DEP_1)
	v_cmpx_gt_i64_e64 s[2:3], v[4:5]
	s_cbranch_execz .LBB100_6
; %bb.3:
	s_clause 0x1
	s_load_b64 s[4:5], s[0:1], 0x28
	s_load_b32 s8, s[0:1], 0x18
	s_lshl_b64 s[6:7], s[22:23], 3
	s_mov_b32 s9, 0
	s_mul_u64 s[18:19], s[2:3], s[2:3]
	s_mov_b32 s11, s9
	s_wait_kmcnt 0x0
	s_add_nc_u64 s[12:13], s[4:5], s[6:7]
	s_load_b128 s[4:7], s[12:13], 0x0
	s_wait_kmcnt 0x0
	s_sub_nc_u64 s[12:13], s[4:5], s[8:9]
	s_sub_nc_u64 s[14:15], s[6:7], s[8:9]
	s_mul_u64 s[20:21], s[12:13], s[18:19]
	s_sub_nc_u64 s[24:25], s[14:15], s[12:13]
	s_delay_alu instid0(SALU_CYCLE_1) | instskip(NEXT) | instid1(SALU_CYCLE_1)
	s_mul_u64 s[26:27], s[24:25], s[2:3]
	s_add_nc_u64 s[28:29], s[26:27], s[10:11]
	s_delay_alu instid0(SALU_CYCLE_1) | instskip(NEXT) | instid1(SALU_CYCLE_1)
	s_add_nc_u64 s[28:29], s[28:29], s[20:21]
	v_mad_nc_u64_u32 v[4:5], s26, v0, s[28:29]
	v_cmp_ge_i64_e64 s26, s[4:5], s[6:7]
	s_mul_u64 s[6:7], s[2:3], s[22:23]
	s_delay_alu instid0(SALU_CYCLE_1) | instskip(NEXT) | instid1(SALU_CYCLE_1)
	s_lshl_b64 s[6:7], s[6:7], 3
	s_add_nc_u64 s[6:7], s[16:17], s[6:7]
	s_and_b32 vcc_lo, exec_lo, s26
	v_mad_u32 v5, s27, v0, v5
	global_store_b64 v0, v[4:5], s[6:7] offset:8 scale_offset
	s_cbranch_vccnz .LBB100_6
; %bb.4:
	s_wait_xcnt 0x0
	s_mul_u64 s[6:7], s[2:3], s[12:13]
	v_mul_u64_e32 v[4:5], s[2:3], v[2:3]
	v_mad_nc_u64_u32 v[6:7], v0, s24, s[6:7]
	v_mul_u64_e32 v[8:9], s[2:3], v[0:1]
	s_clause 0x3
	s_load_b64 s[16:17], s[0:1], 0x20
	s_load_b64 s[22:23], s[0:1], 0x30
	;; [unrolled: 1-line block ×3, first 2 shown]
	s_load_b32 s24, s[0:1], 0x0
	v_dual_mov_b32 v11, 0 :: v_dual_lshlrev_b32 v10, 3, v0
	s_wait_xcnt 0x0
	s_load_b64 s[0:1], s[0:1], 0x58
	s_delay_alu instid0(VALU_DEP_3) | instskip(NEXT) | instid1(VALU_DEP_1)
	v_mad_u32 v7, v0, s25, v7
	v_mul_u64_e32 v[6:7], s[2:3], v[6:7]
	s_wait_kmcnt 0x0
	s_cmp_eq_u32 s24, 0
	s_cselect_b32 vcc_lo, -1, 0
	s_lshl_b64 s[4:5], s[4:5], 3
	v_lshl_add_u64 v[0:1], v[4:5], 3, s[16:17]
	v_lshl_add_u64 v[4:5], v[8:9], 3, s[16:17]
	s_lshl_b64 s[16:17], s[8:9], 3
	s_delay_alu instid0(VALU_DEP_2) | instskip(SKIP_4) | instid1(VALU_DEP_1)
	v_add_nc_u64_e32 v[0:1], v[0:1], v[10:11]
	v_lshlrev_b32_e32 v10, 3, v2
	s_sub_nc_u64 s[16:17], s[4:5], s[16:17]
	s_lshl_b64 s[4:5], s[2:3], 3
	s_add_nc_u64 s[16:17], s[22:23], s[16:17]
	v_add_nc_u64_e32 v[4:5], v[4:5], v[10:11]
	s_delay_alu instid0(VALU_DEP_1) | instskip(SKIP_2) | instid1(VALU_DEP_2)
	v_dual_cndmask_b32 v5, v1, v5 :: v_dual_cndmask_b32 v4, v0, v4
	v_add_nc_u64_e32 v[0:1], s[10:11], v[2:3]
	s_lshl_b64 s[10:11], s[18:19], 3
	v_lshl_add_u64 v[2:3], s[20:21], 3, v[4:5]
	v_lshl_add_u64 v[4:5], v[6:7], 3, v[10:11]
.LBB100_5:                              ; =>This Inner Loop Header: Depth=1
	global_load_b64 v[6:7], v[2:3], off
	s_load_b64 s[18:19], s[16:17], 0x0
	s_add_nc_u64 s[12:13], s[12:13], 1
	v_add_nc_u64_e32 v[8:9], s[0:1], v[4:5]
	v_cmp_lt_i64_e64 s20, s[12:13], s[14:15]
	v_add_nc_u64_e32 v[10:11], s[6:7], v[4:5]
	v_add_nc_u64_e32 v[2:3], s[10:11], v[2:3]
	;; [unrolled: 1-line block ×3, first 2 shown]
	s_wait_xcnt 0x0
	s_add_nc_u64 s[16:17], s[16:17], 8
	s_and_b32 vcc_lo, exec_lo, s20
	s_wait_kmcnt 0x0
	s_sub_nc_u64 s[18:19], s[18:19], s[8:9]
	s_delay_alu instid0(SALU_CYCLE_1)
	v_mad_nc_u64_u32 v[12:13], s18, s2, v[0:1]
	s_mul_i32 s19, s19, s2
	s_mul_i32 s18, s18, s3
	s_delay_alu instid0(VALU_DEP_1) | instid1(SALU_CYCLE_1)
	v_add3_u32 v13, s18, s19, v13
	global_store_b64 v[8:9], v[12:13], off
	s_wait_loadcnt 0x0
	global_store_b64 v[10:11], v[6:7], off
	s_cbranch_vccnz .LBB100_5
.LBB100_6:
	s_endpgm
	.section	.rodata,"a",@progbits
	.p2align	6, 0x0
	.amdhsa_kernel _ZN9rocsparseL33bsr2csr_block_per_row_8_32_kernelILj1024ELj32ElllEEv20rocsparse_direction_T3_S2_21rocsparse_index_base_PKT1_PKT2_PKS2_S2_S3_PS4_PS7_PS2_
		.amdhsa_group_segment_fixed_size 0
		.amdhsa_private_segment_fixed_size 0
		.amdhsa_kernarg_size 96
		.amdhsa_user_sgpr_count 2
		.amdhsa_user_sgpr_dispatch_ptr 0
		.amdhsa_user_sgpr_queue_ptr 0
		.amdhsa_user_sgpr_kernarg_segment_ptr 1
		.amdhsa_user_sgpr_dispatch_id 0
		.amdhsa_user_sgpr_kernarg_preload_length 0
		.amdhsa_user_sgpr_kernarg_preload_offset 0
		.amdhsa_user_sgpr_private_segment_size 0
		.amdhsa_wavefront_size32 1
		.amdhsa_uses_dynamic_stack 0
		.amdhsa_enable_private_segment 0
		.amdhsa_system_sgpr_workgroup_id_x 1
		.amdhsa_system_sgpr_workgroup_id_y 0
		.amdhsa_system_sgpr_workgroup_id_z 0
		.amdhsa_system_sgpr_workgroup_info 0
		.amdhsa_system_vgpr_workitem_id 0
		.amdhsa_next_free_vgpr 14
		.amdhsa_next_free_sgpr 30
		.amdhsa_named_barrier_count 0
		.amdhsa_reserve_vcc 1
		.amdhsa_float_round_mode_32 0
		.amdhsa_float_round_mode_16_64 0
		.amdhsa_float_denorm_mode_32 3
		.amdhsa_float_denorm_mode_16_64 3
		.amdhsa_fp16_overflow 0
		.amdhsa_memory_ordered 1
		.amdhsa_forward_progress 1
		.amdhsa_inst_pref_size 6
		.amdhsa_round_robin_scheduling 0
		.amdhsa_exception_fp_ieee_invalid_op 0
		.amdhsa_exception_fp_denorm_src 0
		.amdhsa_exception_fp_ieee_div_zero 0
		.amdhsa_exception_fp_ieee_overflow 0
		.amdhsa_exception_fp_ieee_underflow 0
		.amdhsa_exception_fp_ieee_inexact 0
		.amdhsa_exception_int_div_zero 0
	.end_amdhsa_kernel
	.section	.text._ZN9rocsparseL33bsr2csr_block_per_row_8_32_kernelILj1024ELj32ElllEEv20rocsparse_direction_T3_S2_21rocsparse_index_base_PKT1_PKT2_PKS2_S2_S3_PS4_PS7_PS2_,"axG",@progbits,_ZN9rocsparseL33bsr2csr_block_per_row_8_32_kernelILj1024ELj32ElllEEv20rocsparse_direction_T3_S2_21rocsparse_index_base_PKT1_PKT2_PKS2_S2_S3_PS4_PS7_PS2_,comdat
.Lfunc_end100:
	.size	_ZN9rocsparseL33bsr2csr_block_per_row_8_32_kernelILj1024ELj32ElllEEv20rocsparse_direction_T3_S2_21rocsparse_index_base_PKT1_PKT2_PKS2_S2_S3_PS4_PS7_PS2_, .Lfunc_end100-_ZN9rocsparseL33bsr2csr_block_per_row_8_32_kernelILj1024ELj32ElllEEv20rocsparse_direction_T3_S2_21rocsparse_index_base_PKT1_PKT2_PKS2_S2_S3_PS4_PS7_PS2_
                                        ; -- End function
	.set _ZN9rocsparseL33bsr2csr_block_per_row_8_32_kernelILj1024ELj32ElllEEv20rocsparse_direction_T3_S2_21rocsparse_index_base_PKT1_PKT2_PKS2_S2_S3_PS4_PS7_PS2_.num_vgpr, 14
	.set _ZN9rocsparseL33bsr2csr_block_per_row_8_32_kernelILj1024ELj32ElllEEv20rocsparse_direction_T3_S2_21rocsparse_index_base_PKT1_PKT2_PKS2_S2_S3_PS4_PS7_PS2_.num_agpr, 0
	.set _ZN9rocsparseL33bsr2csr_block_per_row_8_32_kernelILj1024ELj32ElllEEv20rocsparse_direction_T3_S2_21rocsparse_index_base_PKT1_PKT2_PKS2_S2_S3_PS4_PS7_PS2_.numbered_sgpr, 30
	.set _ZN9rocsparseL33bsr2csr_block_per_row_8_32_kernelILj1024ELj32ElllEEv20rocsparse_direction_T3_S2_21rocsparse_index_base_PKT1_PKT2_PKS2_S2_S3_PS4_PS7_PS2_.num_named_barrier, 0
	.set _ZN9rocsparseL33bsr2csr_block_per_row_8_32_kernelILj1024ELj32ElllEEv20rocsparse_direction_T3_S2_21rocsparse_index_base_PKT1_PKT2_PKS2_S2_S3_PS4_PS7_PS2_.private_seg_size, 0
	.set _ZN9rocsparseL33bsr2csr_block_per_row_8_32_kernelILj1024ELj32ElllEEv20rocsparse_direction_T3_S2_21rocsparse_index_base_PKT1_PKT2_PKS2_S2_S3_PS4_PS7_PS2_.uses_vcc, 1
	.set _ZN9rocsparseL33bsr2csr_block_per_row_8_32_kernelILj1024ELj32ElllEEv20rocsparse_direction_T3_S2_21rocsparse_index_base_PKT1_PKT2_PKS2_S2_S3_PS4_PS7_PS2_.uses_flat_scratch, 0
	.set _ZN9rocsparseL33bsr2csr_block_per_row_8_32_kernelILj1024ELj32ElllEEv20rocsparse_direction_T3_S2_21rocsparse_index_base_PKT1_PKT2_PKS2_S2_S3_PS4_PS7_PS2_.has_dyn_sized_stack, 0
	.set _ZN9rocsparseL33bsr2csr_block_per_row_8_32_kernelILj1024ELj32ElllEEv20rocsparse_direction_T3_S2_21rocsparse_index_base_PKT1_PKT2_PKS2_S2_S3_PS4_PS7_PS2_.has_recursion, 0
	.set _ZN9rocsparseL33bsr2csr_block_per_row_8_32_kernelILj1024ELj32ElllEEv20rocsparse_direction_T3_S2_21rocsparse_index_base_PKT1_PKT2_PKS2_S2_S3_PS4_PS7_PS2_.has_indirect_call, 0
	.section	.AMDGPU.csdata,"",@progbits
; Kernel info:
; codeLenInByte = 660
; TotalNumSgprs: 32
; NumVgprs: 14
; ScratchSize: 0
; MemoryBound: 0
; FloatMode: 240
; IeeeMode: 1
; LDSByteSize: 0 bytes/workgroup (compile time only)
; SGPRBlocks: 0
; VGPRBlocks: 0
; NumSGPRsForWavesPerEU: 32
; NumVGPRsForWavesPerEU: 14
; NamedBarCnt: 0
; Occupancy: 16
; WaveLimiterHint : 0
; COMPUTE_PGM_RSRC2:SCRATCH_EN: 0
; COMPUTE_PGM_RSRC2:USER_SGPR: 2
; COMPUTE_PGM_RSRC2:TRAP_HANDLER: 0
; COMPUTE_PGM_RSRC2:TGID_X_EN: 1
; COMPUTE_PGM_RSRC2:TGID_Y_EN: 0
; COMPUTE_PGM_RSRC2:TGID_Z_EN: 0
; COMPUTE_PGM_RSRC2:TIDIG_COMP_CNT: 0
	.section	.text._ZN9rocsparseL35bsr2csr_block_per_row_33_256_kernelILj1024ELj64ELj32ElllEEv20rocsparse_direction_T4_S2_21rocsparse_index_base_PKT2_PKT3_PKS2_S2_S3_PS4_PS7_PS2_,"axG",@progbits,_ZN9rocsparseL35bsr2csr_block_per_row_33_256_kernelILj1024ELj64ELj32ElllEEv20rocsparse_direction_T4_S2_21rocsparse_index_base_PKT2_PKT3_PKS2_S2_S3_PS4_PS7_PS2_,comdat
	.globl	_ZN9rocsparseL35bsr2csr_block_per_row_33_256_kernelILj1024ELj64ELj32ElllEEv20rocsparse_direction_T4_S2_21rocsparse_index_base_PKT2_PKT3_PKS2_S2_S3_PS4_PS7_PS2_ ; -- Begin function _ZN9rocsparseL35bsr2csr_block_per_row_33_256_kernelILj1024ELj64ELj32ElllEEv20rocsparse_direction_T4_S2_21rocsparse_index_base_PKT2_PKT3_PKS2_S2_S3_PS4_PS7_PS2_
	.p2align	8
	.type	_ZN9rocsparseL35bsr2csr_block_per_row_33_256_kernelILj1024ELj64ELj32ElllEEv20rocsparse_direction_T4_S2_21rocsparse_index_base_PKT2_PKT3_PKS2_S2_S3_PS4_PS7_PS2_,@function
_ZN9rocsparseL35bsr2csr_block_per_row_33_256_kernelILj1024ELj64ELj32ElllEEv20rocsparse_direction_T4_S2_21rocsparse_index_base_PKT2_PKT3_PKS2_S2_S3_PS4_PS7_PS2_: ; @_ZN9rocsparseL35bsr2csr_block_per_row_33_256_kernelILj1024ELj64ELj32ElllEEv20rocsparse_direction_T4_S2_21rocsparse_index_base_PKT2_PKT3_PKS2_S2_S3_PS4_PS7_PS2_
; %bb.0:
	s_load_b64 s[8:9], s[0:1], 0x28
	s_bfe_u32 s2, ttmp6, 0x4000c
	s_and_b32 s3, ttmp6, 15
	s_add_co_i32 s2, s2, 1
	s_getreg_b32 s4, hwreg(HW_REG_IB_STS2, 6, 4)
	s_mul_i32 s2, ttmp9, s2
	s_mov_b32 s7, 0
	s_add_co_i32 s3, s3, s2
	s_cmp_eq_u32 s4, 0
	s_clause 0x1
	s_load_b32 s12, s[0:1], 0x40
	s_load_b64 s[4:5], s[0:1], 0x50
	s_cselect_b32 s2, ttmp9, s3
	s_mov_b32 s3, s7
	v_or_b32_e32 v1, s2, v0
	s_lshl_b64 s[10:11], s[2:3], 3
	s_mov_b32 s13, s7
	s_mov_b32 s6, exec_lo
	s_wait_kmcnt 0x0
	s_add_nc_u64 s[14:15], s[8:9], s[10:11]
	s_load_b128 s[8:11], s[14:15], 0x0
	v_cmpx_eq_u32_e32 0, v1
	s_cbranch_execz .LBB101_2
; %bb.1:
	v_mov_b64_e32 v[2:3], s[12:13]
	v_mov_b32_e32 v1, 0
	global_store_b64 v1, v[2:3], s[4:5]
.LBB101_2:
	s_wait_xcnt 0x0
	s_or_b32 exec_lo, exec_lo, s6
	s_clause 0x1
	s_load_b32 s6, s[0:1], 0x18
	s_load_b64 s[14:15], s[0:1], 0x38
	v_dual_mov_b32 v3, 0 :: v_dual_lshrrev_b32 v2, 5, v0
	s_wait_kmcnt 0x0
	s_sub_nc_u64 s[16:17], s[8:9], s[6:7]
	s_sub_nc_u64 s[18:19], s[10:11], s[6:7]
	s_mul_u64 s[20:21], s[14:15], s[16:17]
	s_mul_u64 s[24:25], s[14:15], s[2:3]
	v_cmp_gt_i64_e64 s3, s[14:15], v[2:3]
	s_sub_nc_u64 s[26:27], s[18:19], s[16:17]
	s_mul_u64 s[28:29], s[20:21], s[14:15]
	s_mul_u64 s[22:23], s[26:27], s[14:15]
	s_add_nc_u64 s[28:29], s[28:29], s[12:13]
	s_lshl_b64 s[24:25], s[24:25], 3
	s_add_nc_u64 s[28:29], s[28:29], s[22:23]
	s_add_nc_u64 s[24:25], s[4:5], s[24:25]
	s_and_saveexec_b32 s2, s3
	s_cbranch_execz .LBB101_4
; %bb.3:
	v_mad_nc_u64_u32 v[4:5], v2, s22, s[28:29]
	s_delay_alu instid0(VALU_DEP_1)
	v_mad_u32 v5, v2, s23, v5
	global_store_b64 v2, v[4:5], s[24:25] offset:8 scale_offset
.LBB101_4:
	s_wait_xcnt 0x0
	s_or_b32 exec_lo, exec_lo, s2
	v_dual_mov_b32 v5, v3 :: v_dual_bitop2_b32 v4, 32, v2 bitop3:0x54
	s_delay_alu instid0(VALU_DEP_1)
	v_cmp_gt_i64_e64 s4, s[14:15], v[4:5]
	s_and_saveexec_b32 s2, s4
	s_cbranch_execz .LBB101_6
; %bb.5:
	v_mad_nc_u64_u32 v[6:7], v4, s22, s[28:29]
	s_delay_alu instid0(VALU_DEP_1)
	v_mad_u32 v7, v4, s23, v7
	global_store_b64 v2, v[6:7], s[24:25] offset:264 scale_offset
.LBB101_6:
	s_wait_xcnt 0x0
	s_or_b32 exec_lo, exec_lo, s2
	v_cmp_lt_i64_e64 s2, s[8:9], s[10:11]
	s_and_b32 vcc_lo, exec_lo, s2
	s_cbranch_vccz .LBB101_17
; %bb.7:
	s_clause 0x2
	s_load_b64 s[22:23], s[0:1], 0x30
	s_load_b64 s[24:25], s[0:1], 0x48
	s_load_b32 s2, s[0:1], 0x0
	v_mad_nc_u64_u32 v[4:5], v2, s26, s[20:21]
	v_dual_mov_b32 v1, 0 :: v_dual_bitop2_b32 v0, 31, v0 bitop3:0x40
	s_delay_alu instid0(VALU_DEP_1) | instskip(SKIP_1) | instid1(VALU_DEP_3)
	v_dual_mov_b32 v13, v1 :: v_dual_lshlrev_b32 v12, 3, v2
	v_mov_b32_e32 v3, v1
	v_cmp_gt_i64_e32 vcc_lo, s[14:15], v[0:1]
	v_mad_u32 v5, v2, s27, v5
	v_lshlrev_b32_e32 v2, 3, v0
	s_wait_kmcnt 0x0
	s_cmp_eq_u32 s2, 0
	s_cselect_b32 s2, -1, 0
	s_lshl_b64 s[10:11], s[10:11], 5
	s_lshl_b64 s[26:27], s[8:9], 5
	s_delay_alu instid0(VALU_DEP_2)
	v_add_nc_u64_e32 v[6:7], s[10:11], v[4:5]
	s_load_b64 s[10:11], s[0:1], 0x20
	s_lshl_b64 s[20:21], s[20:21], 3
	v_mul_u64_e32 v[20:21], s[14:15], v[4:5]
	v_add_nc_u64_e32 v[14:15], s[20:21], v[12:13]
	v_add_nc_u64_e32 v[16:17], s[20:21], v[2:3]
	s_load_b64 s[20:21], s[0:1], 0x58
	v_sub_nc_u64_e64 v[6:7], v[6:7], s[26:27]
	v_dual_mov_b32 v5, v1 :: v_dual_bitop2_b32 v4, 32, v0 bitop3:0x54
	s_and_b32 s26, s3, vcc_lo
	s_delay_alu instid0(VALU_DEP_4) | instskip(NEXT) | instid1(VALU_DEP_4)
	v_add_nc_u64_e32 v[22:23], 0x100, v[14:15]
	v_add_nc_u64_e32 v[24:25], 0x100, v[16:17]
	v_mad_nc_u64_u32 v[8:9], s14, v16, v[12:13]
	v_mul_u64_e32 v[18:19], s[14:15], v[6:7]
	s_wait_xcnt 0x0
	v_cmp_gt_i64_e64 s0, s[14:15], v[4:5]
	s_and_b32 s27, s4, vcc_lo
	v_mad_nc_u64_u32 v[12:13], s14, v24, v[12:13]
	s_wait_kmcnt 0x0
	v_mad_nc_u64_u32 v[6:7], s14, v14, s[10:11]
	v_mad_nc_u64_u32 v[10:11], s14, v22, s[10:11]
	s_and_b32 s3, s3, s0
	v_mad_u32 v9, s15, v16, v9
	s_and_b32 s28, s4, s0
	s_lshl_b64 s[0:1], s[8:9], 3
	s_lshl_b64 s[4:5], s[6:7], 3
	s_mul_u64 s[8:9], s[14:15], s[14:15]
	s_sub_nc_u64 s[4:5], s[0:1], s[4:5]
	v_mad_u32 v13, s15, v24, v13
	s_lshl_b64 s[0:1], s[8:9], 3
	v_mad_u32 v7, s15, v14, v7
	v_mad_u32 v11, s15, v22, v11
	s_add_nc_u64 s[4:5], s[22:23], s[4:5]
	v_lshl_add_u64 v[20:21], v[20:21], 3, 0x100
	v_mad_u32 v9, s14, v17, v9
	s_lshl_b64 s[8:9], s[14:15], 3
	v_mad_u32 v13, s14, v25, v13
	v_mad_u32 v7, s14, v15, v7
	;; [unrolled: 1-line block ×3, first 2 shown]
	v_add_nc_u64_e32 v[14:15], s[20:21], v[20:21]
	v_lshlrev_b64_e32 v[18:19], 3, v[18:19]
	v_add_nc_u64_e32 v[20:21], s[24:25], v[20:21]
	s_delay_alu instid0(VALU_DEP_2)
	v_add_nc_u64_e32 v[16:17], s[24:25], v[18:19]
	v_add_nc_u64_e32 v[18:19], s[20:21], v[18:19]
	s_branch .LBB101_9
.LBB101_8:                              ;   in Loop: Header=BB101_9 Depth=1
	s_wait_xcnt 0x0
	s_or_b32 exec_lo, exec_lo, s20
	s_add_nc_u64 s[16:17], s[16:17], 1
	v_add_nc_u64_e32 v[10:11], s[0:1], v[10:11]
	v_cmp_ge_i64_e64 s20, s[16:17], s[18:19]
	v_add_nc_u64_e32 v[6:7], s[0:1], v[6:7]
	v_add_nc_u64_e32 v[14:15], s[8:9], v[14:15]
	;; [unrolled: 1-line block ×5, first 2 shown]
	s_add_nc_u64 s[10:11], s[10:11], s[0:1]
	s_and_b32 vcc_lo, exec_lo, s20
	s_add_nc_u64 s[4:5], s[4:5], 8
	s_cbranch_vccnz .LBB101_17
.LBB101_9:                              ; =>This Inner Loop Header: Depth=1
	s_load_b64 s[20:21], s[4:5], 0x0
	v_add_nc_u64_e32 v[30:31], v[14:15], v[2:3]
	s_delay_alu instid0(VALU_DEP_2) | instskip(SKIP_4) | instid1(SALU_CYCLE_1)
	v_add_nc_u64_e32 v[32:33], v[20:21], v[2:3]
	v_add_nc_u64_e32 v[34:35], v[6:7], v[2:3]
	;; [unrolled: 1-line block ×3, first 2 shown]
	s_wait_kmcnt 0x0
	s_sub_nc_u64 s[20:21], s[20:21], s[6:7]
	s_mul_u64 s[20:21], s[20:21], s[14:15]
	s_delay_alu instid0(SALU_CYCLE_1) | instskip(NEXT) | instid1(SALU_CYCLE_1)
	s_add_nc_u64 s[20:21], s[20:21], s[12:13]
	v_add_nc_u64_e32 v[22:23], s[20:21], v[0:1]
	s_and_saveexec_b32 s22, s26
	s_cbranch_execz .LBB101_11
; %bb.10:                               ;   in Loop: Header=BB101_9 Depth=1
	v_dual_cndmask_b32 v25, v29, v35, s2 :: v_dual_cndmask_b32 v24, v28, v34, s2
	global_load_b64 v[24:25], v[24:25], off
	global_store_b64 v[30:31], v[22:23], off offset:-256
	s_wait_loadcnt 0x0
	global_store_b64 v[32:33], v[24:25], off offset:-256
.LBB101_11:                             ;   in Loop: Header=BB101_9 Depth=1
	s_wait_xcnt 0x0
	s_or_b32 exec_lo, exec_lo, s22
	v_add_nc_u64_e32 v[24:25], s[20:21], v[4:5]
	v_add_nc_u64_e32 v[26:27], s[10:11], v[12:13]
	s_and_saveexec_b32 s20, s3
	s_cbranch_execz .LBB101_13
; %bb.12:                               ;   in Loop: Header=BB101_9 Depth=1
	v_add_nc_u64_e32 v[34:35], 0x100, v[34:35]
	s_delay_alu instid0(VALU_DEP_1)
	v_dual_cndmask_b32 v35, v27, v35, s2 :: v_dual_cndmask_b32 v34, v26, v34, s2
	global_load_b64 v[34:35], v[34:35], off
	global_store_b64 v[30:31], v[24:25], off
	s_wait_loadcnt 0x0
	global_store_b64 v[32:33], v[34:35], off
.LBB101_13:                             ;   in Loop: Header=BB101_9 Depth=1
	s_wait_xcnt 0x0
	s_or_b32 exec_lo, exec_lo, s20
	v_add_nc_u64_e32 v[30:31], v[18:19], v[2:3]
	v_add_nc_u64_e32 v[32:33], v[16:17], v[2:3]
	;; [unrolled: 1-line block ×3, first 2 shown]
	s_and_saveexec_b32 s20, s27
	s_cbranch_execz .LBB101_15
; %bb.14:                               ;   in Loop: Header=BB101_9 Depth=1
	v_add_nc_u64_e32 v[28:29], 0x100, v[28:29]
	s_delay_alu instid0(VALU_DEP_1)
	v_dual_cndmask_b32 v29, v29, v35, s2 :: v_dual_cndmask_b32 v28, v28, v34, s2
	global_load_b64 v[28:29], v[28:29], off
	global_store_b64 v[30:31], v[22:23], off
	s_wait_loadcnt 0x0
	global_store_b64 v[32:33], v[28:29], off
.LBB101_15:                             ;   in Loop: Header=BB101_9 Depth=1
	s_wait_xcnt 0x0
	s_or_b32 exec_lo, exec_lo, s20
	s_and_saveexec_b32 s20, s28
	s_cbranch_execz .LBB101_8
; %bb.16:                               ;   in Loop: Header=BB101_9 Depth=1
	v_dual_cndmask_b32 v23, v27, v35, s2 :: v_dual_cndmask_b32 v22, v26, v34, s2
	global_load_b64 v[22:23], v[22:23], off offset:256
	global_store_b64 v[30:31], v[24:25], off offset:256
	s_wait_loadcnt 0x0
	global_store_b64 v[32:33], v[22:23], off offset:256
	s_branch .LBB101_8
.LBB101_17:
	s_endpgm
	.section	.rodata,"a",@progbits
	.p2align	6, 0x0
	.amdhsa_kernel _ZN9rocsparseL35bsr2csr_block_per_row_33_256_kernelILj1024ELj64ELj32ElllEEv20rocsparse_direction_T4_S2_21rocsparse_index_base_PKT2_PKT3_PKS2_S2_S3_PS4_PS7_PS2_
		.amdhsa_group_segment_fixed_size 0
		.amdhsa_private_segment_fixed_size 0
		.amdhsa_kernarg_size 96
		.amdhsa_user_sgpr_count 2
		.amdhsa_user_sgpr_dispatch_ptr 0
		.amdhsa_user_sgpr_queue_ptr 0
		.amdhsa_user_sgpr_kernarg_segment_ptr 1
		.amdhsa_user_sgpr_dispatch_id 0
		.amdhsa_user_sgpr_kernarg_preload_length 0
		.amdhsa_user_sgpr_kernarg_preload_offset 0
		.amdhsa_user_sgpr_private_segment_size 0
		.amdhsa_wavefront_size32 1
		.amdhsa_uses_dynamic_stack 0
		.amdhsa_enable_private_segment 0
		.amdhsa_system_sgpr_workgroup_id_x 1
		.amdhsa_system_sgpr_workgroup_id_y 0
		.amdhsa_system_sgpr_workgroup_id_z 0
		.amdhsa_system_sgpr_workgroup_info 0
		.amdhsa_system_vgpr_workitem_id 0
		.amdhsa_next_free_vgpr 36
		.amdhsa_next_free_sgpr 30
		.amdhsa_named_barrier_count 0
		.amdhsa_reserve_vcc 1
		.amdhsa_float_round_mode_32 0
		.amdhsa_float_round_mode_16_64 0
		.amdhsa_float_denorm_mode_32 3
		.amdhsa_float_denorm_mode_16_64 3
		.amdhsa_fp16_overflow 0
		.amdhsa_memory_ordered 1
		.amdhsa_forward_progress 1
		.amdhsa_inst_pref_size 10
		.amdhsa_round_robin_scheduling 0
		.amdhsa_exception_fp_ieee_invalid_op 0
		.amdhsa_exception_fp_denorm_src 0
		.amdhsa_exception_fp_ieee_div_zero 0
		.amdhsa_exception_fp_ieee_overflow 0
		.amdhsa_exception_fp_ieee_underflow 0
		.amdhsa_exception_fp_ieee_inexact 0
		.amdhsa_exception_int_div_zero 0
	.end_amdhsa_kernel
	.section	.text._ZN9rocsparseL35bsr2csr_block_per_row_33_256_kernelILj1024ELj64ELj32ElllEEv20rocsparse_direction_T4_S2_21rocsparse_index_base_PKT2_PKT3_PKS2_S2_S3_PS4_PS7_PS2_,"axG",@progbits,_ZN9rocsparseL35bsr2csr_block_per_row_33_256_kernelILj1024ELj64ELj32ElllEEv20rocsparse_direction_T4_S2_21rocsparse_index_base_PKT2_PKT3_PKS2_S2_S3_PS4_PS7_PS2_,comdat
.Lfunc_end101:
	.size	_ZN9rocsparseL35bsr2csr_block_per_row_33_256_kernelILj1024ELj64ELj32ElllEEv20rocsparse_direction_T4_S2_21rocsparse_index_base_PKT2_PKT3_PKS2_S2_S3_PS4_PS7_PS2_, .Lfunc_end101-_ZN9rocsparseL35bsr2csr_block_per_row_33_256_kernelILj1024ELj64ELj32ElllEEv20rocsparse_direction_T4_S2_21rocsparse_index_base_PKT2_PKT3_PKS2_S2_S3_PS4_PS7_PS2_
                                        ; -- End function
	.set _ZN9rocsparseL35bsr2csr_block_per_row_33_256_kernelILj1024ELj64ELj32ElllEEv20rocsparse_direction_T4_S2_21rocsparse_index_base_PKT2_PKT3_PKS2_S2_S3_PS4_PS7_PS2_.num_vgpr, 36
	.set _ZN9rocsparseL35bsr2csr_block_per_row_33_256_kernelILj1024ELj64ELj32ElllEEv20rocsparse_direction_T4_S2_21rocsparse_index_base_PKT2_PKT3_PKS2_S2_S3_PS4_PS7_PS2_.num_agpr, 0
	.set _ZN9rocsparseL35bsr2csr_block_per_row_33_256_kernelILj1024ELj64ELj32ElllEEv20rocsparse_direction_T4_S2_21rocsparse_index_base_PKT2_PKT3_PKS2_S2_S3_PS4_PS7_PS2_.numbered_sgpr, 30
	.set _ZN9rocsparseL35bsr2csr_block_per_row_33_256_kernelILj1024ELj64ELj32ElllEEv20rocsparse_direction_T4_S2_21rocsparse_index_base_PKT2_PKT3_PKS2_S2_S3_PS4_PS7_PS2_.num_named_barrier, 0
	.set _ZN9rocsparseL35bsr2csr_block_per_row_33_256_kernelILj1024ELj64ELj32ElllEEv20rocsparse_direction_T4_S2_21rocsparse_index_base_PKT2_PKT3_PKS2_S2_S3_PS4_PS7_PS2_.private_seg_size, 0
	.set _ZN9rocsparseL35bsr2csr_block_per_row_33_256_kernelILj1024ELj64ELj32ElllEEv20rocsparse_direction_T4_S2_21rocsparse_index_base_PKT2_PKT3_PKS2_S2_S3_PS4_PS7_PS2_.uses_vcc, 1
	.set _ZN9rocsparseL35bsr2csr_block_per_row_33_256_kernelILj1024ELj64ELj32ElllEEv20rocsparse_direction_T4_S2_21rocsparse_index_base_PKT2_PKT3_PKS2_S2_S3_PS4_PS7_PS2_.uses_flat_scratch, 0
	.set _ZN9rocsparseL35bsr2csr_block_per_row_33_256_kernelILj1024ELj64ELj32ElllEEv20rocsparse_direction_T4_S2_21rocsparse_index_base_PKT2_PKT3_PKS2_S2_S3_PS4_PS7_PS2_.has_dyn_sized_stack, 0
	.set _ZN9rocsparseL35bsr2csr_block_per_row_33_256_kernelILj1024ELj64ELj32ElllEEv20rocsparse_direction_T4_S2_21rocsparse_index_base_PKT2_PKT3_PKS2_S2_S3_PS4_PS7_PS2_.has_recursion, 0
	.set _ZN9rocsparseL35bsr2csr_block_per_row_33_256_kernelILj1024ELj64ELj32ElllEEv20rocsparse_direction_T4_S2_21rocsparse_index_base_PKT2_PKT3_PKS2_S2_S3_PS4_PS7_PS2_.has_indirect_call, 0
	.section	.AMDGPU.csdata,"",@progbits
; Kernel info:
; codeLenInByte = 1168
; TotalNumSgprs: 32
; NumVgprs: 36
; ScratchSize: 0
; MemoryBound: 0
; FloatMode: 240
; IeeeMode: 1
; LDSByteSize: 0 bytes/workgroup (compile time only)
; SGPRBlocks: 0
; VGPRBlocks: 2
; NumSGPRsForWavesPerEU: 32
; NumVGPRsForWavesPerEU: 36
; NamedBarCnt: 0
; Occupancy: 16
; WaveLimiterHint : 1
; COMPUTE_PGM_RSRC2:SCRATCH_EN: 0
; COMPUTE_PGM_RSRC2:USER_SGPR: 2
; COMPUTE_PGM_RSRC2:TRAP_HANDLER: 0
; COMPUTE_PGM_RSRC2:TGID_X_EN: 1
; COMPUTE_PGM_RSRC2:TGID_Y_EN: 0
; COMPUTE_PGM_RSRC2:TGID_Z_EN: 0
; COMPUTE_PGM_RSRC2:TIDIG_COMP_CNT: 0
	.section	.text._ZN9rocsparseL35bsr2csr_block_per_row_33_256_kernelILj1024ELj128ELj32ElllEEv20rocsparse_direction_T4_S2_21rocsparse_index_base_PKT2_PKT3_PKS2_S2_S3_PS4_PS7_PS2_,"axG",@progbits,_ZN9rocsparseL35bsr2csr_block_per_row_33_256_kernelILj1024ELj128ELj32ElllEEv20rocsparse_direction_T4_S2_21rocsparse_index_base_PKT2_PKT3_PKS2_S2_S3_PS4_PS7_PS2_,comdat
	.globl	_ZN9rocsparseL35bsr2csr_block_per_row_33_256_kernelILj1024ELj128ELj32ElllEEv20rocsparse_direction_T4_S2_21rocsparse_index_base_PKT2_PKT3_PKS2_S2_S3_PS4_PS7_PS2_ ; -- Begin function _ZN9rocsparseL35bsr2csr_block_per_row_33_256_kernelILj1024ELj128ELj32ElllEEv20rocsparse_direction_T4_S2_21rocsparse_index_base_PKT2_PKT3_PKS2_S2_S3_PS4_PS7_PS2_
	.p2align	8
	.type	_ZN9rocsparseL35bsr2csr_block_per_row_33_256_kernelILj1024ELj128ELj32ElllEEv20rocsparse_direction_T4_S2_21rocsparse_index_base_PKT2_PKT3_PKS2_S2_S3_PS4_PS7_PS2_,@function
_ZN9rocsparseL35bsr2csr_block_per_row_33_256_kernelILj1024ELj128ELj32ElllEEv20rocsparse_direction_T4_S2_21rocsparse_index_base_PKT2_PKT3_PKS2_S2_S3_PS4_PS7_PS2_: ; @_ZN9rocsparseL35bsr2csr_block_per_row_33_256_kernelILj1024ELj128ELj32ElllEEv20rocsparse_direction_T4_S2_21rocsparse_index_base_PKT2_PKT3_PKS2_S2_S3_PS4_PS7_PS2_
; %bb.0:
	s_load_b64 s[6:7], s[0:1], 0x28
	s_bfe_u32 s2, ttmp6, 0x4000c
	s_and_b32 s3, ttmp6, 15
	s_add_co_i32 s2, s2, 1
	s_getreg_b32 s4, hwreg(HW_REG_IB_STS2, 6, 4)
	s_mul_i32 s2, ttmp9, s2
	s_mov_b32 s13, 0
	s_add_co_i32 s3, s3, s2
	s_cmp_eq_u32 s4, 0
	s_mov_b32 s5, s13
	s_cselect_b32 s4, ttmp9, s3
	s_clause 0x1
	s_load_b32 s14, s[0:1], 0x40
	s_load_b64 s[2:3], s[0:1], 0x50
	s_lshl_b64 s[8:9], s[4:5], 3
	v_or_b32_e32 v1, s4, v0
	s_mov_b32 s15, s13
	s_wait_kmcnt 0x0
	s_add_nc_u64 s[6:7], s[6:7], s[8:9]
	s_load_b128 s[8:11], s[6:7], 0x0
	s_wait_xcnt 0x0
	s_mov_b32 s6, exec_lo
	v_cmpx_eq_u32_e32 0, v1
	s_cbranch_execz .LBB102_2
; %bb.1:
	v_mov_b64_e32 v[2:3], s[14:15]
	v_mov_b32_e32 v1, 0
	global_store_b64 v1, v[2:3], s[2:3]
.LBB102_2:
	s_wait_xcnt 0x0
	s_or_b32 exec_lo, exec_lo, s6
	s_clause 0x1
	s_load_b32 s12, s[0:1], 0x18
	s_load_b64 s[16:17], s[0:1], 0x38
	v_dual_mov_b32 v9, 0 :: v_dual_lshrrev_b32 v8, 5, v0
	s_wait_kmcnt 0x0
	s_sub_nc_u64 s[18:19], s[8:9], s[12:13]
	s_sub_nc_u64 s[20:21], s[10:11], s[12:13]
	s_mul_u64 s[30:31], s[16:17], s[18:19]
	s_mul_u64 s[24:25], s[16:17], s[4:5]
	v_cmp_gt_i64_e64 s4, s[16:17], v[8:9]
	s_sub_nc_u64 s[6:7], s[20:21], s[18:19]
	s_mul_u64 s[26:27], s[30:31], s[16:17]
	s_mul_u64 s[22:23], s[6:7], s[16:17]
	s_add_nc_u64 s[26:27], s[26:27], s[14:15]
	s_lshl_b64 s[24:25], s[24:25], 3
	s_add_nc_u64 s[26:27], s[26:27], s[22:23]
	s_add_nc_u64 s[24:25], s[2:3], s[24:25]
	s_and_saveexec_b32 s2, s4
	s_cbranch_execz .LBB102_4
; %bb.3:
	v_mad_nc_u64_u32 v[2:3], v8, s22, s[26:27]
	s_delay_alu instid0(VALU_DEP_1)
	v_mad_u32 v3, v8, s23, v3
	global_store_b64 v8, v[2:3], s[24:25] offset:8 scale_offset
.LBB102_4:
	s_wait_xcnt 0x0
	s_or_b32 exec_lo, exec_lo, s2
	v_dual_mov_b32 v3, v9 :: v_dual_bitop2_b32 v2, 32, v8 bitop3:0x54
	s_delay_alu instid0(VALU_DEP_1)
	v_cmp_gt_i64_e64 s5, s[16:17], v[2:3]
	s_and_saveexec_b32 s2, s5
	s_cbranch_execz .LBB102_6
; %bb.5:
	v_mad_nc_u64_u32 v[4:5], v2, s22, s[26:27]
	s_delay_alu instid0(VALU_DEP_1)
	v_mad_u32 v5, v2, s23, v5
	global_store_b64 v8, v[4:5], s[24:25] offset:264 scale_offset
.LBB102_6:
	s_wait_xcnt 0x0
	s_or_b32 exec_lo, exec_lo, s2
	v_dual_mov_b32 v3, v9 :: v_dual_bitop2_b32 v2, 64, v8 bitop3:0x54
	s_delay_alu instid0(VALU_DEP_1)
	v_cmp_gt_i64_e64 s2, s[16:17], v[2:3]
	s_and_saveexec_b32 s3, s2
	s_cbranch_execz .LBB102_8
; %bb.7:
	v_mad_nc_u64_u32 v[4:5], v2, s22, s[26:27]
	s_delay_alu instid0(VALU_DEP_1)
	v_mad_u32 v5, v2, s23, v5
	global_store_b64 v8, v[4:5], s[24:25] offset:520 scale_offset
.LBB102_8:
	s_wait_xcnt 0x0
	s_or_b32 exec_lo, exec_lo, s3
	v_or_b32_e32 v2, 0x60, v8
	v_mov_b32_e32 v3, v9
	s_delay_alu instid0(VALU_DEP_1)
	v_cmp_gt_i64_e64 s3, s[16:17], v[2:3]
	s_and_saveexec_b32 s28, s3
	s_cbranch_execz .LBB102_10
; %bb.9:
	v_mad_nc_u64_u32 v[4:5], v2, s22, s[26:27]
	s_delay_alu instid0(VALU_DEP_1)
	v_mad_u32 v5, v2, s23, v5
	global_store_b64 v8, v[4:5], s[24:25] offset:776 scale_offset
.LBB102_10:
	s_wait_xcnt 0x0
	s_or_b32 exec_lo, exec_lo, s28
	v_cmp_lt_i64_e64 s22, s[8:9], s[10:11]
	s_and_b32 vcc_lo, exec_lo, s22
	s_cbranch_vccz .LBB102_45
; %bb.11:
	v_mad_nc_u64_u32 v[16:17], v8, s6, s[30:31]
	s_clause 0x2
	s_load_b64 s[24:25], s[0:1], 0x30
	s_load_b64 s[26:27], s[0:1], 0x48
	s_load_b32 s33, s[0:1], 0x0
	v_dual_mov_b32 v1, 0 :: v_dual_bitop2_b32 v0, 31, v0 bitop3:0x40
	v_lshlrev_b32_e32 v24, 3, v8
	s_clause 0x1
	s_load_b64 s[22:23], s[0:1], 0x20
	s_load_b64 s[28:29], s[0:1], 0x58
	v_dual_mov_b32 v5, v1 :: v_dual_bitop2_b32 v2, 32, v0 bitop3:0x54
	v_dual_mov_b32 v3, v1 :: v_dual_bitop2_b32 v4, 64, v0 bitop3:0x54
	v_mov_b32_e32 v7, v1
	v_mad_u32 v17, v8, s7, v17
	v_or_b32_e32 v6, 0x60, v0
	v_cmp_gt_i64_e32 vcc_lo, s[16:17], v[0:1]
	s_wait_xcnt 0x0
	v_cmp_gt_i64_e64 s1, s[16:17], v[2:3]
	v_cmp_gt_i64_e64 s6, s[16:17], v[4:5]
	v_dual_mov_b32 v25, v1 :: v_dual_lshlrev_b32 v8, 3, v0
	v_cmp_gt_i64_e64 s7, s[16:17], v[6:7]
	v_mov_b32_e32 v9, v1
	s_wait_kmcnt 0x0
	s_cmp_eq_u32 s33, 0
	v_mad_nc_u64_u32 v[18:19], 0x60, s10, v[16:17]
	s_cselect_b32 s0, -1, 0
	s_and_b32 s33, s4, vcc_lo
	s_and_b32 s34, s4, s1
	s_lshl_b64 s[42:43], s[30:31], 3
	s_and_b32 s30, s4, s6
	s_and_b32 s31, s4, s7
	s_and_b32 s35, s5, vcc_lo
	s_and_b32 s36, s5, s1
	s_and_b32 s37, s5, s6
	;; [unrolled: 1-line block ×3, first 2 shown]
	v_mad_u32 v19, 0x60, s11, v19
	s_lshl_b64 s[4:5], s[10:11], 5
	v_add_nc_u64_e32 v[26:27], s[42:43], v[24:25]
	v_add_nc_u64_e32 v[20:21], s[4:5], v[16:17]
	s_lshl_b64 s[4:5], s[10:11], 6
	s_mul_u64 s[10:11], s[8:9], 0x60
	v_add_nc_u64_e32 v[22:23], s[4:5], v[16:17]
	s_lshl_b64 s[4:5], s[8:9], 5
	v_add_nc_u64_e32 v[34:35], s[42:43], v[8:9]
	v_mul_u64_e32 v[38:39], s[16:17], v[16:17]
	v_sub_nc_u64_e64 v[20:21], v[20:21], s[4:5]
	s_lshl_b64 s[4:5], s[8:9], 6
	v_sub_nc_u64_e64 v[18:19], v[18:19], s[10:11]
	v_sub_nc_u64_e64 v[22:23], v[22:23], s[4:5]
	v_add_nc_u64_e32 v[28:29], 0x300, v[26:27]
	v_add_nc_u64_e32 v[32:33], 0x100, v[26:27]
	;; [unrolled: 1-line block ×3, first 2 shown]
	v_mul_u64_e32 v[42:43], s[16:17], v[20:21]
	v_add_nc_u64_e32 v[40:41], 0x200, v[34:35]
	v_mul_u64_e32 v[46:47], s[16:17], v[18:19]
	v_mul_u64_e32 v[48:49], s[16:17], v[22:23]
	v_add_nc_u64_e32 v[30:31], 0x200, v[26:27]
	v_add_nc_u64_e32 v[44:45], 0x300, v[34:35]
	v_mad_nc_u64_u32 v[10:11], s16, v28, s[22:23]
	v_mad_nc_u64_u32 v[14:15], s16, v32, s[22:23]
	;; [unrolled: 1-line block ×8, first 2 shown]
	s_and_b32 s39, s2, vcc_lo
	s_and_b32 s40, s2, s1
	s_and_b32 s10, s2, s6
	v_mad_u32 v11, s17, v28, v11
	v_mad_u32 v15, s17, v32, v15
	;; [unrolled: 1-line block ×8, first 2 shown]
	s_and_b32 s11, s2, s7
	s_and_b32 s41, s3, vcc_lo
	s_and_b32 s1, s3, s1
	v_mad_u32 v11, s16, v29, v11
	v_mad_u32 v15, s16, v33, v15
	v_mad_u32 v21, s16, v37, v21
	v_mad_u32 v23, s16, v41, v23
	v_lshlrev_b64_e32 v[28:29], 3, v[38:39]
	v_lshlrev_b64_e32 v[32:33], 3, v[42:43]
	;; [unrolled: 1-line block ×4, first 2 shown]
	v_mad_u32 v13, s16, v31, v13
	v_mad_u32 v17, s16, v27, v17
	;; [unrolled: 1-line block ×4, first 2 shown]
	v_add_nc_u64_e32 v[26:27], s[28:29], v[28:29]
	v_add_nc_u64_e32 v[28:29], s[26:27], v[28:29]
	;; [unrolled: 1-line block ×8, first 2 shown]
	s_and_b32 s42, s3, s6
	s_and_b32 s43, s3, s7
	s_lshl_b64 s[2:3], s[8:9], 3
	s_lshl_b64 s[4:5], s[12:13], 3
	s_mul_u64 s[6:7], s[16:17], s[16:17]
	s_sub_nc_u64 s[4:5], s[2:3], s[4:5]
	s_lshl_b64 s[2:3], s[6:7], 3
	s_add_nc_u64 s[4:5], s[24:25], s[4:5]
	s_lshl_b64 s[6:7], s[16:17], 3
	s_branch .LBB102_13
.LBB102_12:                             ;   in Loop: Header=BB102_13 Depth=1
	s_wait_xcnt 0x0
	s_or_b32 exec_lo, exec_lo, s8
	s_add_nc_u64 s[18:19], s[18:19], 1
	v_add_nc_u64_e32 v[10:11], s[2:3], v[10:11]
	v_cmp_ge_i64_e64 s8, s[18:19], s[20:21]
	v_add_nc_u64_e32 v[12:13], s[2:3], v[12:13]
	v_add_nc_u64_e32 v[14:15], s[2:3], v[14:15]
	;; [unrolled: 1-line block ×11, first 2 shown]
	s_add_nc_u64 s[22:23], s[22:23], s[2:3]
	s_and_b32 vcc_lo, exec_lo, s8
	s_add_nc_u64 s[4:5], s[4:5], 8
	s_cbranch_vccnz .LBB102_45
.LBB102_13:                             ; =>This Inner Loop Header: Depth=1
	s_load_b64 s[8:9], s[4:5], 0x0
	v_add_nc_u64_e32 v[58:59], v[26:27], v[8:9]
	v_add_nc_u64_e32 v[60:61], v[28:29], v[8:9]
	;; [unrolled: 1-line block ×4, first 2 shown]
	s_wait_kmcnt 0x0
	s_sub_nc_u64 s[8:9], s[8:9], s[12:13]
	s_delay_alu instid0(SALU_CYCLE_1) | instskip(NEXT) | instid1(SALU_CYCLE_1)
	s_mul_u64 s[8:9], s[8:9], s[16:17]
	s_add_nc_u64 s[8:9], s[8:9], s[14:15]
	s_delay_alu instid0(SALU_CYCLE_1)
	v_add_nc_u64_e32 v[44:45], s[8:9], v[0:1]
	s_and_saveexec_b32 s24, s33
	s_cbranch_execz .LBB102_15
; %bb.14:                               ;   in Loop: Header=BB102_13 Depth=1
	v_dual_cndmask_b32 v43, v53, v63, s0 :: v_dual_cndmask_b32 v42, v52, v62, s0
	global_load_b64 v[42:43], v[42:43], off
	global_store_b64 v[58:59], v[44:45], off
	s_wait_loadcnt 0x0
	global_store_b64 v[60:61], v[42:43], off
.LBB102_15:                             ;   in Loop: Header=BB102_13 Depth=1
	s_wait_xcnt 0x0
	s_or_b32 exec_lo, exec_lo, s24
	v_add_nc_u64_e32 v[42:43], s[8:9], v[2:3]
	v_add_nc_u64_e32 v[50:51], s[22:23], v[20:21]
	s_and_saveexec_b32 s24, s34
	s_cbranch_execz .LBB102_17
; %bb.16:                               ;   in Loop: Header=BB102_13 Depth=1
	v_add_nc_u64_e32 v[46:47], 0x100, v[62:63]
	s_delay_alu instid0(VALU_DEP_1)
	v_dual_cndmask_b32 v47, v51, v47, s0 :: v_dual_cndmask_b32 v46, v50, v46, s0
	global_load_b64 v[46:47], v[46:47], off
	global_store_b64 v[58:59], v[42:43], off offset:256
	s_wait_loadcnt 0x0
	global_store_b64 v[60:61], v[46:47], off offset:256
.LBB102_17:                             ;   in Loop: Header=BB102_13 Depth=1
	s_wait_xcnt 0x0
	s_or_b32 exec_lo, exec_lo, s24
	v_add_nc_u64_e32 v[46:47], s[8:9], v[4:5]
	v_add_nc_u64_e32 v[54:55], s[22:23], v[22:23]
	s_and_saveexec_b32 s24, s30
	s_cbranch_execz .LBB102_19
; %bb.18:                               ;   in Loop: Header=BB102_13 Depth=1
	v_add_nc_u64_e32 v[48:49], 0x200, v[62:63]
	s_delay_alu instid0(VALU_DEP_1)
	v_dual_cndmask_b32 v49, v55, v49, s0 :: v_dual_cndmask_b32 v48, v54, v48, s0
	global_load_b64 v[48:49], v[48:49], off
	global_store_b64 v[58:59], v[46:47], off offset:512
	s_wait_loadcnt 0x0
	global_store_b64 v[60:61], v[48:49], off offset:512
.LBB102_19:                             ;   in Loop: Header=BB102_13 Depth=1
	;; [unrolled: 15-line block ×3, first 2 shown]
	s_wait_xcnt 0x0
	s_or_b32 exec_lo, exec_lo, s8
	v_add_nc_u64_e32 v[58:59], v[32:33], v[8:9]
	v_add_nc_u64_e32 v[60:61], v[30:31], v[8:9]
	;; [unrolled: 1-line block ×3, first 2 shown]
	s_and_saveexec_b32 s8, s35
	s_cbranch_execnz .LBB102_35
; %bb.22:                               ;   in Loop: Header=BB102_13 Depth=1
	s_or_b32 exec_lo, exec_lo, s8
	s_and_saveexec_b32 s8, s36
	s_cbranch_execnz .LBB102_36
.LBB102_23:                             ;   in Loop: Header=BB102_13 Depth=1
	s_or_b32 exec_lo, exec_lo, s8
	s_and_saveexec_b32 s8, s37
	s_cbranch_execnz .LBB102_37
.LBB102_24:                             ;   in Loop: Header=BB102_13 Depth=1
	s_or_b32 exec_lo, exec_lo, s8
	s_and_saveexec_b32 s8, s38
	s_cbranch_execz .LBB102_26
.LBB102_25:                             ;   in Loop: Header=BB102_13 Depth=1
	v_add_nc_u64_e32 v[62:63], 0x300, v[62:63]
	v_add_nc_u64_e32 v[64:65], 0x100, v[56:57]
	s_delay_alu instid0(VALU_DEP_1)
	v_dual_cndmask_b32 v63, v65, v63, s0 :: v_dual_cndmask_b32 v62, v64, v62, s0
	global_load_b64 v[62:63], v[62:63], off
	global_store_b64 v[58:59], v[48:49], off offset:768
	s_wait_loadcnt 0x0
	global_store_b64 v[60:61], v[62:63], off offset:768
.LBB102_26:                             ;   in Loop: Header=BB102_13 Depth=1
	s_wait_xcnt 0x0
	s_or_b32 exec_lo, exec_lo, s8
	v_add_nc_u64_e32 v[58:59], v[40:41], v[8:9]
	v_add_nc_u64_e32 v[60:61], v[38:39], v[8:9]
	;; [unrolled: 1-line block ×3, first 2 shown]
	s_and_saveexec_b32 s8, s39
	s_cbranch_execnz .LBB102_38
; %bb.27:                               ;   in Loop: Header=BB102_13 Depth=1
	s_or_b32 exec_lo, exec_lo, s8
	s_and_saveexec_b32 s8, s40
	s_cbranch_execnz .LBB102_39
.LBB102_28:                             ;   in Loop: Header=BB102_13 Depth=1
	s_or_b32 exec_lo, exec_lo, s8
	s_and_saveexec_b32 s8, s10
	s_cbranch_execnz .LBB102_40
.LBB102_29:                             ;   in Loop: Header=BB102_13 Depth=1
	s_or_b32 exec_lo, exec_lo, s8
	s_and_saveexec_b32 s8, s11
	s_cbranch_execz .LBB102_31
.LBB102_30:                             ;   in Loop: Header=BB102_13 Depth=1
	v_add_nc_u64_e32 v[62:63], 0x300, v[62:63]
	v_add_nc_u64_e32 v[64:65], 0x200, v[56:57]
	s_delay_alu instid0(VALU_DEP_1)
	v_dual_cndmask_b32 v63, v65, v63, s0 :: v_dual_cndmask_b32 v62, v64, v62, s0
	global_load_b64 v[62:63], v[62:63], off
	global_store_b64 v[58:59], v[48:49], off offset:768
	s_wait_loadcnt 0x0
	global_store_b64 v[60:61], v[62:63], off offset:768
.LBB102_31:                             ;   in Loop: Header=BB102_13 Depth=1
	s_wait_xcnt 0x0
	s_or_b32 exec_lo, exec_lo, s8
	v_add_nc_u64_e32 v[58:59], v[34:35], v[8:9]
	v_add_nc_u64_e32 v[60:61], v[36:37], v[8:9]
	;; [unrolled: 1-line block ×3, first 2 shown]
	s_and_saveexec_b32 s8, s41
	s_cbranch_execnz .LBB102_41
; %bb.32:                               ;   in Loop: Header=BB102_13 Depth=1
	s_or_b32 exec_lo, exec_lo, s8
	s_and_saveexec_b32 s8, s1
	s_cbranch_execnz .LBB102_42
.LBB102_33:                             ;   in Loop: Header=BB102_13 Depth=1
	s_or_b32 exec_lo, exec_lo, s8
	s_and_saveexec_b32 s8, s42
	s_cbranch_execnz .LBB102_43
.LBB102_34:                             ;   in Loop: Header=BB102_13 Depth=1
	s_or_b32 exec_lo, exec_lo, s8
	s_and_saveexec_b32 s8, s43
	s_cbranch_execz .LBB102_12
	s_branch .LBB102_44
.LBB102_35:                             ;   in Loop: Header=BB102_13 Depth=1
	v_add_nc_u64_e32 v[64:65], 0x100, v[52:53]
	s_delay_alu instid0(VALU_DEP_1)
	v_dual_cndmask_b32 v65, v65, v63, s0 :: v_dual_cndmask_b32 v64, v64, v62, s0
	global_load_b64 v[64:65], v[64:65], off
	global_store_b64 v[58:59], v[44:45], off
	s_wait_loadcnt 0x0
	global_store_b64 v[60:61], v[64:65], off
	s_wait_xcnt 0x0
	s_or_b32 exec_lo, exec_lo, s8
	s_and_saveexec_b32 s8, s36
	s_cbranch_execz .LBB102_23
.LBB102_36:                             ;   in Loop: Header=BB102_13 Depth=1
	s_delay_alu instid0(VALU_DEP_1)
	v_dual_cndmask_b32 v65, v51, v63, s0 :: v_dual_cndmask_b32 v64, v50, v62, s0
	global_load_b64 v[64:65], v[64:65], off offset:256
	global_store_b64 v[58:59], v[42:43], off offset:256
	s_wait_loadcnt 0x0
	global_store_b64 v[60:61], v[64:65], off offset:256
	s_wait_xcnt 0x0
	s_or_b32 exec_lo, exec_lo, s8
	s_and_saveexec_b32 s8, s37
	s_cbranch_execz .LBB102_24
.LBB102_37:                             ;   in Loop: Header=BB102_13 Depth=1
	v_add_nc_u64_e32 v[64:65], 0x200, v[62:63]
	v_add_nc_u64_e32 v[66:67], 0x100, v[54:55]
	s_delay_alu instid0(VALU_DEP_1)
	v_dual_cndmask_b32 v65, v67, v65, s0 :: v_dual_cndmask_b32 v64, v66, v64, s0
	global_load_b64 v[64:65], v[64:65], off
	global_store_b64 v[58:59], v[46:47], off offset:512
	s_wait_loadcnt 0x0
	global_store_b64 v[60:61], v[64:65], off offset:512
	s_wait_xcnt 0x0
	s_or_b32 exec_lo, exec_lo, s8
	s_and_saveexec_b32 s8, s38
	s_cbranch_execnz .LBB102_25
	s_branch .LBB102_26
.LBB102_38:                             ;   in Loop: Header=BB102_13 Depth=1
	v_add_nc_u64_e32 v[64:65], 0x200, v[52:53]
	s_delay_alu instid0(VALU_DEP_1)
	v_dual_cndmask_b32 v65, v65, v63, s0 :: v_dual_cndmask_b32 v64, v64, v62, s0
	global_load_b64 v[64:65], v[64:65], off
	global_store_b64 v[58:59], v[44:45], off
	s_wait_loadcnt 0x0
	global_store_b64 v[60:61], v[64:65], off
	s_wait_xcnt 0x0
	s_or_b32 exec_lo, exec_lo, s8
	s_and_saveexec_b32 s8, s40
	s_cbranch_execz .LBB102_28
.LBB102_39:                             ;   in Loop: Header=BB102_13 Depth=1
	s_delay_alu instid0(VALU_DEP_1) | instskip(SKIP_1) | instid1(VALU_DEP_1)
	v_add_nc_u64_e32 v[64:65], 0x100, v[62:63]
	v_add_nc_u64_e32 v[66:67], 0x200, v[50:51]
	v_dual_cndmask_b32 v65, v67, v65, s0 :: v_dual_cndmask_b32 v64, v66, v64, s0
	global_load_b64 v[64:65], v[64:65], off
	global_store_b64 v[58:59], v[42:43], off offset:256
	s_wait_loadcnt 0x0
	global_store_b64 v[60:61], v[64:65], off offset:256
	s_wait_xcnt 0x0
	s_or_b32 exec_lo, exec_lo, s8
	s_and_saveexec_b32 s8, s10
	s_cbranch_execz .LBB102_29
.LBB102_40:                             ;   in Loop: Header=BB102_13 Depth=1
	v_dual_cndmask_b32 v65, v55, v63, s0 :: v_dual_cndmask_b32 v64, v54, v62, s0
	global_load_b64 v[64:65], v[64:65], off offset:512
	global_store_b64 v[58:59], v[46:47], off offset:512
	s_wait_loadcnt 0x0
	global_store_b64 v[60:61], v[64:65], off offset:512
	s_wait_xcnt 0x0
	s_or_b32 exec_lo, exec_lo, s8
	s_and_saveexec_b32 s8, s11
	s_cbranch_execnz .LBB102_30
	s_branch .LBB102_31
.LBB102_41:                             ;   in Loop: Header=BB102_13 Depth=1
	v_add_nc_u64_e32 v[52:53], 0x300, v[52:53]
	s_delay_alu instid0(VALU_DEP_1)
	v_dual_cndmask_b32 v53, v53, v63, s0 :: v_dual_cndmask_b32 v52, v52, v62, s0
	global_load_b64 v[52:53], v[52:53], off
	global_store_b64 v[58:59], v[44:45], off
	s_wait_loadcnt 0x0
	global_store_b64 v[60:61], v[52:53], off
	s_wait_xcnt 0x0
	s_or_b32 exec_lo, exec_lo, s8
	s_and_saveexec_b32 s8, s1
	s_cbranch_execz .LBB102_33
.LBB102_42:                             ;   in Loop: Header=BB102_13 Depth=1
	s_delay_alu instid0(VALU_DEP_1) | instskip(SKIP_1) | instid1(VALU_DEP_1)
	v_add_nc_u64_e32 v[44:45], 0x100, v[62:63]
	v_add_nc_u64_e32 v[50:51], 0x300, v[50:51]
	v_dual_cndmask_b32 v45, v51, v45, s0 :: v_dual_cndmask_b32 v44, v50, v44, s0
	global_load_b64 v[44:45], v[44:45], off
	global_store_b64 v[58:59], v[42:43], off offset:256
	s_wait_loadcnt 0x0
	global_store_b64 v[60:61], v[44:45], off offset:256
	s_wait_xcnt 0x0
	s_or_b32 exec_lo, exec_lo, s8
	s_and_saveexec_b32 s8, s42
	s_cbranch_execz .LBB102_34
.LBB102_43:                             ;   in Loop: Header=BB102_13 Depth=1
	v_add_nc_u64_e32 v[42:43], 0x200, v[62:63]
	v_add_nc_u64_e32 v[44:45], 0x300, v[54:55]
	s_delay_alu instid0(VALU_DEP_1)
	v_dual_cndmask_b32 v43, v45, v43, s0 :: v_dual_cndmask_b32 v42, v44, v42, s0
	global_load_b64 v[42:43], v[42:43], off
	global_store_b64 v[58:59], v[46:47], off offset:512
	s_wait_loadcnt 0x0
	global_store_b64 v[60:61], v[42:43], off offset:512
	s_wait_xcnt 0x0
	s_or_b32 exec_lo, exec_lo, s8
	s_and_saveexec_b32 s8, s43
	s_cbranch_execz .LBB102_12
.LBB102_44:                             ;   in Loop: Header=BB102_13 Depth=1
	v_dual_cndmask_b32 v43, v57, v63, s0 :: v_dual_cndmask_b32 v42, v56, v62, s0
	global_load_b64 v[42:43], v[42:43], off offset:768
	global_store_b64 v[58:59], v[48:49], off offset:768
	s_wait_loadcnt 0x0
	global_store_b64 v[60:61], v[42:43], off offset:768
	s_branch .LBB102_12
.LBB102_45:
	s_sendmsg sendmsg(MSG_DEALLOC_VGPRS)
	s_endpgm
	.section	.rodata,"a",@progbits
	.p2align	6, 0x0
	.amdhsa_kernel _ZN9rocsparseL35bsr2csr_block_per_row_33_256_kernelILj1024ELj128ELj32ElllEEv20rocsparse_direction_T4_S2_21rocsparse_index_base_PKT2_PKT3_PKS2_S2_S3_PS4_PS7_PS2_
		.amdhsa_group_segment_fixed_size 0
		.amdhsa_private_segment_fixed_size 0
		.amdhsa_kernarg_size 96
		.amdhsa_user_sgpr_count 2
		.amdhsa_user_sgpr_dispatch_ptr 0
		.amdhsa_user_sgpr_queue_ptr 0
		.amdhsa_user_sgpr_kernarg_segment_ptr 1
		.amdhsa_user_sgpr_dispatch_id 0
		.amdhsa_user_sgpr_kernarg_preload_length 0
		.amdhsa_user_sgpr_kernarg_preload_offset 0
		.amdhsa_user_sgpr_private_segment_size 0
		.amdhsa_wavefront_size32 1
		.amdhsa_uses_dynamic_stack 0
		.amdhsa_enable_private_segment 0
		.amdhsa_system_sgpr_workgroup_id_x 1
		.amdhsa_system_sgpr_workgroup_id_y 0
		.amdhsa_system_sgpr_workgroup_id_z 0
		.amdhsa_system_sgpr_workgroup_info 0
		.amdhsa_system_vgpr_workitem_id 0
		.amdhsa_next_free_vgpr 68
		.amdhsa_next_free_sgpr 44
		.amdhsa_named_barrier_count 0
		.amdhsa_reserve_vcc 1
		.amdhsa_float_round_mode_32 0
		.amdhsa_float_round_mode_16_64 0
		.amdhsa_float_denorm_mode_32 3
		.amdhsa_float_denorm_mode_16_64 3
		.amdhsa_fp16_overflow 0
		.amdhsa_memory_ordered 1
		.amdhsa_forward_progress 1
		.amdhsa_inst_pref_size 22
		.amdhsa_round_robin_scheduling 0
		.amdhsa_exception_fp_ieee_invalid_op 0
		.amdhsa_exception_fp_denorm_src 0
		.amdhsa_exception_fp_ieee_div_zero 0
		.amdhsa_exception_fp_ieee_overflow 0
		.amdhsa_exception_fp_ieee_underflow 0
		.amdhsa_exception_fp_ieee_inexact 0
		.amdhsa_exception_int_div_zero 0
	.end_amdhsa_kernel
	.section	.text._ZN9rocsparseL35bsr2csr_block_per_row_33_256_kernelILj1024ELj128ELj32ElllEEv20rocsparse_direction_T4_S2_21rocsparse_index_base_PKT2_PKT3_PKS2_S2_S3_PS4_PS7_PS2_,"axG",@progbits,_ZN9rocsparseL35bsr2csr_block_per_row_33_256_kernelILj1024ELj128ELj32ElllEEv20rocsparse_direction_T4_S2_21rocsparse_index_base_PKT2_PKT3_PKS2_S2_S3_PS4_PS7_PS2_,comdat
.Lfunc_end102:
	.size	_ZN9rocsparseL35bsr2csr_block_per_row_33_256_kernelILj1024ELj128ELj32ElllEEv20rocsparse_direction_T4_S2_21rocsparse_index_base_PKT2_PKT3_PKS2_S2_S3_PS4_PS7_PS2_, .Lfunc_end102-_ZN9rocsparseL35bsr2csr_block_per_row_33_256_kernelILj1024ELj128ELj32ElllEEv20rocsparse_direction_T4_S2_21rocsparse_index_base_PKT2_PKT3_PKS2_S2_S3_PS4_PS7_PS2_
                                        ; -- End function
	.set _ZN9rocsparseL35bsr2csr_block_per_row_33_256_kernelILj1024ELj128ELj32ElllEEv20rocsparse_direction_T4_S2_21rocsparse_index_base_PKT2_PKT3_PKS2_S2_S3_PS4_PS7_PS2_.num_vgpr, 68
	.set _ZN9rocsparseL35bsr2csr_block_per_row_33_256_kernelILj1024ELj128ELj32ElllEEv20rocsparse_direction_T4_S2_21rocsparse_index_base_PKT2_PKT3_PKS2_S2_S3_PS4_PS7_PS2_.num_agpr, 0
	.set _ZN9rocsparseL35bsr2csr_block_per_row_33_256_kernelILj1024ELj128ELj32ElllEEv20rocsparse_direction_T4_S2_21rocsparse_index_base_PKT2_PKT3_PKS2_S2_S3_PS4_PS7_PS2_.numbered_sgpr, 44
	.set _ZN9rocsparseL35bsr2csr_block_per_row_33_256_kernelILj1024ELj128ELj32ElllEEv20rocsparse_direction_T4_S2_21rocsparse_index_base_PKT2_PKT3_PKS2_S2_S3_PS4_PS7_PS2_.num_named_barrier, 0
	.set _ZN9rocsparseL35bsr2csr_block_per_row_33_256_kernelILj1024ELj128ELj32ElllEEv20rocsparse_direction_T4_S2_21rocsparse_index_base_PKT2_PKT3_PKS2_S2_S3_PS4_PS7_PS2_.private_seg_size, 0
	.set _ZN9rocsparseL35bsr2csr_block_per_row_33_256_kernelILj1024ELj128ELj32ElllEEv20rocsparse_direction_T4_S2_21rocsparse_index_base_PKT2_PKT3_PKS2_S2_S3_PS4_PS7_PS2_.uses_vcc, 1
	.set _ZN9rocsparseL35bsr2csr_block_per_row_33_256_kernelILj1024ELj128ELj32ElllEEv20rocsparse_direction_T4_S2_21rocsparse_index_base_PKT2_PKT3_PKS2_S2_S3_PS4_PS7_PS2_.uses_flat_scratch, 0
	.set _ZN9rocsparseL35bsr2csr_block_per_row_33_256_kernelILj1024ELj128ELj32ElllEEv20rocsparse_direction_T4_S2_21rocsparse_index_base_PKT2_PKT3_PKS2_S2_S3_PS4_PS7_PS2_.has_dyn_sized_stack, 0
	.set _ZN9rocsparseL35bsr2csr_block_per_row_33_256_kernelILj1024ELj128ELj32ElllEEv20rocsparse_direction_T4_S2_21rocsparse_index_base_PKT2_PKT3_PKS2_S2_S3_PS4_PS7_PS2_.has_recursion, 0
	.set _ZN9rocsparseL35bsr2csr_block_per_row_33_256_kernelILj1024ELj128ELj32ElllEEv20rocsparse_direction_T4_S2_21rocsparse_index_base_PKT2_PKT3_PKS2_S2_S3_PS4_PS7_PS2_.has_indirect_call, 0
	.section	.AMDGPU.csdata,"",@progbits
; Kernel info:
; codeLenInByte = 2776
; TotalNumSgprs: 46
; NumVgprs: 68
; ScratchSize: 0
; MemoryBound: 0
; FloatMode: 240
; IeeeMode: 1
; LDSByteSize: 0 bytes/workgroup (compile time only)
; SGPRBlocks: 0
; VGPRBlocks: 4
; NumSGPRsForWavesPerEU: 46
; NumVGPRsForWavesPerEU: 68
; NamedBarCnt: 0
; Occupancy: 12
; WaveLimiterHint : 1
; COMPUTE_PGM_RSRC2:SCRATCH_EN: 0
; COMPUTE_PGM_RSRC2:USER_SGPR: 2
; COMPUTE_PGM_RSRC2:TRAP_HANDLER: 0
; COMPUTE_PGM_RSRC2:TGID_X_EN: 1
; COMPUTE_PGM_RSRC2:TGID_Y_EN: 0
; COMPUTE_PGM_RSRC2:TGID_Z_EN: 0
; COMPUTE_PGM_RSRC2:TIDIG_COMP_CNT: 0
	.section	.text._ZN9rocsparseL35bsr2csr_block_per_row_33_256_kernelILj1024ELj256ELj32ElllEEv20rocsparse_direction_T4_S2_21rocsparse_index_base_PKT2_PKT3_PKS2_S2_S3_PS4_PS7_PS2_,"axG",@progbits,_ZN9rocsparseL35bsr2csr_block_per_row_33_256_kernelILj1024ELj256ELj32ElllEEv20rocsparse_direction_T4_S2_21rocsparse_index_base_PKT2_PKT3_PKS2_S2_S3_PS4_PS7_PS2_,comdat
	.globl	_ZN9rocsparseL35bsr2csr_block_per_row_33_256_kernelILj1024ELj256ELj32ElllEEv20rocsparse_direction_T4_S2_21rocsparse_index_base_PKT2_PKT3_PKS2_S2_S3_PS4_PS7_PS2_ ; -- Begin function _ZN9rocsparseL35bsr2csr_block_per_row_33_256_kernelILj1024ELj256ELj32ElllEEv20rocsparse_direction_T4_S2_21rocsparse_index_base_PKT2_PKT3_PKS2_S2_S3_PS4_PS7_PS2_
	.p2align	8
	.type	_ZN9rocsparseL35bsr2csr_block_per_row_33_256_kernelILj1024ELj256ELj32ElllEEv20rocsparse_direction_T4_S2_21rocsparse_index_base_PKT2_PKT3_PKS2_S2_S3_PS4_PS7_PS2_,@function
_ZN9rocsparseL35bsr2csr_block_per_row_33_256_kernelILj1024ELj256ELj32ElllEEv20rocsparse_direction_T4_S2_21rocsparse_index_base_PKT2_PKT3_PKS2_S2_S3_PS4_PS7_PS2_: ; @_ZN9rocsparseL35bsr2csr_block_per_row_33_256_kernelILj1024ELj256ELj32ElllEEv20rocsparse_direction_T4_S2_21rocsparse_index_base_PKT2_PKT3_PKS2_S2_S3_PS4_PS7_PS2_
; %bb.0:
	s_load_b64 s[6:7], s[0:1], 0x28
	s_bfe_u32 s2, ttmp6, 0x4000c
	s_and_b32 s3, ttmp6, 15
	s_add_co_i32 s2, s2, 1
	s_getreg_b32 s4, hwreg(HW_REG_IB_STS2, 6, 4)
	s_mul_i32 s2, ttmp9, s2
	s_mov_b32 s17, 0
	s_add_co_i32 s3, s3, s2
	s_cmp_eq_u32 s4, 0
	s_clause 0x1
	s_load_b32 s18, s[0:1], 0x40
	s_load_b64 s[4:5], s[0:1], 0x50
	s_cselect_b32 s2, ttmp9, s3
	s_mov_b32 s3, s17
	v_or_b32_e32 v1, s2, v0
	s_lshl_b64 s[8:9], s[2:3], 3
	s_mov_b32 s19, s17
	s_wait_kmcnt 0x0
	s_add_nc_u64 s[6:7], s[6:7], s[8:9]
	s_load_b128 s[12:15], s[6:7], 0x0
	s_wait_xcnt 0x0
	s_mov_b32 s6, exec_lo
	v_cmpx_eq_u32_e32 0, v1
	s_cbranch_execz .LBB103_2
; %bb.1:
	v_mov_b64_e32 v[2:3], s[18:19]
	v_mov_b32_e32 v1, 0
	global_store_b64 v1, v[2:3], s[4:5]
.LBB103_2:
	s_wait_xcnt 0x0
	s_or_b32 exec_lo, exec_lo, s6
	s_clause 0x1
	s_load_b32 s16, s[0:1], 0x18
	s_load_b64 s[20:21], s[0:1], 0x38
	v_dual_mov_b32 v53, 0 :: v_dual_lshrrev_b32 v52, 5, v0
	s_wait_kmcnt 0x0
	s_sub_nc_u64 s[22:23], s[12:13], s[16:17]
	s_sub_nc_u64 s[24:25], s[14:15], s[16:17]
	s_mul_u64 s[8:9], s[20:21], s[22:23]
	s_mul_u64 s[6:7], s[20:21], s[2:3]
	v_cmp_gt_i64_e64 s2, s[20:21], v[52:53]
	s_sub_nc_u64 s[42:43], s[24:25], s[22:23]
	s_mul_u64 s[8:9], s[8:9], s[20:21]
	s_mul_u64 s[10:11], s[42:43], s[20:21]
	s_add_nc_u64 s[8:9], s[8:9], s[18:19]
	s_lshl_b64 s[6:7], s[6:7], 3
	s_add_nc_u64 s[28:29], s[8:9], s[10:11]
	s_add_nc_u64 s[26:27], s[4:5], s[6:7]
	s_and_saveexec_b32 s3, s2
	s_cbranch_execz .LBB103_4
; %bb.3:
	v_mad_nc_u64_u32 v[2:3], v52, s10, s[28:29]
	s_delay_alu instid0(VALU_DEP_1)
	v_mad_u32 v3, v52, s11, v3
	global_store_b64 v52, v[2:3], s[26:27] offset:8 scale_offset
.LBB103_4:
	s_wait_xcnt 0x0
	s_or_b32 exec_lo, exec_lo, s3
	v_dual_mov_b32 v3, v53 :: v_dual_bitop2_b32 v2, 32, v52 bitop3:0x54
	s_delay_alu instid0(VALU_DEP_1)
	v_cmp_gt_i64_e64 s3, s[20:21], v[2:3]
	s_and_saveexec_b32 s4, s3
	s_cbranch_execz .LBB103_6
; %bb.5:
	v_mad_nc_u64_u32 v[4:5], v2, s10, s[28:29]
	s_delay_alu instid0(VALU_DEP_1)
	v_mad_u32 v5, v2, s11, v5
	global_store_b64 v52, v[4:5], s[26:27] offset:264 scale_offset
.LBB103_6:
	s_wait_xcnt 0x0
	s_or_b32 exec_lo, exec_lo, s4
	v_dual_mov_b32 v3, v53 :: v_dual_bitop2_b32 v2, 64, v52 bitop3:0x54
	s_delay_alu instid0(VALU_DEP_1)
	v_cmp_gt_i64_e64 s4, s[20:21], v[2:3]
	s_and_saveexec_b32 s5, s4
	s_cbranch_execz .LBB103_8
; %bb.7:
	v_mad_nc_u64_u32 v[4:5], v2, s10, s[28:29]
	s_delay_alu instid0(VALU_DEP_1)
	v_mad_u32 v5, v2, s11, v5
	global_store_b64 v52, v[4:5], s[26:27] offset:520 scale_offset
.LBB103_8:
	s_wait_xcnt 0x0
	s_or_b32 exec_lo, exec_lo, s5
	v_or_b32_e32 v2, 0x60, v52
	v_mov_b32_e32 v3, v53
	s_delay_alu instid0(VALU_DEP_1)
	v_cmp_gt_i64_e64 s5, s[20:21], v[2:3]
	s_and_saveexec_b32 s6, s5
	s_cbranch_execz .LBB103_10
; %bb.9:
	v_mad_nc_u64_u32 v[4:5], v2, s10, s[28:29]
	s_delay_alu instid0(VALU_DEP_1)
	v_mad_u32 v5, v2, s11, v5
	global_store_b64 v52, v[4:5], s[26:27] offset:776 scale_offset
.LBB103_10:
	s_wait_xcnt 0x0
	s_or_b32 exec_lo, exec_lo, s6
	v_or_b32_e32 v2, 0x80, v52
	v_mov_b32_e32 v3, v53
	;; [unrolled: 14-line block ×5, first 2 shown]
	s_delay_alu instid0(VALU_DEP_1)
	v_cmp_gt_i64_e64 s9, s[20:21], v[2:3]
	s_and_saveexec_b32 s30, s9
	s_cbranch_execz .LBB103_18
; %bb.17:
	v_mad_nc_u64_u32 v[4:5], v2, s10, s[28:29]
	s_delay_alu instid0(VALU_DEP_1)
	v_mad_u32 v5, v2, s11, v5
	global_store_b64 v52, v[4:5], s[26:27] offset:1800 scale_offset
.LBB103_18:
	s_wait_xcnt 0x0
	s_or_b32 exec_lo, exec_lo, s30
	v_cmp_lt_i64_e64 s10, s[12:13], s[14:15]
	s_and_b32 vcc_lo, exec_lo, s10
	s_cbranch_vccz .LBB103_149
; %bb.19:
	v_dual_mov_b32 v1, 0 :: v_dual_bitop2_b32 v2, 31, v0 bitop3:0x40
	v_mul_u64_e32 v[4:5], s[42:43], v[52:53]
	s_clause 0x4
	s_load_b64 s[28:29], s[0:1], 0x20
	s_load_b64 s[30:31], s[0:1], 0x30
	;; [unrolled: 1-line block ×3, first 2 shown]
	s_load_b32 s15, s[0:1], 0x0
	s_load_b64 s[26:27], s[0:1], 0x58
	v_dual_mov_b32 v3, v1 :: v_dual_bitop2_b32 v10, 32, v2 bitop3:0x54
	v_mul_u64_e32 v[8:9], s[20:21], v[52:53]
	v_dual_mov_b32 v11, v1 :: v_dual_bitop2_b32 v12, 64, v2 bitop3:0x54
	s_delay_alu instid0(VALU_DEP_3)
	v_mul_u64_e32 v[6:7], s[20:21], v[2:3]
	v_dual_mov_b32 v13, v1 :: v_dual_mov_b32 v15, v1
	v_or_b32_e32 v14, 0x60, v2
	v_or_b32_e32 v16, 0x80, v2
	v_dual_mov_b32 v17, v1 :: v_dual_mov_b32 v19, v1
	v_or_b32_e32 v18, 0xa0, v2
	v_or_b32_e32 v20, 0xc0, v2
	v_dual_mov_b32 v21, v1 :: v_dual_mov_b32 v23, v1
	v_or_b32_e32 v22, 0xe0, v2
	v_cmp_gt_i64_e32 vcc_lo, s[20:21], v[2:3]
	s_wait_kmcnt 0x0
	s_cmp_eq_u32 s15, 0
	v_cmp_gt_i64_e64 s1, s[20:21], v[10:11]
	s_cselect_b32 s0, -1, 0
	s_lshl_b64 s[40:41], s[20:21], 5
	s_lshl_b64 s[96:97], s[42:43], 5
	v_cmp_gt_i64_e64 s10, s[20:21], v[12:13]
	v_cmp_gt_i64_e64 s11, s[20:21], v[14:15]
	;; [unrolled: 1-line block ×6, first 2 shown]
	v_add_nc_u64_e32 v[30:31], s[96:97], v[4:5]
	v_dual_mov_b32 v53, v1 :: v_dual_lshlrev_b32 v52, 3, v52
	s_mul_u64 s[36:37], s[20:21], s[20:21]
	s_and_b32 s33, s2, vcc_lo
	s_mul_u64 s[38:39], s[22:23], s[36:37]
	s_and_b32 s44, s2, s1
	s_delay_alu instid0(VALU_DEP_2)
	v_add_nc_u64_e32 v[34:35], s[96:97], v[30:31]
	v_add_nc_u64_e32 v[24:25], s[40:41], v[6:7]
	s_and_b32 s45, s2, s10
	s_and_b32 s46, s2, s11
	;; [unrolled: 1-line block ×5, first 2 shown]
	v_add_nc_u64_e32 v[38:39], s[96:97], v[34:35]
	v_add_nc_u64_e32 v[26:27], s[40:41], v[24:25]
	s_and_b32 s50, s2, s15
	s_and_b32 s42, s3, vcc_lo
	s_and_b32 s43, s3, s1
	s_and_b32 s51, s3, s10
	;; [unrolled: 1-line block ×3, first 2 shown]
	v_add_nc_u64_e32 v[42:43], s[96:97], v[38:39]
	v_add_nc_u64_e32 v[28:29], s[40:41], v[26:27]
	s_and_b32 s53, s3, s12
	s_and_b32 s54, s3, s13
	;; [unrolled: 1-line block ×4, first 2 shown]
	s_and_b32 s57, s4, vcc_lo
	v_add_nc_u64_e32 v[46:47], s[96:97], v[42:43]
	v_add_nc_u64_e32 v[32:33], s[40:41], v[28:29]
	s_and_b32 s58, s4, s1
	s_and_b32 s59, s4, s10
	;; [unrolled: 1-line block ×5, first 2 shown]
	v_add_nc_u64_e32 v[48:49], s[96:97], v[46:47]
	v_add_nc_u64_e32 v[36:37], s[40:41], v[32:33]
	s_and_b32 s63, s4, s14
	s_and_b32 s64, s4, s15
	s_and_b32 s65, s5, vcc_lo
	s_and_b32 s66, s5, s1
	s_and_b32 s67, s5, s10
	v_add_nc_u64_e32 v[50:51], s[96:97], v[48:49]
	v_add_nc_u64_e32 v[40:41], s[40:41], v[36:37]
	s_and_b32 s68, s5, s11
	s_and_b32 s69, s5, s12
	;; [unrolled: 1-line block ×5, first 2 shown]
	s_and_b32 s73, s6, vcc_lo
	v_add_nc_u64_e32 v[44:45], s[40:41], v[40:41]
	s_and_b32 s74, s6, s1
	s_and_b32 s75, s6, s10
	s_and_b32 s76, s6, s11
	s_and_b32 s77, s6, s12
	s_and_b32 s78, s6, s13
	s_and_b32 s79, s6, s14
	s_and_b32 s80, s6, s15
	s_and_b32 s81, s7, vcc_lo
	s_and_b32 s82, s7, s1
	s_and_b32 s83, s7, s10
	s_and_b32 s84, s7, s11
	s_and_b32 s85, s7, s12
	s_and_b32 s86, s7, s13
	s_and_b32 s87, s7, s14
	s_and_b32 s88, s7, s15
	s_and_b32 s89, s8, vcc_lo
	;; [unrolled: 8-line block ×3, first 2 shown]
	s_and_b32 s1, s9, s1
	s_and_b32 s10, s9, s10
	;; [unrolled: 1-line block ×7, first 2 shown]
	s_mov_b64 s[2:3], s[22:23]
	s_branch .LBB103_21
.LBB103_20:                             ;   in Loop: Header=BB103_21 Depth=1
	s_wait_xcnt 0x0
	s_or_b32 exec_lo, exec_lo, s4
	s_add_nc_u64 s[2:3], s[2:3], 1
	s_delay_alu instid0(SALU_CYCLE_1)
	v_cmp_ge_i64_e64 s4, s[2:3], s[24:25]
	s_and_b32 vcc_lo, exec_lo, s4
	s_cbranch_vccnz .LBB103_149
.LBB103_21:                             ; =>This Inner Loop Header: Depth=1
	s_sub_nc_u64 s[4:5], s[2:3], s[22:23]
	s_lshl_b64 s[6:7], s[2:3], 3
	v_add_nc_u64_e32 v[54:55], s[4:5], v[4:5]
	s_add_nc_u64 s[6:7], s[30:31], s[6:7]
	s_mul_u64 s[98:99], s[2:3], s[36:37]
	s_load_b64 s[6:7], s[6:7], 0x0
	s_lshl_b64 s[98:99], s[98:99], 3
	s_delay_alu instid0(SALU_CYCLE_1) | instskip(NEXT) | instid1(VALU_DEP_1)
	s_add_nc_u64 s[98:99], s[28:29], s[98:99]
	v_mad_nc_u64_u32 v[56:57], v54, s20, s[38:39]
	v_add_nc_u64_e32 v[72:73], s[98:99], v[52:53]
	v_lshl_add_u64 v[86:87], v[8:9], 3, s[98:99]
	s_delay_alu instid0(VALU_DEP_2) | instskip(NEXT) | instid1(VALU_DEP_4)
	v_lshl_add_u64 v[70:71], v[6:7], 3, v[72:73]
	v_mad_u32 v0, v55, s20, v57
	s_wait_kmcnt 0x0
	s_sub_nc_u64 s[6:7], s[6:7], s[16:17]
	s_delay_alu instid0(SALU_CYCLE_1) | instskip(NEXT) | instid1(SALU_CYCLE_1)
	s_mul_u64 s[6:7], s[6:7], s[20:21]
	s_add_nc_u64 s[6:7], s[6:7], s[18:19]
	s_delay_alu instid0(VALU_DEP_1) | instskip(SKIP_2) | instid1(VALU_DEP_3)
	v_mad_u32 v57, v54, s21, v0
	v_add_nc_u64_e32 v[54:55], s[6:7], v[2:3]
	v_lshlrev_b32_e32 v0, 3, v2
	v_add_nc_u64_e32 v[56:57], v[56:57], v[2:3]
	s_delay_alu instid0(VALU_DEP_1)
	v_lshlrev_b64_e32 v[88:89], 3, v[56:57]
	s_and_saveexec_b32 s15, s33
	s_cbranch_execz .LBB103_23
; %bb.22:                               ;   in Loop: Header=BB103_21 Depth=1
	v_add_nc_u64_e32 v[56:57], v[86:87], v[0:1]
	s_delay_alu instid0(VALU_DEP_2) | instskip(SKIP_1) | instid1(VALU_DEP_3)
	v_add_nc_u64_e32 v[58:59], s[26:27], v[88:89]
	v_add_nc_u64_e32 v[60:61], s[34:35], v[88:89]
	v_dual_cndmask_b32 v57, v71, v57, s0 :: v_dual_cndmask_b32 v56, v70, v56, s0
	global_load_b64 v[56:57], v[56:57], off
	global_store_b64 v[58:59], v[54:55], off
	s_wait_loadcnt 0x0
	global_store_b64 v[60:61], v[56:57], off
.LBB103_23:                             ;   in Loop: Header=BB103_21 Depth=1
	s_wait_xcnt 0x0
	s_or_b32 exec_lo, exec_lo, s15
	v_add_nc_u64_e32 v[56:57], s[6:7], v[10:11]
	v_lshl_add_u64 v[84:85], v[24:25], 3, v[72:73]
	s_and_saveexec_b32 s15, s44
	s_cbranch_execz .LBB103_25
; %bb.24:                               ;   in Loop: Header=BB103_21 Depth=1
	v_add_nc_u64_e32 v[58:59], v[86:87], v[0:1]
	v_add_nc_u64_e32 v[60:61], s[26:27], v[88:89]
	v_add_nc_u64_e32 v[62:63], s[34:35], v[88:89]
	s_delay_alu instid0(VALU_DEP_3) | instskip(NEXT) | instid1(VALU_DEP_1)
	v_add_nc_u64_e32 v[58:59], 0x100, v[58:59]
	v_dual_cndmask_b32 v59, v85, v59, s0 :: v_dual_cndmask_b32 v58, v84, v58, s0
	global_load_b64 v[58:59], v[58:59], off
	global_store_b64 v[60:61], v[56:57], off offset:256
	s_wait_loadcnt 0x0
	global_store_b64 v[62:63], v[58:59], off offset:256
.LBB103_25:                             ;   in Loop: Header=BB103_21 Depth=1
	s_wait_xcnt 0x0
	s_or_b32 exec_lo, exec_lo, s15
	v_add_nc_u64_e32 v[58:59], s[6:7], v[12:13]
	v_lshl_add_u64 v[82:83], v[26:27], 3, v[72:73]
	s_and_saveexec_b32 s15, s45
	s_cbranch_execz .LBB103_27
; %bb.26:                               ;   in Loop: Header=BB103_21 Depth=1
	v_add_nc_u64_e32 v[60:61], v[86:87], v[0:1]
	v_add_nc_u64_e32 v[62:63], s[26:27], v[88:89]
	v_add_nc_u64_e32 v[64:65], s[34:35], v[88:89]
	s_delay_alu instid0(VALU_DEP_3) | instskip(NEXT) | instid1(VALU_DEP_1)
	v_add_nc_u64_e32 v[60:61], 0x200, v[60:61]
	v_dual_cndmask_b32 v61, v83, v61, s0 :: v_dual_cndmask_b32 v60, v82, v60, s0
	global_load_b64 v[60:61], v[60:61], off
	global_store_b64 v[62:63], v[58:59], off offset:512
	s_wait_loadcnt 0x0
	global_store_b64 v[64:65], v[60:61], off offset:512
.LBB103_27:                             ;   in Loop: Header=BB103_21 Depth=1
	;; [unrolled: 18-line block ×7, first 2 shown]
	s_wait_xcnt 0x0
	s_or_b32 exec_lo, exec_lo, s6
	v_add_nc_u64_e32 v[88:89], s[4:5], v[30:31]
	v_lshl_add_u64 v[86:87], s[40:41], 3, v[86:87]
	s_delay_alu instid0(VALU_DEP_2) | instskip(NEXT) | instid1(VALU_DEP_1)
	v_mad_nc_u64_u32 v[90:91], v88, s20, s[38:39]
	v_mad_u32 v89, v89, s20, v91
	s_delay_alu instid0(VALU_DEP_1) | instskip(NEXT) | instid1(VALU_DEP_1)
	v_mad_u32 v91, v88, s21, v89
	v_add_nc_u64_e32 v[88:89], v[90:91], v[2:3]
	s_delay_alu instid0(VALU_DEP_1)
	v_lshlrev_b64_e32 v[88:89], 3, v[88:89]
	s_and_saveexec_b32 s6, s42
	s_cbranch_execnz .LBB103_99
; %bb.38:                               ;   in Loop: Header=BB103_21 Depth=1
	s_or_b32 exec_lo, exec_lo, s6
	s_and_saveexec_b32 s6, s43
	s_cbranch_execnz .LBB103_100
.LBB103_39:                             ;   in Loop: Header=BB103_21 Depth=1
	s_or_b32 exec_lo, exec_lo, s6
	s_and_saveexec_b32 s6, s51
	s_cbranch_execnz .LBB103_101
.LBB103_40:                             ;   in Loop: Header=BB103_21 Depth=1
	s_or_b32 exec_lo, exec_lo, s6
	s_and_saveexec_b32 s6, s52
	s_cbranch_execnz .LBB103_102
.LBB103_41:                             ;   in Loop: Header=BB103_21 Depth=1
	s_or_b32 exec_lo, exec_lo, s6
	s_and_saveexec_b32 s6, s53
	s_cbranch_execnz .LBB103_103
.LBB103_42:                             ;   in Loop: Header=BB103_21 Depth=1
	s_or_b32 exec_lo, exec_lo, s6
	s_and_saveexec_b32 s6, s54
	s_cbranch_execnz .LBB103_104
.LBB103_43:                             ;   in Loop: Header=BB103_21 Depth=1
	s_or_b32 exec_lo, exec_lo, s6
	s_and_saveexec_b32 s6, s55
	s_cbranch_execnz .LBB103_105
.LBB103_44:                             ;   in Loop: Header=BB103_21 Depth=1
	s_or_b32 exec_lo, exec_lo, s6
	s_and_saveexec_b32 s6, s56
	s_cbranch_execz .LBB103_46
.LBB103_45:                             ;   in Loop: Header=BB103_21 Depth=1
	v_add_nc_u64_e32 v[90:91], v[86:87], v[0:1]
	v_add_nc_u64_e32 v[92:93], 0x100, v[72:73]
	s_delay_alu instid0(VALU_DEP_2) | instskip(NEXT) | instid1(VALU_DEP_1)
	v_add_nc_u64_e32 v[90:91], 0x700, v[90:91]
	v_dual_cndmask_b32 v91, v93, v91, s0 :: v_dual_cndmask_b32 v90, v92, v90, s0
	v_add_nc_u64_e32 v[92:93], s[26:27], v[88:89]
	v_add_nc_u64_e32 v[88:89], s[34:35], v[88:89]
	global_load_b64 v[90:91], v[90:91], off
	global_store_b64 v[92:93], v[68:69], off offset:1792
	s_wait_loadcnt 0x0
	global_store_b64 v[88:89], v[90:91], off offset:1792
.LBB103_46:                             ;   in Loop: Header=BB103_21 Depth=1
	s_wait_xcnt 0x0
	s_or_b32 exec_lo, exec_lo, s6
	v_add_nc_u64_e32 v[88:89], s[4:5], v[34:35]
	v_lshl_add_u64 v[86:87], s[40:41], 3, v[86:87]
	s_delay_alu instid0(VALU_DEP_2) | instskip(NEXT) | instid1(VALU_DEP_1)
	v_mad_nc_u64_u32 v[90:91], v88, s20, s[38:39]
	v_mad_u32 v89, v89, s20, v91
	s_delay_alu instid0(VALU_DEP_1) | instskip(NEXT) | instid1(VALU_DEP_1)
	v_mad_u32 v91, v88, s21, v89
	v_add_nc_u64_e32 v[88:89], v[90:91], v[2:3]
	s_delay_alu instid0(VALU_DEP_1)
	v_lshlrev_b64_e32 v[88:89], 3, v[88:89]
	s_and_saveexec_b32 s6, s57
	s_cbranch_execnz .LBB103_106
; %bb.47:                               ;   in Loop: Header=BB103_21 Depth=1
	s_or_b32 exec_lo, exec_lo, s6
	s_and_saveexec_b32 s6, s58
	s_cbranch_execnz .LBB103_107
.LBB103_48:                             ;   in Loop: Header=BB103_21 Depth=1
	s_or_b32 exec_lo, exec_lo, s6
	s_and_saveexec_b32 s6, s59
	s_cbranch_execnz .LBB103_108
.LBB103_49:                             ;   in Loop: Header=BB103_21 Depth=1
	s_or_b32 exec_lo, exec_lo, s6
	s_and_saveexec_b32 s6, s60
	s_cbranch_execnz .LBB103_109
.LBB103_50:                             ;   in Loop: Header=BB103_21 Depth=1
	s_or_b32 exec_lo, exec_lo, s6
	s_and_saveexec_b32 s6, s61
	s_cbranch_execnz .LBB103_110
.LBB103_51:                             ;   in Loop: Header=BB103_21 Depth=1
	s_or_b32 exec_lo, exec_lo, s6
	s_and_saveexec_b32 s6, s62
	s_cbranch_execnz .LBB103_111
.LBB103_52:                             ;   in Loop: Header=BB103_21 Depth=1
	s_or_b32 exec_lo, exec_lo, s6
	s_and_saveexec_b32 s6, s63
	s_cbranch_execnz .LBB103_112
.LBB103_53:                             ;   in Loop: Header=BB103_21 Depth=1
	s_or_b32 exec_lo, exec_lo, s6
	s_and_saveexec_b32 s6, s64
	s_cbranch_execz .LBB103_55
.LBB103_54:                             ;   in Loop: Header=BB103_21 Depth=1
	v_add_nc_u64_e32 v[90:91], v[86:87], v[0:1]
	v_add_nc_u64_e32 v[92:93], 0x200, v[72:73]
	s_delay_alu instid0(VALU_DEP_2) | instskip(NEXT) | instid1(VALU_DEP_1)
	v_add_nc_u64_e32 v[90:91], 0x700, v[90:91]
	v_dual_cndmask_b32 v91, v93, v91, s0 :: v_dual_cndmask_b32 v90, v92, v90, s0
	v_add_nc_u64_e32 v[92:93], s[26:27], v[88:89]
	v_add_nc_u64_e32 v[88:89], s[34:35], v[88:89]
	global_load_b64 v[90:91], v[90:91], off
	global_store_b64 v[92:93], v[68:69], off offset:1792
	s_wait_loadcnt 0x0
	global_store_b64 v[88:89], v[90:91], off offset:1792
.LBB103_55:                             ;   in Loop: Header=BB103_21 Depth=1
	s_wait_xcnt 0x0
	s_or_b32 exec_lo, exec_lo, s6
	v_add_nc_u64_e32 v[88:89], s[4:5], v[38:39]
	v_lshl_add_u64 v[86:87], s[40:41], 3, v[86:87]
	s_delay_alu instid0(VALU_DEP_2) | instskip(NEXT) | instid1(VALU_DEP_1)
	v_mad_nc_u64_u32 v[90:91], v88, s20, s[38:39]
	v_mad_u32 v89, v89, s20, v91
	s_delay_alu instid0(VALU_DEP_1) | instskip(NEXT) | instid1(VALU_DEP_1)
	v_mad_u32 v91, v88, s21, v89
	v_add_nc_u64_e32 v[88:89], v[90:91], v[2:3]
	s_delay_alu instid0(VALU_DEP_1)
	v_lshlrev_b64_e32 v[88:89], 3, v[88:89]
	s_and_saveexec_b32 s6, s65
	s_cbranch_execnz .LBB103_113
; %bb.56:                               ;   in Loop: Header=BB103_21 Depth=1
	s_or_b32 exec_lo, exec_lo, s6
	s_and_saveexec_b32 s6, s66
	s_cbranch_execnz .LBB103_114
.LBB103_57:                             ;   in Loop: Header=BB103_21 Depth=1
	s_or_b32 exec_lo, exec_lo, s6
	s_and_saveexec_b32 s6, s67
	s_cbranch_execnz .LBB103_115
.LBB103_58:                             ;   in Loop: Header=BB103_21 Depth=1
	s_or_b32 exec_lo, exec_lo, s6
	s_and_saveexec_b32 s6, s68
	s_cbranch_execnz .LBB103_116
.LBB103_59:                             ;   in Loop: Header=BB103_21 Depth=1
	s_or_b32 exec_lo, exec_lo, s6
	s_and_saveexec_b32 s6, s69
	s_cbranch_execnz .LBB103_117
.LBB103_60:                             ;   in Loop: Header=BB103_21 Depth=1
	s_or_b32 exec_lo, exec_lo, s6
	s_and_saveexec_b32 s6, s70
	s_cbranch_execnz .LBB103_118
.LBB103_61:                             ;   in Loop: Header=BB103_21 Depth=1
	s_or_b32 exec_lo, exec_lo, s6
	s_and_saveexec_b32 s6, s71
	s_cbranch_execnz .LBB103_119
.LBB103_62:                             ;   in Loop: Header=BB103_21 Depth=1
	s_or_b32 exec_lo, exec_lo, s6
	s_and_saveexec_b32 s6, s72
	s_cbranch_execz .LBB103_64
.LBB103_63:                             ;   in Loop: Header=BB103_21 Depth=1
	v_add_nc_u64_e32 v[90:91], v[86:87], v[0:1]
	v_add_nc_u64_e32 v[92:93], 0x300, v[72:73]
	s_delay_alu instid0(VALU_DEP_2) | instskip(NEXT) | instid1(VALU_DEP_1)
	v_add_nc_u64_e32 v[90:91], 0x700, v[90:91]
	v_dual_cndmask_b32 v91, v93, v91, s0 :: v_dual_cndmask_b32 v90, v92, v90, s0
	v_add_nc_u64_e32 v[92:93], s[26:27], v[88:89]
	v_add_nc_u64_e32 v[88:89], s[34:35], v[88:89]
	global_load_b64 v[90:91], v[90:91], off
	global_store_b64 v[92:93], v[68:69], off offset:1792
	s_wait_loadcnt 0x0
	global_store_b64 v[88:89], v[90:91], off offset:1792
.LBB103_64:                             ;   in Loop: Header=BB103_21 Depth=1
	s_wait_xcnt 0x0
	s_or_b32 exec_lo, exec_lo, s6
	v_add_nc_u64_e32 v[88:89], s[4:5], v[42:43]
	v_lshl_add_u64 v[86:87], s[40:41], 3, v[86:87]
	s_delay_alu instid0(VALU_DEP_2) | instskip(NEXT) | instid1(VALU_DEP_1)
	v_mad_nc_u64_u32 v[90:91], v88, s20, s[38:39]
	v_mad_u32 v89, v89, s20, v91
	s_delay_alu instid0(VALU_DEP_1) | instskip(NEXT) | instid1(VALU_DEP_1)
	v_mad_u32 v91, v88, s21, v89
	v_add_nc_u64_e32 v[88:89], v[90:91], v[2:3]
	s_delay_alu instid0(VALU_DEP_1)
	v_lshlrev_b64_e32 v[88:89], 3, v[88:89]
	s_and_saveexec_b32 s6, s73
	s_cbranch_execnz .LBB103_120
; %bb.65:                               ;   in Loop: Header=BB103_21 Depth=1
	s_or_b32 exec_lo, exec_lo, s6
	s_and_saveexec_b32 s6, s74
	s_cbranch_execnz .LBB103_121
.LBB103_66:                             ;   in Loop: Header=BB103_21 Depth=1
	s_or_b32 exec_lo, exec_lo, s6
	s_and_saveexec_b32 s6, s75
	s_cbranch_execnz .LBB103_122
.LBB103_67:                             ;   in Loop: Header=BB103_21 Depth=1
	s_or_b32 exec_lo, exec_lo, s6
	s_and_saveexec_b32 s6, s76
	s_cbranch_execnz .LBB103_123
.LBB103_68:                             ;   in Loop: Header=BB103_21 Depth=1
	s_or_b32 exec_lo, exec_lo, s6
	s_and_saveexec_b32 s6, s77
	s_cbranch_execnz .LBB103_124
.LBB103_69:                             ;   in Loop: Header=BB103_21 Depth=1
	s_or_b32 exec_lo, exec_lo, s6
	s_and_saveexec_b32 s6, s78
	s_cbranch_execnz .LBB103_125
.LBB103_70:                             ;   in Loop: Header=BB103_21 Depth=1
	s_or_b32 exec_lo, exec_lo, s6
	s_and_saveexec_b32 s6, s79
	s_cbranch_execnz .LBB103_126
.LBB103_71:                             ;   in Loop: Header=BB103_21 Depth=1
	s_or_b32 exec_lo, exec_lo, s6
	s_and_saveexec_b32 s6, s80
	s_cbranch_execz .LBB103_73
.LBB103_72:                             ;   in Loop: Header=BB103_21 Depth=1
	v_add_nc_u64_e32 v[90:91], v[86:87], v[0:1]
	v_add_nc_u64_e32 v[92:93], 0x400, v[72:73]
	s_delay_alu instid0(VALU_DEP_2) | instskip(NEXT) | instid1(VALU_DEP_1)
	v_add_nc_u64_e32 v[90:91], 0x700, v[90:91]
	v_dual_cndmask_b32 v91, v93, v91, s0 :: v_dual_cndmask_b32 v90, v92, v90, s0
	v_add_nc_u64_e32 v[92:93], s[26:27], v[88:89]
	v_add_nc_u64_e32 v[88:89], s[34:35], v[88:89]
	global_load_b64 v[90:91], v[90:91], off
	global_store_b64 v[92:93], v[68:69], off offset:1792
	s_wait_loadcnt 0x0
	global_store_b64 v[88:89], v[90:91], off offset:1792
.LBB103_73:                             ;   in Loop: Header=BB103_21 Depth=1
	s_wait_xcnt 0x0
	s_or_b32 exec_lo, exec_lo, s6
	v_add_nc_u64_e32 v[88:89], s[4:5], v[46:47]
	v_lshl_add_u64 v[86:87], s[40:41], 3, v[86:87]
	s_delay_alu instid0(VALU_DEP_2) | instskip(NEXT) | instid1(VALU_DEP_1)
	v_mad_nc_u64_u32 v[90:91], v88, s20, s[38:39]
	v_mad_u32 v89, v89, s20, v91
	s_delay_alu instid0(VALU_DEP_1) | instskip(NEXT) | instid1(VALU_DEP_1)
	v_mad_u32 v91, v88, s21, v89
	v_add_nc_u64_e32 v[88:89], v[90:91], v[2:3]
	s_delay_alu instid0(VALU_DEP_1)
	v_lshlrev_b64_e32 v[88:89], 3, v[88:89]
	s_and_saveexec_b32 s6, s81
	s_cbranch_execnz .LBB103_127
; %bb.74:                               ;   in Loop: Header=BB103_21 Depth=1
	s_or_b32 exec_lo, exec_lo, s6
	s_and_saveexec_b32 s6, s82
	s_cbranch_execnz .LBB103_128
.LBB103_75:                             ;   in Loop: Header=BB103_21 Depth=1
	s_or_b32 exec_lo, exec_lo, s6
	s_and_saveexec_b32 s6, s83
	s_cbranch_execnz .LBB103_129
.LBB103_76:                             ;   in Loop: Header=BB103_21 Depth=1
	s_or_b32 exec_lo, exec_lo, s6
	s_and_saveexec_b32 s6, s84
	s_cbranch_execnz .LBB103_130
.LBB103_77:                             ;   in Loop: Header=BB103_21 Depth=1
	s_or_b32 exec_lo, exec_lo, s6
	s_and_saveexec_b32 s6, s85
	s_cbranch_execnz .LBB103_131
.LBB103_78:                             ;   in Loop: Header=BB103_21 Depth=1
	s_or_b32 exec_lo, exec_lo, s6
	s_and_saveexec_b32 s6, s86
	s_cbranch_execnz .LBB103_132
.LBB103_79:                             ;   in Loop: Header=BB103_21 Depth=1
	s_or_b32 exec_lo, exec_lo, s6
	s_and_saveexec_b32 s6, s87
	s_cbranch_execnz .LBB103_133
.LBB103_80:                             ;   in Loop: Header=BB103_21 Depth=1
	s_or_b32 exec_lo, exec_lo, s6
	s_and_saveexec_b32 s6, s88
	s_cbranch_execz .LBB103_82
.LBB103_81:                             ;   in Loop: Header=BB103_21 Depth=1
	v_add_nc_u64_e32 v[90:91], v[86:87], v[0:1]
	v_add_nc_u64_e32 v[92:93], 0x500, v[72:73]
	s_delay_alu instid0(VALU_DEP_2) | instskip(NEXT) | instid1(VALU_DEP_1)
	v_add_nc_u64_e32 v[90:91], 0x700, v[90:91]
	v_dual_cndmask_b32 v91, v93, v91, s0 :: v_dual_cndmask_b32 v90, v92, v90, s0
	v_add_nc_u64_e32 v[92:93], s[26:27], v[88:89]
	v_add_nc_u64_e32 v[88:89], s[34:35], v[88:89]
	global_load_b64 v[90:91], v[90:91], off
	global_store_b64 v[92:93], v[68:69], off offset:1792
	s_wait_loadcnt 0x0
	global_store_b64 v[88:89], v[90:91], off offset:1792
.LBB103_82:                             ;   in Loop: Header=BB103_21 Depth=1
	s_wait_xcnt 0x0
	s_or_b32 exec_lo, exec_lo, s6
	v_add_nc_u64_e32 v[88:89], s[4:5], v[48:49]
	v_lshl_add_u64 v[86:87], s[40:41], 3, v[86:87]
	s_delay_alu instid0(VALU_DEP_2) | instskip(NEXT) | instid1(VALU_DEP_1)
	v_mad_nc_u64_u32 v[90:91], v88, s20, s[38:39]
	v_mad_u32 v89, v89, s20, v91
	s_delay_alu instid0(VALU_DEP_1) | instskip(NEXT) | instid1(VALU_DEP_1)
	v_mad_u32 v91, v88, s21, v89
	v_add_nc_u64_e32 v[88:89], v[90:91], v[2:3]
	s_delay_alu instid0(VALU_DEP_1)
	v_lshlrev_b64_e32 v[88:89], 3, v[88:89]
	s_and_saveexec_b32 s6, s89
	s_cbranch_execnz .LBB103_134
; %bb.83:                               ;   in Loop: Header=BB103_21 Depth=1
	s_or_b32 exec_lo, exec_lo, s6
	s_and_saveexec_b32 s6, s90
	s_cbranch_execnz .LBB103_135
.LBB103_84:                             ;   in Loop: Header=BB103_21 Depth=1
	s_or_b32 exec_lo, exec_lo, s6
	s_and_saveexec_b32 s6, s91
	s_cbranch_execnz .LBB103_136
.LBB103_85:                             ;   in Loop: Header=BB103_21 Depth=1
	s_or_b32 exec_lo, exec_lo, s6
	s_and_saveexec_b32 s6, s92
	s_cbranch_execnz .LBB103_137
.LBB103_86:                             ;   in Loop: Header=BB103_21 Depth=1
	s_or_b32 exec_lo, exec_lo, s6
	s_and_saveexec_b32 s6, s93
	s_cbranch_execnz .LBB103_138
.LBB103_87:                             ;   in Loop: Header=BB103_21 Depth=1
	s_or_b32 exec_lo, exec_lo, s6
	s_and_saveexec_b32 s6, s94
	s_cbranch_execnz .LBB103_139
.LBB103_88:                             ;   in Loop: Header=BB103_21 Depth=1
	s_or_b32 exec_lo, exec_lo, s6
	s_and_saveexec_b32 s6, s95
	s_cbranch_execnz .LBB103_140
.LBB103_89:                             ;   in Loop: Header=BB103_21 Depth=1
	s_or_b32 exec_lo, exec_lo, s6
	s_and_saveexec_b32 s6, s8
	s_cbranch_execz .LBB103_91
.LBB103_90:                             ;   in Loop: Header=BB103_21 Depth=1
	v_add_nc_u64_e32 v[90:91], v[86:87], v[0:1]
	v_add_nc_u64_e32 v[92:93], 0x600, v[72:73]
	s_delay_alu instid0(VALU_DEP_2) | instskip(NEXT) | instid1(VALU_DEP_1)
	v_add_nc_u64_e32 v[90:91], 0x700, v[90:91]
	v_dual_cndmask_b32 v91, v93, v91, s0 :: v_dual_cndmask_b32 v90, v92, v90, s0
	v_add_nc_u64_e32 v[92:93], s[26:27], v[88:89]
	v_add_nc_u64_e32 v[88:89], s[34:35], v[88:89]
	global_load_b64 v[90:91], v[90:91], off
	global_store_b64 v[92:93], v[68:69], off offset:1792
	s_wait_loadcnt 0x0
	global_store_b64 v[88:89], v[90:91], off offset:1792
.LBB103_91:                             ;   in Loop: Header=BB103_21 Depth=1
	s_wait_xcnt 0x0
	s_or_b32 exec_lo, exec_lo, s6
	v_add_nc_u64_e32 v[88:89], s[4:5], v[50:51]
	v_lshl_add_u64 v[86:87], s[40:41], 3, v[86:87]
	s_delay_alu instid0(VALU_DEP_2) | instskip(NEXT) | instid1(VALU_DEP_1)
	v_mad_nc_u64_u32 v[90:91], v88, s20, s[38:39]
	v_mad_u32 v89, v89, s20, v91
	s_delay_alu instid0(VALU_DEP_1) | instskip(NEXT) | instid1(VALU_DEP_1)
	v_mad_u32 v91, v88, s21, v89
	v_add_nc_u64_e32 v[88:89], v[90:91], v[2:3]
	s_delay_alu instid0(VALU_DEP_1)
	v_lshlrev_b64_e32 v[88:89], 3, v[88:89]
	s_and_saveexec_b32 s4, s96
	s_cbranch_execnz .LBB103_141
; %bb.92:                               ;   in Loop: Header=BB103_21 Depth=1
	s_or_b32 exec_lo, exec_lo, s4
	s_and_saveexec_b32 s4, s1
	s_cbranch_execnz .LBB103_142
.LBB103_93:                             ;   in Loop: Header=BB103_21 Depth=1
	s_or_b32 exec_lo, exec_lo, s4
	s_and_saveexec_b32 s4, s10
	s_cbranch_execnz .LBB103_143
.LBB103_94:                             ;   in Loop: Header=BB103_21 Depth=1
	s_or_b32 exec_lo, exec_lo, s4
	s_and_saveexec_b32 s4, s11
	s_cbranch_execnz .LBB103_144
.LBB103_95:                             ;   in Loop: Header=BB103_21 Depth=1
	s_or_b32 exec_lo, exec_lo, s4
	s_and_saveexec_b32 s4, s12
	s_cbranch_execnz .LBB103_145
.LBB103_96:                             ;   in Loop: Header=BB103_21 Depth=1
	s_or_b32 exec_lo, exec_lo, s4
	s_and_saveexec_b32 s4, s13
	s_cbranch_execnz .LBB103_146
.LBB103_97:                             ;   in Loop: Header=BB103_21 Depth=1
	s_or_b32 exec_lo, exec_lo, s4
	s_and_saveexec_b32 s4, s14
	s_cbranch_execnz .LBB103_147
.LBB103_98:                             ;   in Loop: Header=BB103_21 Depth=1
	s_or_b32 exec_lo, exec_lo, s4
	s_and_saveexec_b32 s4, s9
	s_cbranch_execz .LBB103_20
	s_branch .LBB103_148
.LBB103_99:                             ;   in Loop: Header=BB103_21 Depth=1
	v_add_nc_u64_e32 v[90:91], v[86:87], v[0:1]
	v_add_nc_u64_e32 v[92:93], 0x100, v[70:71]
	s_delay_alu instid0(VALU_DEP_3) | instskip(NEXT) | instid1(VALU_DEP_2)
	v_add_nc_u64_e32 v[94:95], s[34:35], v[88:89]
	v_dual_cndmask_b32 v91, v93, v91, s0 :: v_dual_cndmask_b32 v90, v92, v90, s0
	v_add_nc_u64_e32 v[92:93], s[26:27], v[88:89]
	global_load_b64 v[90:91], v[90:91], off
	global_store_b64 v[92:93], v[54:55], off
	s_wait_loadcnt 0x0
	global_store_b64 v[94:95], v[90:91], off
	s_wait_xcnt 0x0
	s_or_b32 exec_lo, exec_lo, s6
	s_and_saveexec_b32 s6, s43
	s_cbranch_execz .LBB103_39
.LBB103_100:                            ;   in Loop: Header=BB103_21 Depth=1
	v_add_nc_u64_e32 v[90:91], v[86:87], v[0:1]
	v_add_nc_u64_e32 v[92:93], s[26:27], v[88:89]
	;; [unrolled: 1-line block ×3, first 2 shown]
	s_delay_alu instid0(VALU_DEP_3)
	v_dual_cndmask_b32 v91, v85, v91, s0 :: v_dual_cndmask_b32 v90, v84, v90, s0
	global_load_b64 v[90:91], v[90:91], off offset:256
	global_store_b64 v[92:93], v[56:57], off offset:256
	s_wait_loadcnt 0x0
	global_store_b64 v[94:95], v[90:91], off offset:256
	s_wait_xcnt 0x0
	s_or_b32 exec_lo, exec_lo, s6
	s_and_saveexec_b32 s6, s51
	s_cbranch_execz .LBB103_40
.LBB103_101:                            ;   in Loop: Header=BB103_21 Depth=1
	v_add_nc_u64_e32 v[90:91], v[86:87], v[0:1]
	v_add_nc_u64_e32 v[92:93], 0x100, v[82:83]
	;; [unrolled: 1-line block ×3, first 2 shown]
	s_delay_alu instid0(VALU_DEP_3) | instskip(NEXT) | instid1(VALU_DEP_1)
	v_add_nc_u64_e32 v[90:91], 0x200, v[90:91]
	v_dual_cndmask_b32 v91, v93, v91, s0 :: v_dual_cndmask_b32 v90, v92, v90, s0
	v_add_nc_u64_e32 v[92:93], s[26:27], v[88:89]
	global_load_b64 v[90:91], v[90:91], off
	global_store_b64 v[92:93], v[58:59], off offset:512
	s_wait_loadcnt 0x0
	global_store_b64 v[94:95], v[90:91], off offset:512
	s_wait_xcnt 0x0
	s_or_b32 exec_lo, exec_lo, s6
	s_and_saveexec_b32 s6, s52
	s_cbranch_execz .LBB103_41
.LBB103_102:                            ;   in Loop: Header=BB103_21 Depth=1
	v_add_nc_u64_e32 v[90:91], v[86:87], v[0:1]
	v_add_nc_u64_e32 v[92:93], 0x100, v[80:81]
	v_add_nc_u64_e32 v[94:95], s[34:35], v[88:89]
	s_delay_alu instid0(VALU_DEP_3) | instskip(NEXT) | instid1(VALU_DEP_1)
	v_add_nc_u64_e32 v[90:91], 0x300, v[90:91]
	v_dual_cndmask_b32 v91, v93, v91, s0 :: v_dual_cndmask_b32 v90, v92, v90, s0
	v_add_nc_u64_e32 v[92:93], s[26:27], v[88:89]
	global_load_b64 v[90:91], v[90:91], off
	global_store_b64 v[92:93], v[60:61], off offset:768
	s_wait_loadcnt 0x0
	global_store_b64 v[94:95], v[90:91], off offset:768
	s_wait_xcnt 0x0
	s_or_b32 exec_lo, exec_lo, s6
	s_and_saveexec_b32 s6, s53
	s_cbranch_execz .LBB103_42
.LBB103_103:                            ;   in Loop: Header=BB103_21 Depth=1
	v_add_nc_u64_e32 v[90:91], v[86:87], v[0:1]
	v_add_nc_u64_e32 v[92:93], 0x100, v[78:79]
	;; [unrolled: 1-line block ×3, first 2 shown]
	s_delay_alu instid0(VALU_DEP_3) | instskip(NEXT) | instid1(VALU_DEP_1)
	v_add_nc_u64_e32 v[90:91], 0x400, v[90:91]
	v_dual_cndmask_b32 v91, v93, v91, s0 :: v_dual_cndmask_b32 v90, v92, v90, s0
	v_add_nc_u64_e32 v[92:93], s[26:27], v[88:89]
	global_load_b64 v[90:91], v[90:91], off
	global_store_b64 v[92:93], v[62:63], off offset:1024
	s_wait_loadcnt 0x0
	global_store_b64 v[94:95], v[90:91], off offset:1024
	s_wait_xcnt 0x0
	s_or_b32 exec_lo, exec_lo, s6
	s_and_saveexec_b32 s6, s54
	s_cbranch_execz .LBB103_43
.LBB103_104:                            ;   in Loop: Header=BB103_21 Depth=1
	v_add_nc_u64_e32 v[90:91], v[86:87], v[0:1]
	v_add_nc_u64_e32 v[92:93], 0x100, v[76:77]
	;; [unrolled: 1-line block ×3, first 2 shown]
	s_delay_alu instid0(VALU_DEP_3) | instskip(NEXT) | instid1(VALU_DEP_1)
	v_add_nc_u64_e32 v[90:91], 0x500, v[90:91]
	v_dual_cndmask_b32 v91, v93, v91, s0 :: v_dual_cndmask_b32 v90, v92, v90, s0
	v_add_nc_u64_e32 v[92:93], s[26:27], v[88:89]
	global_load_b64 v[90:91], v[90:91], off
	global_store_b64 v[92:93], v[64:65], off offset:1280
	s_wait_loadcnt 0x0
	global_store_b64 v[94:95], v[90:91], off offset:1280
	s_wait_xcnt 0x0
	s_or_b32 exec_lo, exec_lo, s6
	s_and_saveexec_b32 s6, s55
	s_cbranch_execz .LBB103_44
.LBB103_105:                            ;   in Loop: Header=BB103_21 Depth=1
	v_add_nc_u64_e32 v[90:91], v[86:87], v[0:1]
	v_add_nc_u64_e32 v[92:93], 0x100, v[74:75]
	v_add_nc_u64_e32 v[94:95], s[34:35], v[88:89]
	s_delay_alu instid0(VALU_DEP_3) | instskip(NEXT) | instid1(VALU_DEP_1)
	v_add_nc_u64_e32 v[90:91], 0x600, v[90:91]
	v_dual_cndmask_b32 v91, v93, v91, s0 :: v_dual_cndmask_b32 v90, v92, v90, s0
	v_add_nc_u64_e32 v[92:93], s[26:27], v[88:89]
	global_load_b64 v[90:91], v[90:91], off
	global_store_b64 v[92:93], v[66:67], off offset:1536
	s_wait_loadcnt 0x0
	global_store_b64 v[94:95], v[90:91], off offset:1536
	s_wait_xcnt 0x0
	s_or_b32 exec_lo, exec_lo, s6
	s_and_saveexec_b32 s6, s56
	s_cbranch_execnz .LBB103_45
	s_branch .LBB103_46
.LBB103_106:                            ;   in Loop: Header=BB103_21 Depth=1
	v_add_nc_u64_e32 v[90:91], v[86:87], v[0:1]
	v_add_nc_u64_e32 v[92:93], 0x200, v[70:71]
	s_delay_alu instid0(VALU_DEP_3) | instskip(NEXT) | instid1(VALU_DEP_2)
	v_add_nc_u64_e32 v[94:95], s[34:35], v[88:89]
	v_dual_cndmask_b32 v91, v93, v91, s0 :: v_dual_cndmask_b32 v90, v92, v90, s0
	v_add_nc_u64_e32 v[92:93], s[26:27], v[88:89]
	global_load_b64 v[90:91], v[90:91], off
	global_store_b64 v[92:93], v[54:55], off
	s_wait_loadcnt 0x0
	global_store_b64 v[94:95], v[90:91], off
	s_wait_xcnt 0x0
	s_or_b32 exec_lo, exec_lo, s6
	s_and_saveexec_b32 s6, s58
	s_cbranch_execz .LBB103_48
.LBB103_107:                            ;   in Loop: Header=BB103_21 Depth=1
	v_add_nc_u64_e32 v[90:91], v[86:87], v[0:1]
	v_add_nc_u64_e32 v[92:93], 0x200, v[84:85]
	;; [unrolled: 1-line block ×3, first 2 shown]
	s_delay_alu instid0(VALU_DEP_3) | instskip(NEXT) | instid1(VALU_DEP_1)
	v_add_nc_u64_e32 v[90:91], 0x100, v[90:91]
	v_dual_cndmask_b32 v91, v93, v91, s0 :: v_dual_cndmask_b32 v90, v92, v90, s0
	v_add_nc_u64_e32 v[92:93], s[26:27], v[88:89]
	global_load_b64 v[90:91], v[90:91], off
	global_store_b64 v[92:93], v[56:57], off offset:256
	s_wait_loadcnt 0x0
	global_store_b64 v[94:95], v[90:91], off offset:256
	s_wait_xcnt 0x0
	s_or_b32 exec_lo, exec_lo, s6
	s_and_saveexec_b32 s6, s59
	s_cbranch_execz .LBB103_49
.LBB103_108:                            ;   in Loop: Header=BB103_21 Depth=1
	v_add_nc_u64_e32 v[90:91], v[86:87], v[0:1]
	v_add_nc_u64_e32 v[92:93], s[26:27], v[88:89]
	;; [unrolled: 1-line block ×3, first 2 shown]
	s_delay_alu instid0(VALU_DEP_3)
	v_dual_cndmask_b32 v91, v83, v91, s0 :: v_dual_cndmask_b32 v90, v82, v90, s0
	global_load_b64 v[90:91], v[90:91], off offset:512
	global_store_b64 v[92:93], v[58:59], off offset:512
	s_wait_loadcnt 0x0
	global_store_b64 v[94:95], v[90:91], off offset:512
	s_wait_xcnt 0x0
	s_or_b32 exec_lo, exec_lo, s6
	s_and_saveexec_b32 s6, s60
	s_cbranch_execz .LBB103_50
.LBB103_109:                            ;   in Loop: Header=BB103_21 Depth=1
	v_add_nc_u64_e32 v[90:91], v[86:87], v[0:1]
	v_add_nc_u64_e32 v[92:93], 0x200, v[80:81]
	;; [unrolled: 1-line block ×3, first 2 shown]
	s_delay_alu instid0(VALU_DEP_3) | instskip(NEXT) | instid1(VALU_DEP_1)
	v_add_nc_u64_e32 v[90:91], 0x300, v[90:91]
	v_dual_cndmask_b32 v91, v93, v91, s0 :: v_dual_cndmask_b32 v90, v92, v90, s0
	v_add_nc_u64_e32 v[92:93], s[26:27], v[88:89]
	global_load_b64 v[90:91], v[90:91], off
	global_store_b64 v[92:93], v[60:61], off offset:768
	s_wait_loadcnt 0x0
	global_store_b64 v[94:95], v[90:91], off offset:768
	s_wait_xcnt 0x0
	s_or_b32 exec_lo, exec_lo, s6
	s_and_saveexec_b32 s6, s61
	s_cbranch_execz .LBB103_51
.LBB103_110:                            ;   in Loop: Header=BB103_21 Depth=1
	v_add_nc_u64_e32 v[90:91], v[86:87], v[0:1]
	v_add_nc_u64_e32 v[92:93], 0x200, v[78:79]
	v_add_nc_u64_e32 v[94:95], s[34:35], v[88:89]
	s_delay_alu instid0(VALU_DEP_3) | instskip(NEXT) | instid1(VALU_DEP_1)
	v_add_nc_u64_e32 v[90:91], 0x400, v[90:91]
	v_dual_cndmask_b32 v91, v93, v91, s0 :: v_dual_cndmask_b32 v90, v92, v90, s0
	v_add_nc_u64_e32 v[92:93], s[26:27], v[88:89]
	global_load_b64 v[90:91], v[90:91], off
	global_store_b64 v[92:93], v[62:63], off offset:1024
	s_wait_loadcnt 0x0
	global_store_b64 v[94:95], v[90:91], off offset:1024
	s_wait_xcnt 0x0
	s_or_b32 exec_lo, exec_lo, s6
	s_and_saveexec_b32 s6, s62
	s_cbranch_execz .LBB103_52
.LBB103_111:                            ;   in Loop: Header=BB103_21 Depth=1
	v_add_nc_u64_e32 v[90:91], v[86:87], v[0:1]
	v_add_nc_u64_e32 v[92:93], 0x200, v[76:77]
	;; [unrolled: 1-line block ×3, first 2 shown]
	s_delay_alu instid0(VALU_DEP_3) | instskip(NEXT) | instid1(VALU_DEP_1)
	v_add_nc_u64_e32 v[90:91], 0x500, v[90:91]
	v_dual_cndmask_b32 v91, v93, v91, s0 :: v_dual_cndmask_b32 v90, v92, v90, s0
	v_add_nc_u64_e32 v[92:93], s[26:27], v[88:89]
	global_load_b64 v[90:91], v[90:91], off
	global_store_b64 v[92:93], v[64:65], off offset:1280
	s_wait_loadcnt 0x0
	global_store_b64 v[94:95], v[90:91], off offset:1280
	s_wait_xcnt 0x0
	s_or_b32 exec_lo, exec_lo, s6
	s_and_saveexec_b32 s6, s63
	s_cbranch_execz .LBB103_53
.LBB103_112:                            ;   in Loop: Header=BB103_21 Depth=1
	v_add_nc_u64_e32 v[90:91], v[86:87], v[0:1]
	v_add_nc_u64_e32 v[92:93], 0x200, v[74:75]
	;; [unrolled: 1-line block ×3, first 2 shown]
	s_delay_alu instid0(VALU_DEP_3) | instskip(NEXT) | instid1(VALU_DEP_1)
	v_add_nc_u64_e32 v[90:91], 0x600, v[90:91]
	v_dual_cndmask_b32 v91, v93, v91, s0 :: v_dual_cndmask_b32 v90, v92, v90, s0
	v_add_nc_u64_e32 v[92:93], s[26:27], v[88:89]
	global_load_b64 v[90:91], v[90:91], off
	global_store_b64 v[92:93], v[66:67], off offset:1536
	s_wait_loadcnt 0x0
	global_store_b64 v[94:95], v[90:91], off offset:1536
	s_wait_xcnt 0x0
	s_or_b32 exec_lo, exec_lo, s6
	s_and_saveexec_b32 s6, s64
	s_cbranch_execnz .LBB103_54
	s_branch .LBB103_55
.LBB103_113:                            ;   in Loop: Header=BB103_21 Depth=1
	v_add_nc_u64_e32 v[90:91], v[86:87], v[0:1]
	v_add_nc_u64_e32 v[92:93], 0x300, v[70:71]
	s_delay_alu instid0(VALU_DEP_3) | instskip(NEXT) | instid1(VALU_DEP_2)
	v_add_nc_u64_e32 v[94:95], s[34:35], v[88:89]
	v_dual_cndmask_b32 v91, v93, v91, s0 :: v_dual_cndmask_b32 v90, v92, v90, s0
	v_add_nc_u64_e32 v[92:93], s[26:27], v[88:89]
	global_load_b64 v[90:91], v[90:91], off
	global_store_b64 v[92:93], v[54:55], off
	s_wait_loadcnt 0x0
	global_store_b64 v[94:95], v[90:91], off
	s_wait_xcnt 0x0
	s_or_b32 exec_lo, exec_lo, s6
	s_and_saveexec_b32 s6, s66
	s_cbranch_execz .LBB103_57
.LBB103_114:                            ;   in Loop: Header=BB103_21 Depth=1
	v_add_nc_u64_e32 v[90:91], v[86:87], v[0:1]
	v_add_nc_u64_e32 v[92:93], 0x300, v[84:85]
	;; [unrolled: 1-line block ×3, first 2 shown]
	s_delay_alu instid0(VALU_DEP_3) | instskip(NEXT) | instid1(VALU_DEP_1)
	v_add_nc_u64_e32 v[90:91], 0x100, v[90:91]
	v_dual_cndmask_b32 v91, v93, v91, s0 :: v_dual_cndmask_b32 v90, v92, v90, s0
	v_add_nc_u64_e32 v[92:93], s[26:27], v[88:89]
	global_load_b64 v[90:91], v[90:91], off
	global_store_b64 v[92:93], v[56:57], off offset:256
	s_wait_loadcnt 0x0
	global_store_b64 v[94:95], v[90:91], off offset:256
	s_wait_xcnt 0x0
	s_or_b32 exec_lo, exec_lo, s6
	s_and_saveexec_b32 s6, s67
	s_cbranch_execz .LBB103_58
.LBB103_115:                            ;   in Loop: Header=BB103_21 Depth=1
	v_add_nc_u64_e32 v[90:91], v[86:87], v[0:1]
	v_add_nc_u64_e32 v[92:93], 0x300, v[82:83]
	;; [unrolled: 1-line block ×3, first 2 shown]
	s_delay_alu instid0(VALU_DEP_3) | instskip(NEXT) | instid1(VALU_DEP_1)
	v_add_nc_u64_e32 v[90:91], 0x200, v[90:91]
	v_dual_cndmask_b32 v91, v93, v91, s0 :: v_dual_cndmask_b32 v90, v92, v90, s0
	v_add_nc_u64_e32 v[92:93], s[26:27], v[88:89]
	global_load_b64 v[90:91], v[90:91], off
	global_store_b64 v[92:93], v[58:59], off offset:512
	s_wait_loadcnt 0x0
	global_store_b64 v[94:95], v[90:91], off offset:512
	s_wait_xcnt 0x0
	s_or_b32 exec_lo, exec_lo, s6
	s_and_saveexec_b32 s6, s68
	s_cbranch_execz .LBB103_59
.LBB103_116:                            ;   in Loop: Header=BB103_21 Depth=1
	v_add_nc_u64_e32 v[90:91], v[86:87], v[0:1]
	v_add_nc_u64_e32 v[92:93], s[26:27], v[88:89]
	;; [unrolled: 1-line block ×3, first 2 shown]
	s_delay_alu instid0(VALU_DEP_3)
	v_dual_cndmask_b32 v91, v81, v91, s0 :: v_dual_cndmask_b32 v90, v80, v90, s0
	global_load_b64 v[90:91], v[90:91], off offset:768
	global_store_b64 v[92:93], v[60:61], off offset:768
	s_wait_loadcnt 0x0
	global_store_b64 v[94:95], v[90:91], off offset:768
	s_wait_xcnt 0x0
	s_or_b32 exec_lo, exec_lo, s6
	s_and_saveexec_b32 s6, s69
	s_cbranch_execz .LBB103_60
.LBB103_117:                            ;   in Loop: Header=BB103_21 Depth=1
	v_add_nc_u64_e32 v[90:91], v[86:87], v[0:1]
	v_add_nc_u64_e32 v[92:93], 0x300, v[78:79]
	;; [unrolled: 1-line block ×3, first 2 shown]
	s_delay_alu instid0(VALU_DEP_3) | instskip(NEXT) | instid1(VALU_DEP_1)
	v_add_nc_u64_e32 v[90:91], 0x400, v[90:91]
	v_dual_cndmask_b32 v91, v93, v91, s0 :: v_dual_cndmask_b32 v90, v92, v90, s0
	v_add_nc_u64_e32 v[92:93], s[26:27], v[88:89]
	global_load_b64 v[90:91], v[90:91], off
	global_store_b64 v[92:93], v[62:63], off offset:1024
	s_wait_loadcnt 0x0
	global_store_b64 v[94:95], v[90:91], off offset:1024
	s_wait_xcnt 0x0
	s_or_b32 exec_lo, exec_lo, s6
	s_and_saveexec_b32 s6, s70
	s_cbranch_execz .LBB103_61
.LBB103_118:                            ;   in Loop: Header=BB103_21 Depth=1
	v_add_nc_u64_e32 v[90:91], v[86:87], v[0:1]
	v_add_nc_u64_e32 v[92:93], 0x300, v[76:77]
	;; [unrolled: 1-line block ×3, first 2 shown]
	s_delay_alu instid0(VALU_DEP_3) | instskip(NEXT) | instid1(VALU_DEP_1)
	v_add_nc_u64_e32 v[90:91], 0x500, v[90:91]
	v_dual_cndmask_b32 v91, v93, v91, s0 :: v_dual_cndmask_b32 v90, v92, v90, s0
	v_add_nc_u64_e32 v[92:93], s[26:27], v[88:89]
	global_load_b64 v[90:91], v[90:91], off
	global_store_b64 v[92:93], v[64:65], off offset:1280
	s_wait_loadcnt 0x0
	global_store_b64 v[94:95], v[90:91], off offset:1280
	s_wait_xcnt 0x0
	s_or_b32 exec_lo, exec_lo, s6
	s_and_saveexec_b32 s6, s71
	s_cbranch_execz .LBB103_62
.LBB103_119:                            ;   in Loop: Header=BB103_21 Depth=1
	v_add_nc_u64_e32 v[90:91], v[86:87], v[0:1]
	v_add_nc_u64_e32 v[92:93], 0x300, v[74:75]
	;; [unrolled: 1-line block ×3, first 2 shown]
	s_delay_alu instid0(VALU_DEP_3) | instskip(NEXT) | instid1(VALU_DEP_1)
	v_add_nc_u64_e32 v[90:91], 0x600, v[90:91]
	v_dual_cndmask_b32 v91, v93, v91, s0 :: v_dual_cndmask_b32 v90, v92, v90, s0
	v_add_nc_u64_e32 v[92:93], s[26:27], v[88:89]
	global_load_b64 v[90:91], v[90:91], off
	global_store_b64 v[92:93], v[66:67], off offset:1536
	s_wait_loadcnt 0x0
	global_store_b64 v[94:95], v[90:91], off offset:1536
	s_wait_xcnt 0x0
	s_or_b32 exec_lo, exec_lo, s6
	s_and_saveexec_b32 s6, s72
	s_cbranch_execnz .LBB103_63
	s_branch .LBB103_64
.LBB103_120:                            ;   in Loop: Header=BB103_21 Depth=1
	v_add_nc_u64_e32 v[90:91], v[86:87], v[0:1]
	v_add_nc_u64_e32 v[92:93], 0x400, v[70:71]
	s_delay_alu instid0(VALU_DEP_3) | instskip(NEXT) | instid1(VALU_DEP_2)
	v_add_nc_u64_e32 v[94:95], s[34:35], v[88:89]
	v_dual_cndmask_b32 v91, v93, v91, s0 :: v_dual_cndmask_b32 v90, v92, v90, s0
	v_add_nc_u64_e32 v[92:93], s[26:27], v[88:89]
	global_load_b64 v[90:91], v[90:91], off
	global_store_b64 v[92:93], v[54:55], off
	s_wait_loadcnt 0x0
	global_store_b64 v[94:95], v[90:91], off
	s_wait_xcnt 0x0
	s_or_b32 exec_lo, exec_lo, s6
	s_and_saveexec_b32 s6, s74
	s_cbranch_execz .LBB103_66
.LBB103_121:                            ;   in Loop: Header=BB103_21 Depth=1
	v_add_nc_u64_e32 v[90:91], v[86:87], v[0:1]
	v_add_nc_u64_e32 v[92:93], 0x400, v[84:85]
	;; [unrolled: 1-line block ×3, first 2 shown]
	s_delay_alu instid0(VALU_DEP_3) | instskip(NEXT) | instid1(VALU_DEP_1)
	v_add_nc_u64_e32 v[90:91], 0x100, v[90:91]
	v_dual_cndmask_b32 v91, v93, v91, s0 :: v_dual_cndmask_b32 v90, v92, v90, s0
	v_add_nc_u64_e32 v[92:93], s[26:27], v[88:89]
	global_load_b64 v[90:91], v[90:91], off
	global_store_b64 v[92:93], v[56:57], off offset:256
	s_wait_loadcnt 0x0
	global_store_b64 v[94:95], v[90:91], off offset:256
	s_wait_xcnt 0x0
	s_or_b32 exec_lo, exec_lo, s6
	s_and_saveexec_b32 s6, s75
	s_cbranch_execz .LBB103_67
.LBB103_122:                            ;   in Loop: Header=BB103_21 Depth=1
	v_add_nc_u64_e32 v[90:91], v[86:87], v[0:1]
	v_add_nc_u64_e32 v[92:93], 0x400, v[82:83]
	;; [unrolled: 1-line block ×3, first 2 shown]
	s_delay_alu instid0(VALU_DEP_3) | instskip(NEXT) | instid1(VALU_DEP_1)
	v_add_nc_u64_e32 v[90:91], 0x200, v[90:91]
	v_dual_cndmask_b32 v91, v93, v91, s0 :: v_dual_cndmask_b32 v90, v92, v90, s0
	v_add_nc_u64_e32 v[92:93], s[26:27], v[88:89]
	global_load_b64 v[90:91], v[90:91], off
	global_store_b64 v[92:93], v[58:59], off offset:512
	s_wait_loadcnt 0x0
	global_store_b64 v[94:95], v[90:91], off offset:512
	s_wait_xcnt 0x0
	s_or_b32 exec_lo, exec_lo, s6
	s_and_saveexec_b32 s6, s76
	s_cbranch_execz .LBB103_68
.LBB103_123:                            ;   in Loop: Header=BB103_21 Depth=1
	v_add_nc_u64_e32 v[90:91], v[86:87], v[0:1]
	v_add_nc_u64_e32 v[92:93], 0x400, v[80:81]
	v_add_nc_u64_e32 v[94:95], s[34:35], v[88:89]
	s_delay_alu instid0(VALU_DEP_3) | instskip(NEXT) | instid1(VALU_DEP_1)
	v_add_nc_u64_e32 v[90:91], 0x300, v[90:91]
	v_dual_cndmask_b32 v91, v93, v91, s0 :: v_dual_cndmask_b32 v90, v92, v90, s0
	v_add_nc_u64_e32 v[92:93], s[26:27], v[88:89]
	global_load_b64 v[90:91], v[90:91], off
	global_store_b64 v[92:93], v[60:61], off offset:768
	s_wait_loadcnt 0x0
	global_store_b64 v[94:95], v[90:91], off offset:768
	s_wait_xcnt 0x0
	s_or_b32 exec_lo, exec_lo, s6
	s_and_saveexec_b32 s6, s77
	s_cbranch_execz .LBB103_69
.LBB103_124:                            ;   in Loop: Header=BB103_21 Depth=1
	v_add_nc_u64_e32 v[90:91], v[86:87], v[0:1]
	v_add_nc_u64_e32 v[92:93], s[26:27], v[88:89]
	;; [unrolled: 1-line block ×3, first 2 shown]
	s_delay_alu instid0(VALU_DEP_3)
	v_dual_cndmask_b32 v91, v79, v91, s0 :: v_dual_cndmask_b32 v90, v78, v90, s0
	global_load_b64 v[90:91], v[90:91], off offset:1024
	global_store_b64 v[92:93], v[62:63], off offset:1024
	s_wait_loadcnt 0x0
	global_store_b64 v[94:95], v[90:91], off offset:1024
	s_wait_xcnt 0x0
	s_or_b32 exec_lo, exec_lo, s6
	s_and_saveexec_b32 s6, s78
	s_cbranch_execz .LBB103_70
.LBB103_125:                            ;   in Loop: Header=BB103_21 Depth=1
	v_add_nc_u64_e32 v[90:91], v[86:87], v[0:1]
	v_add_nc_u64_e32 v[92:93], 0x400, v[76:77]
	;; [unrolled: 1-line block ×3, first 2 shown]
	s_delay_alu instid0(VALU_DEP_3) | instskip(NEXT) | instid1(VALU_DEP_1)
	v_add_nc_u64_e32 v[90:91], 0x500, v[90:91]
	v_dual_cndmask_b32 v91, v93, v91, s0 :: v_dual_cndmask_b32 v90, v92, v90, s0
	v_add_nc_u64_e32 v[92:93], s[26:27], v[88:89]
	global_load_b64 v[90:91], v[90:91], off
	global_store_b64 v[92:93], v[64:65], off offset:1280
	s_wait_loadcnt 0x0
	global_store_b64 v[94:95], v[90:91], off offset:1280
	s_wait_xcnt 0x0
	s_or_b32 exec_lo, exec_lo, s6
	s_and_saveexec_b32 s6, s79
	s_cbranch_execz .LBB103_71
.LBB103_126:                            ;   in Loop: Header=BB103_21 Depth=1
	v_add_nc_u64_e32 v[90:91], v[86:87], v[0:1]
	v_add_nc_u64_e32 v[92:93], 0x400, v[74:75]
	;; [unrolled: 1-line block ×3, first 2 shown]
	s_delay_alu instid0(VALU_DEP_3) | instskip(NEXT) | instid1(VALU_DEP_1)
	v_add_nc_u64_e32 v[90:91], 0x600, v[90:91]
	v_dual_cndmask_b32 v91, v93, v91, s0 :: v_dual_cndmask_b32 v90, v92, v90, s0
	v_add_nc_u64_e32 v[92:93], s[26:27], v[88:89]
	global_load_b64 v[90:91], v[90:91], off
	global_store_b64 v[92:93], v[66:67], off offset:1536
	s_wait_loadcnt 0x0
	global_store_b64 v[94:95], v[90:91], off offset:1536
	s_wait_xcnt 0x0
	s_or_b32 exec_lo, exec_lo, s6
	s_and_saveexec_b32 s6, s80
	s_cbranch_execnz .LBB103_72
	s_branch .LBB103_73
.LBB103_127:                            ;   in Loop: Header=BB103_21 Depth=1
	v_add_nc_u64_e32 v[90:91], v[86:87], v[0:1]
	v_add_nc_u64_e32 v[92:93], 0x500, v[70:71]
	s_delay_alu instid0(VALU_DEP_3) | instskip(NEXT) | instid1(VALU_DEP_2)
	v_add_nc_u64_e32 v[94:95], s[34:35], v[88:89]
	v_dual_cndmask_b32 v91, v93, v91, s0 :: v_dual_cndmask_b32 v90, v92, v90, s0
	v_add_nc_u64_e32 v[92:93], s[26:27], v[88:89]
	global_load_b64 v[90:91], v[90:91], off
	global_store_b64 v[92:93], v[54:55], off
	s_wait_loadcnt 0x0
	global_store_b64 v[94:95], v[90:91], off
	s_wait_xcnt 0x0
	s_or_b32 exec_lo, exec_lo, s6
	s_and_saveexec_b32 s6, s82
	s_cbranch_execz .LBB103_75
.LBB103_128:                            ;   in Loop: Header=BB103_21 Depth=1
	v_add_nc_u64_e32 v[90:91], v[86:87], v[0:1]
	v_add_nc_u64_e32 v[92:93], 0x500, v[84:85]
	;; [unrolled: 1-line block ×3, first 2 shown]
	s_delay_alu instid0(VALU_DEP_3) | instskip(NEXT) | instid1(VALU_DEP_1)
	v_add_nc_u64_e32 v[90:91], 0x100, v[90:91]
	v_dual_cndmask_b32 v91, v93, v91, s0 :: v_dual_cndmask_b32 v90, v92, v90, s0
	v_add_nc_u64_e32 v[92:93], s[26:27], v[88:89]
	global_load_b64 v[90:91], v[90:91], off
	global_store_b64 v[92:93], v[56:57], off offset:256
	s_wait_loadcnt 0x0
	global_store_b64 v[94:95], v[90:91], off offset:256
	s_wait_xcnt 0x0
	s_or_b32 exec_lo, exec_lo, s6
	s_and_saveexec_b32 s6, s83
	s_cbranch_execz .LBB103_76
.LBB103_129:                            ;   in Loop: Header=BB103_21 Depth=1
	v_add_nc_u64_e32 v[90:91], v[86:87], v[0:1]
	v_add_nc_u64_e32 v[92:93], 0x500, v[82:83]
	;; [unrolled: 1-line block ×3, first 2 shown]
	s_delay_alu instid0(VALU_DEP_3) | instskip(NEXT) | instid1(VALU_DEP_1)
	v_add_nc_u64_e32 v[90:91], 0x200, v[90:91]
	v_dual_cndmask_b32 v91, v93, v91, s0 :: v_dual_cndmask_b32 v90, v92, v90, s0
	v_add_nc_u64_e32 v[92:93], s[26:27], v[88:89]
	global_load_b64 v[90:91], v[90:91], off
	global_store_b64 v[92:93], v[58:59], off offset:512
	s_wait_loadcnt 0x0
	global_store_b64 v[94:95], v[90:91], off offset:512
	s_wait_xcnt 0x0
	s_or_b32 exec_lo, exec_lo, s6
	s_and_saveexec_b32 s6, s84
	s_cbranch_execz .LBB103_77
.LBB103_130:                            ;   in Loop: Header=BB103_21 Depth=1
	v_add_nc_u64_e32 v[90:91], v[86:87], v[0:1]
	v_add_nc_u64_e32 v[92:93], 0x500, v[80:81]
	;; [unrolled: 1-line block ×3, first 2 shown]
	s_delay_alu instid0(VALU_DEP_3) | instskip(NEXT) | instid1(VALU_DEP_1)
	v_add_nc_u64_e32 v[90:91], 0x300, v[90:91]
	v_dual_cndmask_b32 v91, v93, v91, s0 :: v_dual_cndmask_b32 v90, v92, v90, s0
	v_add_nc_u64_e32 v[92:93], s[26:27], v[88:89]
	global_load_b64 v[90:91], v[90:91], off
	global_store_b64 v[92:93], v[60:61], off offset:768
	s_wait_loadcnt 0x0
	global_store_b64 v[94:95], v[90:91], off offset:768
	s_wait_xcnt 0x0
	s_or_b32 exec_lo, exec_lo, s6
	s_and_saveexec_b32 s6, s85
	s_cbranch_execz .LBB103_78
.LBB103_131:                            ;   in Loop: Header=BB103_21 Depth=1
	v_add_nc_u64_e32 v[90:91], v[86:87], v[0:1]
	v_add_nc_u64_e32 v[92:93], 0x500, v[78:79]
	;; [unrolled: 1-line block ×3, first 2 shown]
	s_delay_alu instid0(VALU_DEP_3) | instskip(NEXT) | instid1(VALU_DEP_1)
	v_add_nc_u64_e32 v[90:91], 0x400, v[90:91]
	v_dual_cndmask_b32 v91, v93, v91, s0 :: v_dual_cndmask_b32 v90, v92, v90, s0
	v_add_nc_u64_e32 v[92:93], s[26:27], v[88:89]
	global_load_b64 v[90:91], v[90:91], off
	global_store_b64 v[92:93], v[62:63], off offset:1024
	s_wait_loadcnt 0x0
	global_store_b64 v[94:95], v[90:91], off offset:1024
	s_wait_xcnt 0x0
	s_or_b32 exec_lo, exec_lo, s6
	s_and_saveexec_b32 s6, s86
	s_cbranch_execz .LBB103_79
.LBB103_132:                            ;   in Loop: Header=BB103_21 Depth=1
	v_add_nc_u64_e32 v[90:91], v[86:87], v[0:1]
	v_add_nc_u64_e32 v[92:93], s[26:27], v[88:89]
	;; [unrolled: 1-line block ×3, first 2 shown]
	s_delay_alu instid0(VALU_DEP_3)
	v_dual_cndmask_b32 v91, v77, v91, s0 :: v_dual_cndmask_b32 v90, v76, v90, s0
	global_load_b64 v[90:91], v[90:91], off offset:1280
	global_store_b64 v[92:93], v[64:65], off offset:1280
	s_wait_loadcnt 0x0
	global_store_b64 v[94:95], v[90:91], off offset:1280
	s_wait_xcnt 0x0
	s_or_b32 exec_lo, exec_lo, s6
	s_and_saveexec_b32 s6, s87
	s_cbranch_execz .LBB103_80
.LBB103_133:                            ;   in Loop: Header=BB103_21 Depth=1
	v_add_nc_u64_e32 v[90:91], v[86:87], v[0:1]
	v_add_nc_u64_e32 v[92:93], 0x500, v[74:75]
	;; [unrolled: 1-line block ×3, first 2 shown]
	s_delay_alu instid0(VALU_DEP_3) | instskip(NEXT) | instid1(VALU_DEP_1)
	v_add_nc_u64_e32 v[90:91], 0x600, v[90:91]
	v_dual_cndmask_b32 v91, v93, v91, s0 :: v_dual_cndmask_b32 v90, v92, v90, s0
	v_add_nc_u64_e32 v[92:93], s[26:27], v[88:89]
	global_load_b64 v[90:91], v[90:91], off
	global_store_b64 v[92:93], v[66:67], off offset:1536
	s_wait_loadcnt 0x0
	global_store_b64 v[94:95], v[90:91], off offset:1536
	s_wait_xcnt 0x0
	s_or_b32 exec_lo, exec_lo, s6
	s_and_saveexec_b32 s6, s88
	s_cbranch_execnz .LBB103_81
	s_branch .LBB103_82
.LBB103_134:                            ;   in Loop: Header=BB103_21 Depth=1
	v_add_nc_u64_e32 v[90:91], v[86:87], v[0:1]
	v_add_nc_u64_e32 v[92:93], 0x600, v[70:71]
	s_delay_alu instid0(VALU_DEP_3) | instskip(NEXT) | instid1(VALU_DEP_2)
	v_add_nc_u64_e32 v[94:95], s[34:35], v[88:89]
	v_dual_cndmask_b32 v91, v93, v91, s0 :: v_dual_cndmask_b32 v90, v92, v90, s0
	v_add_nc_u64_e32 v[92:93], s[26:27], v[88:89]
	global_load_b64 v[90:91], v[90:91], off
	global_store_b64 v[92:93], v[54:55], off
	s_wait_loadcnt 0x0
	global_store_b64 v[94:95], v[90:91], off
	s_wait_xcnt 0x0
	s_or_b32 exec_lo, exec_lo, s6
	s_and_saveexec_b32 s6, s90
	s_cbranch_execz .LBB103_84
.LBB103_135:                            ;   in Loop: Header=BB103_21 Depth=1
	v_add_nc_u64_e32 v[90:91], v[86:87], v[0:1]
	v_add_nc_u64_e32 v[92:93], 0x600, v[84:85]
	;; [unrolled: 1-line block ×3, first 2 shown]
	s_delay_alu instid0(VALU_DEP_3) | instskip(NEXT) | instid1(VALU_DEP_1)
	v_add_nc_u64_e32 v[90:91], 0x100, v[90:91]
	v_dual_cndmask_b32 v91, v93, v91, s0 :: v_dual_cndmask_b32 v90, v92, v90, s0
	v_add_nc_u64_e32 v[92:93], s[26:27], v[88:89]
	global_load_b64 v[90:91], v[90:91], off
	global_store_b64 v[92:93], v[56:57], off offset:256
	s_wait_loadcnt 0x0
	global_store_b64 v[94:95], v[90:91], off offset:256
	s_wait_xcnt 0x0
	s_or_b32 exec_lo, exec_lo, s6
	s_and_saveexec_b32 s6, s91
	s_cbranch_execz .LBB103_85
.LBB103_136:                            ;   in Loop: Header=BB103_21 Depth=1
	v_add_nc_u64_e32 v[90:91], v[86:87], v[0:1]
	v_add_nc_u64_e32 v[92:93], 0x600, v[82:83]
	;; [unrolled: 1-line block ×3, first 2 shown]
	s_delay_alu instid0(VALU_DEP_3) | instskip(NEXT) | instid1(VALU_DEP_1)
	v_add_nc_u64_e32 v[90:91], 0x200, v[90:91]
	v_dual_cndmask_b32 v91, v93, v91, s0 :: v_dual_cndmask_b32 v90, v92, v90, s0
	v_add_nc_u64_e32 v[92:93], s[26:27], v[88:89]
	global_load_b64 v[90:91], v[90:91], off
	global_store_b64 v[92:93], v[58:59], off offset:512
	s_wait_loadcnt 0x0
	global_store_b64 v[94:95], v[90:91], off offset:512
	s_wait_xcnt 0x0
	s_or_b32 exec_lo, exec_lo, s6
	s_and_saveexec_b32 s6, s92
	s_cbranch_execz .LBB103_86
.LBB103_137:                            ;   in Loop: Header=BB103_21 Depth=1
	v_add_nc_u64_e32 v[90:91], v[86:87], v[0:1]
	v_add_nc_u64_e32 v[92:93], 0x600, v[80:81]
	;; [unrolled: 1-line block ×3, first 2 shown]
	s_delay_alu instid0(VALU_DEP_3) | instskip(NEXT) | instid1(VALU_DEP_1)
	v_add_nc_u64_e32 v[90:91], 0x300, v[90:91]
	v_dual_cndmask_b32 v91, v93, v91, s0 :: v_dual_cndmask_b32 v90, v92, v90, s0
	v_add_nc_u64_e32 v[92:93], s[26:27], v[88:89]
	global_load_b64 v[90:91], v[90:91], off
	global_store_b64 v[92:93], v[60:61], off offset:768
	s_wait_loadcnt 0x0
	global_store_b64 v[94:95], v[90:91], off offset:768
	s_wait_xcnt 0x0
	s_or_b32 exec_lo, exec_lo, s6
	s_and_saveexec_b32 s6, s93
	s_cbranch_execz .LBB103_87
.LBB103_138:                            ;   in Loop: Header=BB103_21 Depth=1
	v_add_nc_u64_e32 v[90:91], v[86:87], v[0:1]
	v_add_nc_u64_e32 v[92:93], 0x600, v[78:79]
	v_add_nc_u64_e32 v[94:95], s[34:35], v[88:89]
	s_delay_alu instid0(VALU_DEP_3) | instskip(NEXT) | instid1(VALU_DEP_1)
	v_add_nc_u64_e32 v[90:91], 0x400, v[90:91]
	v_dual_cndmask_b32 v91, v93, v91, s0 :: v_dual_cndmask_b32 v90, v92, v90, s0
	v_add_nc_u64_e32 v[92:93], s[26:27], v[88:89]
	global_load_b64 v[90:91], v[90:91], off
	global_store_b64 v[92:93], v[62:63], off offset:1024
	s_wait_loadcnt 0x0
	global_store_b64 v[94:95], v[90:91], off offset:1024
	s_wait_xcnt 0x0
	s_or_b32 exec_lo, exec_lo, s6
	s_and_saveexec_b32 s6, s94
	s_cbranch_execz .LBB103_88
.LBB103_139:                            ;   in Loop: Header=BB103_21 Depth=1
	v_add_nc_u64_e32 v[90:91], v[86:87], v[0:1]
	v_add_nc_u64_e32 v[92:93], 0x600, v[76:77]
	;; [unrolled: 1-line block ×3, first 2 shown]
	s_delay_alu instid0(VALU_DEP_3) | instskip(NEXT) | instid1(VALU_DEP_1)
	v_add_nc_u64_e32 v[90:91], 0x500, v[90:91]
	v_dual_cndmask_b32 v91, v93, v91, s0 :: v_dual_cndmask_b32 v90, v92, v90, s0
	v_add_nc_u64_e32 v[92:93], s[26:27], v[88:89]
	global_load_b64 v[90:91], v[90:91], off
	global_store_b64 v[92:93], v[64:65], off offset:1280
	s_wait_loadcnt 0x0
	global_store_b64 v[94:95], v[90:91], off offset:1280
	s_wait_xcnt 0x0
	s_or_b32 exec_lo, exec_lo, s6
	s_and_saveexec_b32 s6, s95
	s_cbranch_execz .LBB103_89
.LBB103_140:                            ;   in Loop: Header=BB103_21 Depth=1
	v_add_nc_u64_e32 v[90:91], v[86:87], v[0:1]
	v_add_nc_u64_e32 v[92:93], s[26:27], v[88:89]
	;; [unrolled: 1-line block ×3, first 2 shown]
	s_delay_alu instid0(VALU_DEP_3)
	v_dual_cndmask_b32 v91, v75, v91, s0 :: v_dual_cndmask_b32 v90, v74, v90, s0
	global_load_b64 v[90:91], v[90:91], off offset:1536
	global_store_b64 v[92:93], v[66:67], off offset:1536
	s_wait_loadcnt 0x0
	global_store_b64 v[94:95], v[90:91], off offset:1536
	s_wait_xcnt 0x0
	s_or_b32 exec_lo, exec_lo, s6
	s_and_saveexec_b32 s6, s8
	s_cbranch_execnz .LBB103_90
	s_branch .LBB103_91
.LBB103_141:                            ;   in Loop: Header=BB103_21 Depth=1
	v_add_nc_u64_e32 v[90:91], v[86:87], v[0:1]
	v_add_nc_u64_e32 v[70:71], 0x700, v[70:71]
	s_delay_alu instid0(VALU_DEP_3) | instskip(NEXT) | instid1(VALU_DEP_2)
	v_add_nc_u64_e32 v[92:93], s[34:35], v[88:89]
	v_dual_cndmask_b32 v71, v71, v91, s0 :: v_dual_cndmask_b32 v70, v70, v90, s0
	v_add_nc_u64_e32 v[90:91], s[26:27], v[88:89]
	global_load_b64 v[70:71], v[70:71], off
	global_store_b64 v[90:91], v[54:55], off
	s_wait_loadcnt 0x0
	global_store_b64 v[92:93], v[70:71], off
	s_wait_xcnt 0x0
	s_or_b32 exec_lo, exec_lo, s4
	s_and_saveexec_b32 s4, s1
	s_cbranch_execz .LBB103_93
.LBB103_142:                            ;   in Loop: Header=BB103_21 Depth=1
	v_add_nc_u64_e32 v[54:55], v[86:87], v[0:1]
	v_add_nc_u64_e32 v[70:71], 0x700, v[84:85]
	;; [unrolled: 1-line block ×3, first 2 shown]
	s_delay_alu instid0(VALU_DEP_3) | instskip(NEXT) | instid1(VALU_DEP_1)
	v_add_nc_u64_e32 v[54:55], 0x100, v[54:55]
	v_dual_cndmask_b32 v55, v71, v55, s0 :: v_dual_cndmask_b32 v54, v70, v54, s0
	v_add_nc_u64_e32 v[70:71], s[26:27], v[88:89]
	global_load_b64 v[54:55], v[54:55], off
	global_store_b64 v[70:71], v[56:57], off offset:256
	s_wait_loadcnt 0x0
	global_store_b64 v[84:85], v[54:55], off offset:256
	s_wait_xcnt 0x0
	s_or_b32 exec_lo, exec_lo, s4
	s_and_saveexec_b32 s4, s10
	s_cbranch_execz .LBB103_94
.LBB103_143:                            ;   in Loop: Header=BB103_21 Depth=1
	v_add_nc_u64_e32 v[54:55], v[86:87], v[0:1]
	v_add_nc_u64_e32 v[56:57], 0x700, v[82:83]
	v_add_nc_u64_e32 v[70:71], s[34:35], v[88:89]
	s_delay_alu instid0(VALU_DEP_3) | instskip(NEXT) | instid1(VALU_DEP_1)
	v_add_nc_u64_e32 v[54:55], 0x200, v[54:55]
	v_dual_cndmask_b32 v55, v57, v55, s0 :: v_dual_cndmask_b32 v54, v56, v54, s0
	v_add_nc_u64_e32 v[56:57], s[26:27], v[88:89]
	global_load_b64 v[54:55], v[54:55], off
	global_store_b64 v[56:57], v[58:59], off offset:512
	s_wait_loadcnt 0x0
	global_store_b64 v[70:71], v[54:55], off offset:512
	s_wait_xcnt 0x0
	s_or_b32 exec_lo, exec_lo, s4
	s_and_saveexec_b32 s4, s11
	s_cbranch_execz .LBB103_95
.LBB103_144:                            ;   in Loop: Header=BB103_21 Depth=1
	v_add_nc_u64_e32 v[54:55], v[86:87], v[0:1]
	v_add_nc_u64_e32 v[56:57], 0x700, v[80:81]
	;; [unrolled: 1-line block ×3, first 2 shown]
	s_delay_alu instid0(VALU_DEP_3) | instskip(NEXT) | instid1(VALU_DEP_1)
	v_add_nc_u64_e32 v[54:55], 0x300, v[54:55]
	v_dual_cndmask_b32 v55, v57, v55, s0 :: v_dual_cndmask_b32 v54, v56, v54, s0
	v_add_nc_u64_e32 v[56:57], s[26:27], v[88:89]
	global_load_b64 v[54:55], v[54:55], off
	global_store_b64 v[56:57], v[60:61], off offset:768
	s_wait_loadcnt 0x0
	global_store_b64 v[58:59], v[54:55], off offset:768
	s_wait_xcnt 0x0
	s_or_b32 exec_lo, exec_lo, s4
	s_and_saveexec_b32 s4, s12
	s_cbranch_execz .LBB103_96
.LBB103_145:                            ;   in Loop: Header=BB103_21 Depth=1
	v_add_nc_u64_e32 v[54:55], v[86:87], v[0:1]
	v_add_nc_u64_e32 v[56:57], 0x700, v[78:79]
	;; [unrolled: 1-line block ×3, first 2 shown]
	s_delay_alu instid0(VALU_DEP_3) | instskip(NEXT) | instid1(VALU_DEP_1)
	v_add_nc_u64_e32 v[54:55], 0x400, v[54:55]
	v_dual_cndmask_b32 v55, v57, v55, s0 :: v_dual_cndmask_b32 v54, v56, v54, s0
	v_add_nc_u64_e32 v[56:57], s[26:27], v[88:89]
	global_load_b64 v[54:55], v[54:55], off
	global_store_b64 v[56:57], v[62:63], off offset:1024
	s_wait_loadcnt 0x0
	global_store_b64 v[58:59], v[54:55], off offset:1024
	s_wait_xcnt 0x0
	s_or_b32 exec_lo, exec_lo, s4
	s_and_saveexec_b32 s4, s13
	s_cbranch_execz .LBB103_97
.LBB103_146:                            ;   in Loop: Header=BB103_21 Depth=1
	v_add_nc_u64_e32 v[54:55], v[86:87], v[0:1]
	v_add_nc_u64_e32 v[56:57], 0x700, v[76:77]
	;; [unrolled: 1-line block ×3, first 2 shown]
	s_delay_alu instid0(VALU_DEP_3) | instskip(NEXT) | instid1(VALU_DEP_1)
	v_add_nc_u64_e32 v[54:55], 0x500, v[54:55]
	v_dual_cndmask_b32 v55, v57, v55, s0 :: v_dual_cndmask_b32 v54, v56, v54, s0
	v_add_nc_u64_e32 v[56:57], s[26:27], v[88:89]
	global_load_b64 v[54:55], v[54:55], off
	global_store_b64 v[56:57], v[64:65], off offset:1280
	s_wait_loadcnt 0x0
	global_store_b64 v[58:59], v[54:55], off offset:1280
	s_wait_xcnt 0x0
	s_or_b32 exec_lo, exec_lo, s4
	s_and_saveexec_b32 s4, s14
	s_cbranch_execz .LBB103_98
.LBB103_147:                            ;   in Loop: Header=BB103_21 Depth=1
	v_add_nc_u64_e32 v[54:55], v[86:87], v[0:1]
	v_add_nc_u64_e32 v[56:57], 0x700, v[74:75]
	;; [unrolled: 1-line block ×3, first 2 shown]
	s_delay_alu instid0(VALU_DEP_3) | instskip(NEXT) | instid1(VALU_DEP_1)
	v_add_nc_u64_e32 v[54:55], 0x600, v[54:55]
	v_dual_cndmask_b32 v55, v57, v55, s0 :: v_dual_cndmask_b32 v54, v56, v54, s0
	v_add_nc_u64_e32 v[56:57], s[26:27], v[88:89]
	global_load_b64 v[54:55], v[54:55], off
	global_store_b64 v[56:57], v[66:67], off offset:1536
	s_wait_loadcnt 0x0
	global_store_b64 v[58:59], v[54:55], off offset:1536
	s_wait_xcnt 0x0
	s_or_b32 exec_lo, exec_lo, s4
	s_and_saveexec_b32 s4, s9
	s_cbranch_execz .LBB103_20
.LBB103_148:                            ;   in Loop: Header=BB103_21 Depth=1
	v_add_nc_u64_e32 v[54:55], v[86:87], v[0:1]
	v_add_nc_u64_e32 v[56:57], s[26:27], v[88:89]
	;; [unrolled: 1-line block ×3, first 2 shown]
	s_delay_alu instid0(VALU_DEP_3)
	v_dual_cndmask_b32 v55, v73, v55, s0 :: v_dual_cndmask_b32 v54, v72, v54, s0
	global_load_b64 v[54:55], v[54:55], off offset:1792
	global_store_b64 v[56:57], v[68:69], off offset:1792
	s_wait_loadcnt 0x0
	global_store_b64 v[58:59], v[54:55], off offset:1792
	s_branch .LBB103_20
.LBB103_149:
	s_sendmsg sendmsg(MSG_DEALLOC_VGPRS)
	s_endpgm
	.section	.rodata,"a",@progbits
	.p2align	6, 0x0
	.amdhsa_kernel _ZN9rocsparseL35bsr2csr_block_per_row_33_256_kernelILj1024ELj256ELj32ElllEEv20rocsparse_direction_T4_S2_21rocsparse_index_base_PKT2_PKT3_PKS2_S2_S3_PS4_PS7_PS2_
		.amdhsa_group_segment_fixed_size 0
		.amdhsa_private_segment_fixed_size 0
		.amdhsa_kernarg_size 96
		.amdhsa_user_sgpr_count 2
		.amdhsa_user_sgpr_dispatch_ptr 0
		.amdhsa_user_sgpr_queue_ptr 0
		.amdhsa_user_sgpr_kernarg_segment_ptr 1
		.amdhsa_user_sgpr_dispatch_id 0
		.amdhsa_user_sgpr_kernarg_preload_length 0
		.amdhsa_user_sgpr_kernarg_preload_offset 0
		.amdhsa_user_sgpr_private_segment_size 0
		.amdhsa_wavefront_size32 1
		.amdhsa_uses_dynamic_stack 0
		.amdhsa_enable_private_segment 0
		.amdhsa_system_sgpr_workgroup_id_x 1
		.amdhsa_system_sgpr_workgroup_id_y 0
		.amdhsa_system_sgpr_workgroup_id_z 0
		.amdhsa_system_sgpr_workgroup_info 0
		.amdhsa_system_vgpr_workitem_id 0
		.amdhsa_next_free_vgpr 96
		.amdhsa_next_free_sgpr 100
		.amdhsa_named_barrier_count 0
		.amdhsa_reserve_vcc 1
		.amdhsa_float_round_mode_32 0
		.amdhsa_float_round_mode_16_64 0
		.amdhsa_float_denorm_mode_32 3
		.amdhsa_float_denorm_mode_16_64 3
		.amdhsa_fp16_overflow 0
		.amdhsa_memory_ordered 1
		.amdhsa_forward_progress 1
		.amdhsa_inst_pref_size 69
		.amdhsa_round_robin_scheduling 0
		.amdhsa_exception_fp_ieee_invalid_op 0
		.amdhsa_exception_fp_denorm_src 0
		.amdhsa_exception_fp_ieee_div_zero 0
		.amdhsa_exception_fp_ieee_overflow 0
		.amdhsa_exception_fp_ieee_underflow 0
		.amdhsa_exception_fp_ieee_inexact 0
		.amdhsa_exception_int_div_zero 0
	.end_amdhsa_kernel
	.section	.text._ZN9rocsparseL35bsr2csr_block_per_row_33_256_kernelILj1024ELj256ELj32ElllEEv20rocsparse_direction_T4_S2_21rocsparse_index_base_PKT2_PKT3_PKS2_S2_S3_PS4_PS7_PS2_,"axG",@progbits,_ZN9rocsparseL35bsr2csr_block_per_row_33_256_kernelILj1024ELj256ELj32ElllEEv20rocsparse_direction_T4_S2_21rocsparse_index_base_PKT2_PKT3_PKS2_S2_S3_PS4_PS7_PS2_,comdat
.Lfunc_end103:
	.size	_ZN9rocsparseL35bsr2csr_block_per_row_33_256_kernelILj1024ELj256ELj32ElllEEv20rocsparse_direction_T4_S2_21rocsparse_index_base_PKT2_PKT3_PKS2_S2_S3_PS4_PS7_PS2_, .Lfunc_end103-_ZN9rocsparseL35bsr2csr_block_per_row_33_256_kernelILj1024ELj256ELj32ElllEEv20rocsparse_direction_T4_S2_21rocsparse_index_base_PKT2_PKT3_PKS2_S2_S3_PS4_PS7_PS2_
                                        ; -- End function
	.set _ZN9rocsparseL35bsr2csr_block_per_row_33_256_kernelILj1024ELj256ELj32ElllEEv20rocsparse_direction_T4_S2_21rocsparse_index_base_PKT2_PKT3_PKS2_S2_S3_PS4_PS7_PS2_.num_vgpr, 96
	.set _ZN9rocsparseL35bsr2csr_block_per_row_33_256_kernelILj1024ELj256ELj32ElllEEv20rocsparse_direction_T4_S2_21rocsparse_index_base_PKT2_PKT3_PKS2_S2_S3_PS4_PS7_PS2_.num_agpr, 0
	.set _ZN9rocsparseL35bsr2csr_block_per_row_33_256_kernelILj1024ELj256ELj32ElllEEv20rocsparse_direction_T4_S2_21rocsparse_index_base_PKT2_PKT3_PKS2_S2_S3_PS4_PS7_PS2_.numbered_sgpr, 100
	.set _ZN9rocsparseL35bsr2csr_block_per_row_33_256_kernelILj1024ELj256ELj32ElllEEv20rocsparse_direction_T4_S2_21rocsparse_index_base_PKT2_PKT3_PKS2_S2_S3_PS4_PS7_PS2_.num_named_barrier, 0
	.set _ZN9rocsparseL35bsr2csr_block_per_row_33_256_kernelILj1024ELj256ELj32ElllEEv20rocsparse_direction_T4_S2_21rocsparse_index_base_PKT2_PKT3_PKS2_S2_S3_PS4_PS7_PS2_.private_seg_size, 0
	.set _ZN9rocsparseL35bsr2csr_block_per_row_33_256_kernelILj1024ELj256ELj32ElllEEv20rocsparse_direction_T4_S2_21rocsparse_index_base_PKT2_PKT3_PKS2_S2_S3_PS4_PS7_PS2_.uses_vcc, 1
	.set _ZN9rocsparseL35bsr2csr_block_per_row_33_256_kernelILj1024ELj256ELj32ElllEEv20rocsparse_direction_T4_S2_21rocsparse_index_base_PKT2_PKT3_PKS2_S2_S3_PS4_PS7_PS2_.uses_flat_scratch, 0
	.set _ZN9rocsparseL35bsr2csr_block_per_row_33_256_kernelILj1024ELj256ELj32ElllEEv20rocsparse_direction_T4_S2_21rocsparse_index_base_PKT2_PKT3_PKS2_S2_S3_PS4_PS7_PS2_.has_dyn_sized_stack, 0
	.set _ZN9rocsparseL35bsr2csr_block_per_row_33_256_kernelILj1024ELj256ELj32ElllEEv20rocsparse_direction_T4_S2_21rocsparse_index_base_PKT2_PKT3_PKS2_S2_S3_PS4_PS7_PS2_.has_recursion, 0
	.set _ZN9rocsparseL35bsr2csr_block_per_row_33_256_kernelILj1024ELj256ELj32ElllEEv20rocsparse_direction_T4_S2_21rocsparse_index_base_PKT2_PKT3_PKS2_S2_S3_PS4_PS7_PS2_.has_indirect_call, 0
	.section	.AMDGPU.csdata,"",@progbits
; Kernel info:
; codeLenInByte = 8808
; TotalNumSgprs: 102
; NumVgprs: 96
; ScratchSize: 0
; MemoryBound: 0
; FloatMode: 240
; IeeeMode: 1
; LDSByteSize: 0 bytes/workgroup (compile time only)
; SGPRBlocks: 0
; VGPRBlocks: 5
; NumSGPRsForWavesPerEU: 102
; NumVGPRsForWavesPerEU: 96
; NamedBarCnt: 0
; Occupancy: 10
; WaveLimiterHint : 1
; COMPUTE_PGM_RSRC2:SCRATCH_EN: 0
; COMPUTE_PGM_RSRC2:USER_SGPR: 2
; COMPUTE_PGM_RSRC2:TRAP_HANDLER: 0
; COMPUTE_PGM_RSRC2:TGID_X_EN: 1
; COMPUTE_PGM_RSRC2:TGID_Y_EN: 0
; COMPUTE_PGM_RSRC2:TGID_Z_EN: 0
; COMPUTE_PGM_RSRC2:TIDIG_COMP_CNT: 0
	.section	.text._ZN9rocsparseL35bsr2csr_block_dim_equals_one_kernelILj1024EfiiEEvT2_S1_21rocsparse_index_base_PKT0_PKT1_PKS1_S2_PS3_PS6_PS1_,"axG",@progbits,_ZN9rocsparseL35bsr2csr_block_dim_equals_one_kernelILj1024EfiiEEvT2_S1_21rocsparse_index_base_PKT0_PKT1_PKS1_S2_PS3_PS6_PS1_,comdat
	.globl	_ZN9rocsparseL35bsr2csr_block_dim_equals_one_kernelILj1024EfiiEEvT2_S1_21rocsparse_index_base_PKT0_PKT1_PKS1_S2_PS3_PS6_PS1_ ; -- Begin function _ZN9rocsparseL35bsr2csr_block_dim_equals_one_kernelILj1024EfiiEEvT2_S1_21rocsparse_index_base_PKT0_PKT1_PKS1_S2_PS3_PS6_PS1_
	.p2align	8
	.type	_ZN9rocsparseL35bsr2csr_block_dim_equals_one_kernelILj1024EfiiEEvT2_S1_21rocsparse_index_base_PKT0_PKT1_PKS1_S2_PS3_PS6_PS1_,@function
_ZN9rocsparseL35bsr2csr_block_dim_equals_one_kernelILj1024EfiiEEvT2_S1_21rocsparse_index_base_PKT0_PKT1_PKS1_S2_PS3_PS6_PS1_: ; @_ZN9rocsparseL35bsr2csr_block_dim_equals_one_kernelILj1024EfiiEEvT2_S1_21rocsparse_index_base_PKT0_PKT1_PKS1_S2_PS3_PS6_PS1_
; %bb.0:
	s_clause 0x5
	s_load_b64 s[2:3], s[0:1], 0x40
	s_load_b32 s14, s[0:1], 0x0
	s_load_b32 s11, s[0:1], 0x8
	s_load_b128 s[4:7], s[0:1], 0x10
	s_load_b96 s[8:10], s[0:1], 0x20
	s_load_b64 s[12:13], s[0:1], 0x30
	s_bfe_u32 s15, ttmp6, 0x4000c
	s_and_b32 s16, ttmp6, 15
	s_add_co_i32 s15, s15, 1
	s_getreg_b32 s17, hwreg(HW_REG_IB_STS2, 6, 4)
	s_mul_i32 s15, ttmp9, s15
	s_delay_alu instid0(SALU_CYCLE_1) | instskip(SKIP_2) | instid1(SALU_CYCLE_1)
	s_add_co_i32 s16, s16, s15
	s_cmp_eq_u32 s17, 0
	s_cselect_b32 s15, ttmp9, s16
	v_lshl_or_b32 v0, s15, 10, v0
	s_mov_b32 s15, exec_lo
	s_wait_kmcnt 0x0
	s_delay_alu instid0(VALU_DEP_1)
	v_cmpx_gt_i32_e64 s14, v0
	s_cbranch_execz .LBB104_6
; %bb.1:
	s_load_b64 s[16:17], s[0:1], 0x38
	s_mov_b32 s18, exec_lo
                                        ; implicit-def: $sgpr19
	v_cmpx_ne_u32_e32 0, v0
	s_xor_b32 s18, exec_lo, s18
; %bb.2:
	s_sub_co_i32 s19, s10, s11
; %bb.3:
	s_or_saveexec_b32 s18, s18
	v_mov_b32_e32 v1, s19
	s_xor_b32 exec_lo, exec_lo, s18
	s_cbranch_execz .LBB104_5
; %bb.4:
	s_load_b32 s19, s[6:7], 0x0
	s_sub_co_i32 s20, s10, s11
	s_delay_alu instid0(SALU_CYCLE_1) | instskip(SKIP_2) | instid1(SALU_CYCLE_1)
	v_mov_b32_e32 v1, s20
	s_wait_kmcnt 0x0
	s_add_co_i32 s19, s20, s19
	v_dual_mov_b32 v2, 0 :: v_dual_mov_b32 v3, s19
	global_store_b32 v2, v3, s[16:17]
.LBB104_5:
	s_wait_xcnt 0x0
	s_or_b32 exec_lo, exec_lo, s18
	global_load_b32 v2, v0, s[6:7] offset:4 scale_offset
	s_wait_loadcnt 0x0
	v_add_nc_u32_e32 v1, v1, v2
	s_wait_kmcnt 0x0
	global_store_b32 v0, v1, s[16:17] offset:4 scale_offset
.LBB104_6:
	s_wait_xcnt 0x0
	s_or_b32 exec_lo, exec_lo, s15
	s_ashr_i32 s15, s14, 31
	s_delay_alu instid0(SALU_CYCLE_1) | instskip(NEXT) | instid1(SALU_CYCLE_1)
	s_lshl_b64 s[14:15], s[14:15], 2
	s_add_nc_u64 s[14:15], s[6:7], s[14:15]
	s_clause 0x1
	s_load_b32 s16, s[14:15], 0x0
	s_load_b32 s17, s[6:7], 0x0
	s_wait_xcnt 0x0
	s_mov_b32 s7, exec_lo
	s_wait_kmcnt 0x0
	s_sub_co_i32 s6, s16, s17
	s_delay_alu instid0(SALU_CYCLE_1)
	v_cmpx_gt_i32_e64 s6, v0
	s_cbranch_execz .LBB104_9
; %bb.7:
	s_load_b32 s1, s[0:1], 0x48
	s_wait_xcnt 0x0
	s_sub_co_i32 s0, s10, s11
	s_mov_b32 s7, 0
	s_wait_kmcnt 0x0
	s_lshl_b32 s1, s1, 10
.LBB104_8:                              ; =>This Inner Loop Header: Depth=1
	s_clause 0x1
	global_load_b32 v1, v0, s[8:9] scale_offset
	global_load_b32 v2, v0, s[4:5] scale_offset
	s_wait_loadcnt 0x1
	v_add_nc_u32_e32 v1, s0, v1
	global_store_b32 v0, v1, s[2:3] scale_offset
	s_wait_loadcnt 0x0
	global_store_b32 v0, v2, s[12:13] scale_offset
	s_wait_xcnt 0x0
	v_add_nc_u32_e32 v0, s1, v0
	s_delay_alu instid0(VALU_DEP_1) | instskip(SKIP_1) | instid1(SALU_CYCLE_1)
	v_cmp_le_i32_e32 vcc_lo, s6, v0
	s_or_b32 s7, vcc_lo, s7
	s_and_not1_b32 exec_lo, exec_lo, s7
	s_cbranch_execnz .LBB104_8
.LBB104_9:
	s_endpgm
	.section	.rodata,"a",@progbits
	.p2align	6, 0x0
	.amdhsa_kernel _ZN9rocsparseL35bsr2csr_block_dim_equals_one_kernelILj1024EfiiEEvT2_S1_21rocsparse_index_base_PKT0_PKT1_PKS1_S2_PS3_PS6_PS1_
		.amdhsa_group_segment_fixed_size 0
		.amdhsa_private_segment_fixed_size 0
		.amdhsa_kernarg_size 328
		.amdhsa_user_sgpr_count 2
		.amdhsa_user_sgpr_dispatch_ptr 0
		.amdhsa_user_sgpr_queue_ptr 0
		.amdhsa_user_sgpr_kernarg_segment_ptr 1
		.amdhsa_user_sgpr_dispatch_id 0
		.amdhsa_user_sgpr_kernarg_preload_length 0
		.amdhsa_user_sgpr_kernarg_preload_offset 0
		.amdhsa_user_sgpr_private_segment_size 0
		.amdhsa_wavefront_size32 1
		.amdhsa_uses_dynamic_stack 0
		.amdhsa_enable_private_segment 0
		.amdhsa_system_sgpr_workgroup_id_x 1
		.amdhsa_system_sgpr_workgroup_id_y 0
		.amdhsa_system_sgpr_workgroup_id_z 0
		.amdhsa_system_sgpr_workgroup_info 0
		.amdhsa_system_vgpr_workitem_id 0
		.amdhsa_next_free_vgpr 4
		.amdhsa_next_free_sgpr 21
		.amdhsa_named_barrier_count 0
		.amdhsa_reserve_vcc 1
		.amdhsa_float_round_mode_32 0
		.amdhsa_float_round_mode_16_64 0
		.amdhsa_float_denorm_mode_32 3
		.amdhsa_float_denorm_mode_16_64 3
		.amdhsa_fp16_overflow 0
		.amdhsa_memory_ordered 1
		.amdhsa_forward_progress 1
		.amdhsa_inst_pref_size 4
		.amdhsa_round_robin_scheduling 0
		.amdhsa_exception_fp_ieee_invalid_op 0
		.amdhsa_exception_fp_denorm_src 0
		.amdhsa_exception_fp_ieee_div_zero 0
		.amdhsa_exception_fp_ieee_overflow 0
		.amdhsa_exception_fp_ieee_underflow 0
		.amdhsa_exception_fp_ieee_inexact 0
		.amdhsa_exception_int_div_zero 0
	.end_amdhsa_kernel
	.section	.text._ZN9rocsparseL35bsr2csr_block_dim_equals_one_kernelILj1024EfiiEEvT2_S1_21rocsparse_index_base_PKT0_PKT1_PKS1_S2_PS3_PS6_PS1_,"axG",@progbits,_ZN9rocsparseL35bsr2csr_block_dim_equals_one_kernelILj1024EfiiEEvT2_S1_21rocsparse_index_base_PKT0_PKT1_PKS1_S2_PS3_PS6_PS1_,comdat
.Lfunc_end104:
	.size	_ZN9rocsparseL35bsr2csr_block_dim_equals_one_kernelILj1024EfiiEEvT2_S1_21rocsparse_index_base_PKT0_PKT1_PKS1_S2_PS3_PS6_PS1_, .Lfunc_end104-_ZN9rocsparseL35bsr2csr_block_dim_equals_one_kernelILj1024EfiiEEvT2_S1_21rocsparse_index_base_PKT0_PKT1_PKS1_S2_PS3_PS6_PS1_
                                        ; -- End function
	.set _ZN9rocsparseL35bsr2csr_block_dim_equals_one_kernelILj1024EfiiEEvT2_S1_21rocsparse_index_base_PKT0_PKT1_PKS1_S2_PS3_PS6_PS1_.num_vgpr, 4
	.set _ZN9rocsparseL35bsr2csr_block_dim_equals_one_kernelILj1024EfiiEEvT2_S1_21rocsparse_index_base_PKT0_PKT1_PKS1_S2_PS3_PS6_PS1_.num_agpr, 0
	.set _ZN9rocsparseL35bsr2csr_block_dim_equals_one_kernelILj1024EfiiEEvT2_S1_21rocsparse_index_base_PKT0_PKT1_PKS1_S2_PS3_PS6_PS1_.numbered_sgpr, 21
	.set _ZN9rocsparseL35bsr2csr_block_dim_equals_one_kernelILj1024EfiiEEvT2_S1_21rocsparse_index_base_PKT0_PKT1_PKS1_S2_PS3_PS6_PS1_.num_named_barrier, 0
	.set _ZN9rocsparseL35bsr2csr_block_dim_equals_one_kernelILj1024EfiiEEvT2_S1_21rocsparse_index_base_PKT0_PKT1_PKS1_S2_PS3_PS6_PS1_.private_seg_size, 0
	.set _ZN9rocsparseL35bsr2csr_block_dim_equals_one_kernelILj1024EfiiEEvT2_S1_21rocsparse_index_base_PKT0_PKT1_PKS1_S2_PS3_PS6_PS1_.uses_vcc, 1
	.set _ZN9rocsparseL35bsr2csr_block_dim_equals_one_kernelILj1024EfiiEEvT2_S1_21rocsparse_index_base_PKT0_PKT1_PKS1_S2_PS3_PS6_PS1_.uses_flat_scratch, 0
	.set _ZN9rocsparseL35bsr2csr_block_dim_equals_one_kernelILj1024EfiiEEvT2_S1_21rocsparse_index_base_PKT0_PKT1_PKS1_S2_PS3_PS6_PS1_.has_dyn_sized_stack, 0
	.set _ZN9rocsparseL35bsr2csr_block_dim_equals_one_kernelILj1024EfiiEEvT2_S1_21rocsparse_index_base_PKT0_PKT1_PKS1_S2_PS3_PS6_PS1_.has_recursion, 0
	.set _ZN9rocsparseL35bsr2csr_block_dim_equals_one_kernelILj1024EfiiEEvT2_S1_21rocsparse_index_base_PKT0_PKT1_PKS1_S2_PS3_PS6_PS1_.has_indirect_call, 0
	.section	.AMDGPU.csdata,"",@progbits
; Kernel info:
; codeLenInByte = 456
; TotalNumSgprs: 23
; NumVgprs: 4
; ScratchSize: 0
; MemoryBound: 0
; FloatMode: 240
; IeeeMode: 1
; LDSByteSize: 0 bytes/workgroup (compile time only)
; SGPRBlocks: 0
; VGPRBlocks: 0
; NumSGPRsForWavesPerEU: 23
; NumVGPRsForWavesPerEU: 4
; NamedBarCnt: 0
; Occupancy: 16
; WaveLimiterHint : 0
; COMPUTE_PGM_RSRC2:SCRATCH_EN: 0
; COMPUTE_PGM_RSRC2:USER_SGPR: 2
; COMPUTE_PGM_RSRC2:TRAP_HANDLER: 0
; COMPUTE_PGM_RSRC2:TGID_X_EN: 1
; COMPUTE_PGM_RSRC2:TGID_Y_EN: 0
; COMPUTE_PGM_RSRC2:TGID_Z_EN: 0
; COMPUTE_PGM_RSRC2:TIDIG_COMP_CNT: 0
	.section	.text._ZN9rocsparseL32bsr2csr_block_per_row_2_7_kernelILj256ELj2EfiiEEv20rocsparse_direction_T3_S2_21rocsparse_index_base_PKT1_PKT2_PKS2_S2_S3_PS4_PS7_PS2_,"axG",@progbits,_ZN9rocsparseL32bsr2csr_block_per_row_2_7_kernelILj256ELj2EfiiEEv20rocsparse_direction_T3_S2_21rocsparse_index_base_PKT1_PKT2_PKS2_S2_S3_PS4_PS7_PS2_,comdat
	.globl	_ZN9rocsparseL32bsr2csr_block_per_row_2_7_kernelILj256ELj2EfiiEEv20rocsparse_direction_T3_S2_21rocsparse_index_base_PKT1_PKT2_PKS2_S2_S3_PS4_PS7_PS2_ ; -- Begin function _ZN9rocsparseL32bsr2csr_block_per_row_2_7_kernelILj256ELj2EfiiEEv20rocsparse_direction_T3_S2_21rocsparse_index_base_PKT1_PKT2_PKS2_S2_S3_PS4_PS7_PS2_
	.p2align	8
	.type	_ZN9rocsparseL32bsr2csr_block_per_row_2_7_kernelILj256ELj2EfiiEEv20rocsparse_direction_T3_S2_21rocsparse_index_base_PKT1_PKT2_PKS2_S2_S3_PS4_PS7_PS2_,@function
_ZN9rocsparseL32bsr2csr_block_per_row_2_7_kernelILj256ELj2EfiiEEv20rocsparse_direction_T3_S2_21rocsparse_index_base_PKT1_PKT2_PKS2_S2_S3_PS4_PS7_PS2_: ; @_ZN9rocsparseL32bsr2csr_block_per_row_2_7_kernelILj256ELj2EfiiEEv20rocsparse_direction_T3_S2_21rocsparse_index_base_PKT1_PKT2_PKS2_S2_S3_PS4_PS7_PS2_
; %bb.0:
	s_load_b64 s[6:7], s[0:1], 0x18
	s_bfe_u32 s2, ttmp6, 0x4000c
	s_and_b32 s3, ttmp6, 15
	s_add_co_i32 s2, s2, 1
	s_getreg_b32 s4, hwreg(HW_REG_IB_STS2, 6, 4)
	s_mul_i32 s2, ttmp9, s2
	s_delay_alu instid0(SALU_CYCLE_1)
	s_add_co_i32 s3, s3, s2
	s_cmp_eq_u32 s4, 0
	s_cselect_b32 s4, ttmp9, s3
	s_clause 0x1
	s_load_b32 s14, s[0:1], 0x2c
	s_load_b64 s[2:3], s[0:1], 0x38
	s_ashr_i32 s5, s4, 31
	v_or_b32_e32 v1, s4, v0
	s_lshl_b64 s[8:9], s[4:5], 2
	s_mov_b32 s5, exec_lo
	s_wait_kmcnt 0x0
	s_add_nc_u64 s[6:7], s[6:7], s[8:9]
	s_load_b64 s[12:13], s[6:7], 0x0
	v_cmpx_eq_u32_e32 0, v1
	s_cbranch_execz .LBB105_2
; %bb.1:
	v_dual_mov_b32 v1, 0 :: v_dual_mov_b32 v2, s14
	global_store_b32 v1, v2, s[2:3]
.LBB105_2:
	s_wait_xcnt 0x0
	s_or_b32 exec_lo, exec_lo, s5
	s_load_b32 s15, s[0:1], 0xc
	v_dual_lshrrev_b32 v1, 1, v0 :: v_dual_bitop2_b32 v4, 1, v0 bitop3:0x40
	s_delay_alu instid0(VALU_DEP_1) | instskip(NEXT) | instid1(VALU_DEP_1)
	v_lshl_or_b32 v3, s4, 1, v4
	v_add_nc_u32_e32 v3, 1, v3
	s_wait_kmcnt 0x0
	s_sub_co_i32 s16, s12, s15
	s_sub_co_i32 s13, s13, s15
	v_add_nc_u32_e32 v2, s16, v1
	s_sub_co_i32 s5, s13, s16
	s_delay_alu instid0(SALU_CYCLE_1) | instskip(NEXT) | instid1(SALU_CYCLE_1)
	s_lshl_b32 s5, s5, 1
	v_mul_lo_u32 v16, s5, v4
	s_delay_alu instid0(VALU_DEP_1) | instskip(NEXT) | instid1(VALU_DEP_1)
	v_lshl_add_u32 v8, s16, 2, v16
	v_add3_u32 v5, s5, s14, v8
	global_store_b32 v3, v5, s[2:3] scale_offset
	s_wait_xcnt 0x0
	s_mov_b32 s2, exec_lo
	v_cmpx_gt_i32_e64 s13, v2
	s_cbranch_execz .LBB105_12
; %bb.3:
	s_clause 0x2
	s_load_b64 s[4:5], s[0:1], 0x20
	s_load_b64 s[6:7], s[0:1], 0x30
	s_load_b32 s2, s[0:1], 0x0
	v_dual_add_nc_u32 v3, s12, v1 :: v_dual_lshlrev_b32 v6, 1, v4
	s_clause 0x1
	s_load_b64 s[8:9], s[0:1], 0x10
	s_load_b64 s[10:11], s[0:1], 0x40
	s_mov_b32 s18, exec_lo
	v_subrev_nc_u32_e32 v3, s15, v3
	s_delay_alu instid0(VALU_DEP_1) | instskip(SKIP_4) | instid1(SALU_CYCLE_1)
	v_add_max_i32_e64 v3, 0x80, v3, s13
	s_wait_kmcnt 0x0
	s_cmp_eq_u32 s2, 0
	s_cselect_b32 vcc_lo, -1, 0
	s_not_b32 s0, s12
	v_add3_u32 v3, s0, s15, v3
	s_delay_alu instid0(VALU_DEP_1) | instskip(NEXT) | instid1(VALU_DEP_1)
	v_sub_nc_u32_e32 v1, v3, v1
	v_cmp_gt_u32_e64 s17, 0xe80, v1
	v_cmpx_lt_u32_e32 0xe7f, v1
	s_cbranch_execz .LBB105_9
; %bb.4:
	v_and_b32_e32 v0, 0xfe, v0
	s_lshl_b32 s0, s12, 2
	v_and_b32_e32 v10, 0xffffff80, v1
	v_cmp_lt_i32_e64 s2, -1, v1
	s_delay_alu instid0(VALU_DEP_3) | instskip(SKIP_2) | instid1(VALU_DEP_2)
	v_add3_u32 v3, v16, s0, v0
	v_lshrrev_b32_e32 v0, 7, v1
	s_lshl_b32 s0, s15, 2
	v_or_b32_e32 v5, 1, v3
	v_subrev_nc_u32_e32 v3, s0, v3
	s_delay_alu instid0(VALU_DEP_3) | instskip(NEXT) | instid1(VALU_DEP_3)
	v_lshlrev_b32_e32 v7, 8, v0
	v_subrev_nc_u32_e32 v5, s0, v5
	s_delay_alu instid0(VALU_DEP_2) | instskip(NEXT) | instid1(VALU_DEP_1)
	v_add_nc_u32_e32 v9, v3, v7
	v_cmp_ge_i32_e64 s0, v9, v3
	s_delay_alu instid0(VALU_DEP_3) | instskip(NEXT) | instid1(VALU_DEP_1)
	v_dual_add_nc_u32 v3, v2, v10 :: v_dual_add_nc_u32 v7, v5, v7
	v_cmp_ge_i32_e64 s3, v3, v2
	s_delay_alu instid0(VALU_DEP_2) | instskip(SKIP_1) | instid1(SALU_CYCLE_1)
	v_cmp_ge_i32_e64 s1, v7, v5
	s_and_b32 s0, s1, s0
	s_and_b32 s1, s0, s2
	s_mov_b32 s0, -1
	s_and_b32 s2, s1, s3
	s_delay_alu instid0(SALU_CYCLE_1)
	s_and_saveexec_b32 s1, s2
	s_cbranch_execz .LBB105_8
; %bb.5:
	v_dual_add_nc_u32 v17, 1, v0 :: v_dual_mov_b32 v1, v6
	v_add_nc_u32_e32 v3, 0x80, v2
	v_dual_mov_b32 v5, v8 :: v_dual_bitop2_b32 v0, 1, v6 bitop3:0x54
	v_dual_mov_b32 v7, v4 :: v_dual_bitop2_b32 v10, 2, v4 bitop3:0x54
	s_delay_alu instid0(VALU_DEP_4) | instskip(NEXT) | instid1(VALU_DEP_4)
	v_and_b32_e32 v18, 0x3fffffe, v17
	v_mov_b64_e32 v[14:15], v[2:3]
	s_delay_alu instid0(VALU_DEP_3) | instskip(NEXT) | instid1(VALU_DEP_3)
	v_dual_mov_b32 v9, v0 :: v_dual_mov_b32 v11, v10
	v_dual_mov_b32 v13, 0 :: v_dual_mov_b32 v19, v18
	s_mov_b32 s2, s15
	s_mov_b32 s3, s16
	;; [unrolled: 1-line block ×4, first 2 shown]
.LBB105_6:                              ; =>This Inner Loop Header: Depth=1
	v_dual_lshlrev_b32 v3, 2, v15 :: v_dual_lshlrev_b32 v12, 2, v14
	s_clause 0x1
	global_load_b32 v28, v14, s[4:5] scale_offset
	global_load_b32 v29, v15, s[4:5] scale_offset
	v_dual_mov_b32 v21, v13 :: v_dual_mov_b32 v23, v13
	v_dual_add_nc_u32 v19, -2, v19 :: v_dual_bitop2_b32 v25, v12, v6 bitop3:0x54
	v_or_b32_e32 v27, v12, v0
	v_or_b32_e32 v30, v12, v10
	;; [unrolled: 1-line block ×4, first 2 shown]
	v_cmp_eq_u32_e64 s0, 0, v19
	s_delay_alu instid0(VALU_DEP_3) | instskip(SKIP_4) | instid1(VALU_DEP_1)
	v_cndmask_b32_e32 v12, v22, v25, vcc_lo
	v_or_b32_e32 v26, v3, v9
	v_or_b32_e32 v24, v3, v1
	;; [unrolled: 1-line block ×3, first 2 shown]
	s_or_b32 s19, s0, s19
	v_dual_cndmask_b32 v22, v3, v26, vcc_lo :: v_dual_cndmask_b32 v20, v20, v24, vcc_lo
	v_lshl_add_u64 v[24:25], v[12:13], 2, s[8:9]
	v_cndmask_b32_e32 v12, v30, v27, vcc_lo
	s_delay_alu instid0(VALU_DEP_3) | instskip(NEXT) | instid1(VALU_DEP_4)
	v_lshl_add_u64 v[22:23], v[22:23], 2, s[8:9]
	v_lshl_add_u64 v[20:21], v[20:21], 2, s[8:9]
	s_delay_alu instid0(VALU_DEP_3)
	v_lshl_add_u64 v[26:27], v[12:13], 2, s[8:9]
	s_clause 0x3
	global_load_b32 v3, v[24:25], off
	global_load_b32 v12, v[20:21], off
	;; [unrolled: 1-line block ×4, first 2 shown]
	s_wait_xcnt 0x2
	v_subrev_nc_u32_e32 v21, s16, v14
	v_subrev_nc_u32_e32 v20, s3, v15
	v_add_nc_u32_e32 v15, 0x100, v15
	v_add_nc_u32_e32 v14, 0x100, v14
	s_delay_alu instid0(VALU_DEP_4) | instskip(NEXT) | instid1(VALU_DEP_4)
	v_lshl_add_u32 v21, v21, 1, v8
	v_lshl_add_u32 v20, v20, 1, v5
	s_wait_xcnt 0x0
	s_delay_alu instid0(VALU_DEP_2) | instskip(NEXT) | instid1(VALU_DEP_2)
	v_or_b32_e32 v23, 1, v21
	v_or_b32_e32 v22, 1, v20
	s_wait_loadcnt 0x5
	v_subrev_nc_u32_e32 v25, s15, v28
	s_wait_loadcnt 0x4
	v_subrev_nc_u32_e32 v24, s2, v29
	s_delay_alu instid0(VALU_DEP_2) | instskip(NEXT) | instid1(VALU_DEP_2)
	v_lshl_add_u32 v25, v25, 1, s14
	v_lshl_add_u32 v24, v24, 1, s20
	s_delay_alu instid0(VALU_DEP_1)
	v_dual_add_nc_u32 v27, 1, v25 :: v_dual_add_nc_u32 v26, 1, v24
	global_store_b32 v21, v25, s[10:11] scale_offset
	s_wait_loadcnt 0x3
	global_store_b32 v21, v3, s[6:7] scale_offset
	global_store_b32 v20, v24, s[10:11] scale_offset
	s_wait_loadcnt 0x2
	global_store_b32 v20, v12, s[6:7] scale_offset
	;; [unrolled: 3-line block ×4, first 2 shown]
	s_wait_xcnt 0x0
	s_and_not1_b32 exec_lo, exec_lo, s19
	s_cbranch_execnz .LBB105_6
; %bb.7:
	s_or_b32 exec_lo, exec_lo, s19
	v_cmp_ne_u32_e64 s0, v17, v18
	v_lshl_add_u32 v2, v18, 7, v2
	s_or_not1_b32 s0, s0, exec_lo
.LBB105_8:
	s_or_b32 exec_lo, exec_lo, s1
	s_delay_alu instid0(SALU_CYCLE_1) | instskip(SKIP_1) | instid1(SALU_CYCLE_1)
	s_and_not1_b32 s1, s17, exec_lo
	s_and_b32 s0, s0, exec_lo
	s_or_b32 s17, s1, s0
.LBB105_9:
	s_or_b32 exec_lo, exec_lo, s18
	s_delay_alu instid0(SALU_CYCLE_1)
	s_and_b32 exec_lo, exec_lo, s17
	s_cbranch_execz .LBB105_12
; %bb.10:
	v_dual_add_nc_u32 v0, s12, v2 :: v_dual_lshlrev_b32 v1, 2, v2
	s_lshl_b32 s0, s15, 1
	s_mov_b32 s1, 0
	s_delay_alu instid0(VALU_DEP_1) | instskip(NEXT) | instid1(VALU_DEP_2)
	v_lshl_add_u32 v0, v0, 1, v16
	v_or_b32_e32 v3, v1, v6
	v_or_b32_e32 v4, v1, v4
	s_delay_alu instid0(VALU_DEP_3)
	v_subrev_nc_u32_e32 v0, s0, v0
.LBB105_11:                             ; =>This Inner Loop Header: Depth=1
	global_load_b32 v5, v2, s[4:5] scale_offset
	v_dual_add_nc_u32 v1, 1, v3 :: v_dual_add_nc_u32 v6, 2, v4
	v_cndmask_b32_e32 v8, v4, v3, vcc_lo
	s_wait_xcnt 0x0
	v_add_nc_u32_e32 v2, 0x80, v2
	v_add_nc_u32_e32 v3, 0x200, v3
	v_dual_cndmask_b32 v1, v6, v1 :: v_dual_add_nc_u32 v4, 0x200, v4
	s_clause 0x1
	global_load_b32 v6, v8, s[8:9] scale_offset
	global_load_b32 v7, v1, s[8:9] scale_offset
	s_wait_xcnt 0x0
	v_ashrrev_i32_e32 v1, 31, v0
	v_cmp_le_i32_e64 s0, s13, v2
	s_delay_alu instid0(VALU_DEP_2) | instskip(SKIP_2) | instid1(VALU_DEP_2)
	v_lshlrev_b64_e32 v[8:9], 2, v[0:1]
	v_add_nc_u32_e32 v0, 0x100, v0
	s_or_b32 s1, s0, s1
	v_add_nc_u64_e32 v[12:13], s[6:7], v[8:9]
	v_add_nc_u64_e32 v[8:9], s[10:11], v[8:9]
	s_wait_loadcnt 0x2
	v_subrev_nc_u32_e32 v1, s15, v5
	s_delay_alu instid0(VALU_DEP_1) | instskip(NEXT) | instid1(VALU_DEP_1)
	v_lshl_add_u32 v10, v1, 1, s14
	v_add_nc_u32_e32 v11, 1, v10
	s_wait_loadcnt 0x0
	global_store_b64 v[12:13], v[6:7], off
	global_store_b64 v[8:9], v[10:11], off
	s_wait_xcnt 0x0
	s_and_not1_b32 exec_lo, exec_lo, s1
	s_cbranch_execnz .LBB105_11
.LBB105_12:
	s_endpgm
	.section	.rodata,"a",@progbits
	.p2align	6, 0x0
	.amdhsa_kernel _ZN9rocsparseL32bsr2csr_block_per_row_2_7_kernelILj256ELj2EfiiEEv20rocsparse_direction_T3_S2_21rocsparse_index_base_PKT1_PKT2_PKS2_S2_S3_PS4_PS7_PS2_
		.amdhsa_group_segment_fixed_size 0
		.amdhsa_private_segment_fixed_size 0
		.amdhsa_kernarg_size 72
		.amdhsa_user_sgpr_count 2
		.amdhsa_user_sgpr_dispatch_ptr 0
		.amdhsa_user_sgpr_queue_ptr 0
		.amdhsa_user_sgpr_kernarg_segment_ptr 1
		.amdhsa_user_sgpr_dispatch_id 0
		.amdhsa_user_sgpr_kernarg_preload_length 0
		.amdhsa_user_sgpr_kernarg_preload_offset 0
		.amdhsa_user_sgpr_private_segment_size 0
		.amdhsa_wavefront_size32 1
		.amdhsa_uses_dynamic_stack 0
		.amdhsa_enable_private_segment 0
		.amdhsa_system_sgpr_workgroup_id_x 1
		.amdhsa_system_sgpr_workgroup_id_y 0
		.amdhsa_system_sgpr_workgroup_id_z 0
		.amdhsa_system_sgpr_workgroup_info 0
		.amdhsa_system_vgpr_workitem_id 0
		.amdhsa_next_free_vgpr 32
		.amdhsa_next_free_sgpr 21
		.amdhsa_named_barrier_count 0
		.amdhsa_reserve_vcc 1
		.amdhsa_float_round_mode_32 0
		.amdhsa_float_round_mode_16_64 0
		.amdhsa_float_denorm_mode_32 3
		.amdhsa_float_denorm_mode_16_64 3
		.amdhsa_fp16_overflow 0
		.amdhsa_memory_ordered 1
		.amdhsa_forward_progress 1
		.amdhsa_inst_pref_size 12
		.amdhsa_round_robin_scheduling 0
		.amdhsa_exception_fp_ieee_invalid_op 0
		.amdhsa_exception_fp_denorm_src 0
		.amdhsa_exception_fp_ieee_div_zero 0
		.amdhsa_exception_fp_ieee_overflow 0
		.amdhsa_exception_fp_ieee_underflow 0
		.amdhsa_exception_fp_ieee_inexact 0
		.amdhsa_exception_int_div_zero 0
	.end_amdhsa_kernel
	.section	.text._ZN9rocsparseL32bsr2csr_block_per_row_2_7_kernelILj256ELj2EfiiEEv20rocsparse_direction_T3_S2_21rocsparse_index_base_PKT1_PKT2_PKS2_S2_S3_PS4_PS7_PS2_,"axG",@progbits,_ZN9rocsparseL32bsr2csr_block_per_row_2_7_kernelILj256ELj2EfiiEEv20rocsparse_direction_T3_S2_21rocsparse_index_base_PKT1_PKT2_PKS2_S2_S3_PS4_PS7_PS2_,comdat
.Lfunc_end105:
	.size	_ZN9rocsparseL32bsr2csr_block_per_row_2_7_kernelILj256ELj2EfiiEEv20rocsparse_direction_T3_S2_21rocsparse_index_base_PKT1_PKT2_PKS2_S2_S3_PS4_PS7_PS2_, .Lfunc_end105-_ZN9rocsparseL32bsr2csr_block_per_row_2_7_kernelILj256ELj2EfiiEEv20rocsparse_direction_T3_S2_21rocsparse_index_base_PKT1_PKT2_PKS2_S2_S3_PS4_PS7_PS2_
                                        ; -- End function
	.set _ZN9rocsparseL32bsr2csr_block_per_row_2_7_kernelILj256ELj2EfiiEEv20rocsparse_direction_T3_S2_21rocsparse_index_base_PKT1_PKT2_PKS2_S2_S3_PS4_PS7_PS2_.num_vgpr, 32
	.set _ZN9rocsparseL32bsr2csr_block_per_row_2_7_kernelILj256ELj2EfiiEEv20rocsparse_direction_T3_S2_21rocsparse_index_base_PKT1_PKT2_PKS2_S2_S3_PS4_PS7_PS2_.num_agpr, 0
	.set _ZN9rocsparseL32bsr2csr_block_per_row_2_7_kernelILj256ELj2EfiiEEv20rocsparse_direction_T3_S2_21rocsparse_index_base_PKT1_PKT2_PKS2_S2_S3_PS4_PS7_PS2_.numbered_sgpr, 21
	.set _ZN9rocsparseL32bsr2csr_block_per_row_2_7_kernelILj256ELj2EfiiEEv20rocsparse_direction_T3_S2_21rocsparse_index_base_PKT1_PKT2_PKS2_S2_S3_PS4_PS7_PS2_.num_named_barrier, 0
	.set _ZN9rocsparseL32bsr2csr_block_per_row_2_7_kernelILj256ELj2EfiiEEv20rocsparse_direction_T3_S2_21rocsparse_index_base_PKT1_PKT2_PKS2_S2_S3_PS4_PS7_PS2_.private_seg_size, 0
	.set _ZN9rocsparseL32bsr2csr_block_per_row_2_7_kernelILj256ELj2EfiiEEv20rocsparse_direction_T3_S2_21rocsparse_index_base_PKT1_PKT2_PKS2_S2_S3_PS4_PS7_PS2_.uses_vcc, 1
	.set _ZN9rocsparseL32bsr2csr_block_per_row_2_7_kernelILj256ELj2EfiiEEv20rocsparse_direction_T3_S2_21rocsparse_index_base_PKT1_PKT2_PKS2_S2_S3_PS4_PS7_PS2_.uses_flat_scratch, 0
	.set _ZN9rocsparseL32bsr2csr_block_per_row_2_7_kernelILj256ELj2EfiiEEv20rocsparse_direction_T3_S2_21rocsparse_index_base_PKT1_PKT2_PKS2_S2_S3_PS4_PS7_PS2_.has_dyn_sized_stack, 0
	.set _ZN9rocsparseL32bsr2csr_block_per_row_2_7_kernelILj256ELj2EfiiEEv20rocsparse_direction_T3_S2_21rocsparse_index_base_PKT1_PKT2_PKS2_S2_S3_PS4_PS7_PS2_.has_recursion, 0
	.set _ZN9rocsparseL32bsr2csr_block_per_row_2_7_kernelILj256ELj2EfiiEEv20rocsparse_direction_T3_S2_21rocsparse_index_base_PKT1_PKT2_PKS2_S2_S3_PS4_PS7_PS2_.has_indirect_call, 0
	.section	.AMDGPU.csdata,"",@progbits
; Kernel info:
; codeLenInByte = 1420
; TotalNumSgprs: 23
; NumVgprs: 32
; ScratchSize: 0
; MemoryBound: 0
; FloatMode: 240
; IeeeMode: 1
; LDSByteSize: 0 bytes/workgroup (compile time only)
; SGPRBlocks: 0
; VGPRBlocks: 1
; NumSGPRsForWavesPerEU: 23
; NumVGPRsForWavesPerEU: 32
; NamedBarCnt: 0
; Occupancy: 16
; WaveLimiterHint : 0
; COMPUTE_PGM_RSRC2:SCRATCH_EN: 0
; COMPUTE_PGM_RSRC2:USER_SGPR: 2
; COMPUTE_PGM_RSRC2:TRAP_HANDLER: 0
; COMPUTE_PGM_RSRC2:TGID_X_EN: 1
; COMPUTE_PGM_RSRC2:TGID_Y_EN: 0
; COMPUTE_PGM_RSRC2:TGID_Z_EN: 0
; COMPUTE_PGM_RSRC2:TIDIG_COMP_CNT: 0
	.section	.text._ZN9rocsparseL32bsr2csr_block_per_row_2_7_kernelILj256ELj3EfiiEEv20rocsparse_direction_T3_S2_21rocsparse_index_base_PKT1_PKT2_PKS2_S2_S3_PS4_PS7_PS2_,"axG",@progbits,_ZN9rocsparseL32bsr2csr_block_per_row_2_7_kernelILj256ELj3EfiiEEv20rocsparse_direction_T3_S2_21rocsparse_index_base_PKT1_PKT2_PKS2_S2_S3_PS4_PS7_PS2_,comdat
	.globl	_ZN9rocsparseL32bsr2csr_block_per_row_2_7_kernelILj256ELj3EfiiEEv20rocsparse_direction_T3_S2_21rocsparse_index_base_PKT1_PKT2_PKS2_S2_S3_PS4_PS7_PS2_ ; -- Begin function _ZN9rocsparseL32bsr2csr_block_per_row_2_7_kernelILj256ELj3EfiiEEv20rocsparse_direction_T3_S2_21rocsparse_index_base_PKT1_PKT2_PKS2_S2_S3_PS4_PS7_PS2_
	.p2align	8
	.type	_ZN9rocsparseL32bsr2csr_block_per_row_2_7_kernelILj256ELj3EfiiEEv20rocsparse_direction_T3_S2_21rocsparse_index_base_PKT1_PKT2_PKS2_S2_S3_PS4_PS7_PS2_,@function
_ZN9rocsparseL32bsr2csr_block_per_row_2_7_kernelILj256ELj3EfiiEEv20rocsparse_direction_T3_S2_21rocsparse_index_base_PKT1_PKT2_PKS2_S2_S3_PS4_PS7_PS2_: ; @_ZN9rocsparseL32bsr2csr_block_per_row_2_7_kernelILj256ELj3EfiiEEv20rocsparse_direction_T3_S2_21rocsparse_index_base_PKT1_PKT2_PKS2_S2_S3_PS4_PS7_PS2_
; %bb.0:
	s_clause 0x1
	s_load_b32 s12, s[0:1], 0x2c
	s_load_b64 s[2:3], s[0:1], 0x38
	s_bfe_u32 s4, ttmp6, 0x4000c
	s_and_b32 s5, ttmp6, 15
	s_add_co_i32 s4, s4, 1
	s_getreg_b32 s6, hwreg(HW_REG_IB_STS2, 6, 4)
	s_mul_i32 s4, ttmp9, s4
	s_delay_alu instid0(SALU_CYCLE_1) | instskip(SKIP_4) | instid1(VALU_DEP_1)
	s_add_co_i32 s5, s5, s4
	s_cmp_eq_u32 s6, 0
	s_cselect_b32 s4, ttmp9, s5
	s_mov_b32 s5, exec_lo
	v_or_b32_e32 v1, s4, v0
	v_cmpx_eq_u32_e32 0, v1
	s_cbranch_execz .LBB106_2
; %bb.1:
	s_wait_kmcnt 0x0
	v_dual_mov_b32 v1, 0 :: v_dual_mov_b32 v2, s12
	global_store_b32 v1, v2, s[2:3]
.LBB106_2:
	s_wait_xcnt 0x0
	s_or_b32 exec_lo, exec_lo, s5
	v_and_b32_e32 v1, 3, v0
	s_mov_b32 s5, exec_lo
	s_delay_alu instid0(VALU_DEP_1)
	v_cmpx_ne_u32_e32 3, v1
	s_cbranch_execz .LBB106_6
; %bb.3:
	s_clause 0x1
	s_load_b64 s[6:7], s[0:1], 0x18
	s_load_b32 s13, s[0:1], 0xc
	s_ashr_i32 s5, s4, 31
	v_lshrrev_b32_e32 v0, 2, v0
	s_lshl_b64 s[8:9], s[4:5], 2
	s_mul_i32 s4, s4, 3
	s_delay_alu instid0(SALU_CYCLE_1)
	v_add3_u32 v5, v1, s4, 1
	s_wait_kmcnt 0x0
	s_add_nc_u64 s[6:7], s[6:7], s[8:9]
	s_load_b64 s[10:11], s[6:7], 0x0
	s_wait_kmcnt 0x0
	s_sub_co_i32 s5, s10, s13
	s_sub_co_i32 s11, s11, s13
	v_add_nc_u32_e32 v2, s5, v0
	s_sub_co_i32 s6, s11, s5
	s_mul_i32 s7, s5, 9
	s_mul_i32 s6, s6, 3
	s_delay_alu instid0(SALU_CYCLE_1) | instskip(SKIP_2) | instid1(VALU_DEP_2)
	v_mul_lo_u32 v3, s6, v1
	s_add_co_i32 s6, s6, s12
	v_cmp_gt_i32_e32 vcc_lo, s11, v2
	v_add3_u32 v4, s6, s7, v3
	global_store_b32 v5, v4, s[2:3] scale_offset
	s_wait_xcnt 0x0
	s_and_b32 exec_lo, exec_lo, vcc_lo
	s_cbranch_execz .LBB106_6
; %bb.4:
	s_clause 0x2
	s_load_b64 s[2:3], s[0:1], 0x20
	s_load_b64 s[4:5], s[0:1], 0x30
	s_load_b32 s14, s[0:1], 0x0
	v_add_nc_u32_e32 v4, s10, v0
	v_mul_u32_u24_e32 v5, 3, v1
	s_clause 0x1
	s_load_b64 s[6:7], s[0:1], 0x10
	s_load_b64 s[8:9], s[0:1], 0x40
	v_mul_u32_u24_e32 v0, 3, v0
	s_wait_xcnt 0x0
	s_mul_i32 s0, s10, 9
	s_mov_b32 s1, 0
	v_mad_u32 v4, v4, 9, v5
	s_mov_b32 s10, 0
	v_add3_u32 v0, v3, s0, v0
	v_mad_u32 v3, v2, 9, v1
	s_mul_i32 s0, s13, 9
	s_delay_alu instid0(VALU_DEP_2) | instid1(SALU_CYCLE_1)
	v_subrev_nc_u32_e32 v0, s0, v0
	s_delay_alu instid0(VALU_DEP_4)
	v_subrev_nc_u32_e32 v4, s0, v4
	s_wait_kmcnt 0x0
	s_cmp_eq_u32 s14, 0
	s_cselect_b32 vcc_lo, -1, 0
.LBB106_5:                              ; =>This Inner Loop Header: Depth=1
	global_load_b32 v1, v2, s[2:3] scale_offset
	v_dual_add_nc_u32 v5, s10, v4 :: v_dual_add_nc_u32 v6, s10, v3
	s_wait_xcnt 0x0
	v_add_nc_u32_e32 v2, 64, v2
	s_addk_co_i32 s10, 0x240
	s_delay_alu instid0(VALU_DEP_2) | instskip(SKIP_3) | instid1(VALU_DEP_3)
	v_dual_add_nc_u32 v7, 1, v5 :: v_dual_add_nc_u32 v8, 3, v6
	v_dual_add_nc_u32 v9, 2, v5 :: v_dual_add_nc_u32 v10, 6, v6
	v_cndmask_b32_e32 v5, v6, v5, vcc_lo
	v_cmp_le_i32_e64 s0, s11, v2
	v_dual_cndmask_b32 v11, v8, v7, vcc_lo :: v_dual_cndmask_b32 v9, v10, v9, vcc_lo
	s_clause 0x2
	global_load_b32 v6, v5, s[6:7] scale_offset
	global_load_b32 v7, v11, s[6:7] scale_offset
	;; [unrolled: 1-line block ×3, first 2 shown]
	s_or_b32 s1, s0, s1
	s_wait_loadcnt 0x3
	s_wait_xcnt 0x2
	v_subrev_nc_u32_e32 v5, s13, v1
	v_ashrrev_i32_e32 v1, 31, v0
	s_delay_alu instid0(VALU_DEP_2) | instskip(NEXT) | instid1(VALU_DEP_2)
	v_mad_u32 v10, v5, 3, s12
	v_lshlrev_b64_e32 v[12:13], 2, v[0:1]
	v_add_nc_u32_e32 v0, 0xc0, v0
	s_delay_alu instid0(VALU_DEP_2)
	v_add_nc_u64_e32 v[14:15], s[4:5], v[12:13]
	v_add_nc_u64_e32 v[16:17], s[8:9], v[12:13]
	s_wait_xcnt 0x1
	v_dual_add_nc_u32 v11, 1, v10 :: v_dual_add_nc_u32 v12, 2, v10
	s_wait_loadcnt 0x0
	global_store_b96 v[14:15], v[6:8], off
	global_store_b96 v[16:17], v[10:12], off
	s_wait_xcnt 0x0
	s_and_not1_b32 exec_lo, exec_lo, s1
	s_cbranch_execnz .LBB106_5
.LBB106_6:
	s_endpgm
	.section	.rodata,"a",@progbits
	.p2align	6, 0x0
	.amdhsa_kernel _ZN9rocsparseL32bsr2csr_block_per_row_2_7_kernelILj256ELj3EfiiEEv20rocsparse_direction_T3_S2_21rocsparse_index_base_PKT1_PKT2_PKS2_S2_S3_PS4_PS7_PS2_
		.amdhsa_group_segment_fixed_size 0
		.amdhsa_private_segment_fixed_size 0
		.amdhsa_kernarg_size 72
		.amdhsa_user_sgpr_count 2
		.amdhsa_user_sgpr_dispatch_ptr 0
		.amdhsa_user_sgpr_queue_ptr 0
		.amdhsa_user_sgpr_kernarg_segment_ptr 1
		.amdhsa_user_sgpr_dispatch_id 0
		.amdhsa_user_sgpr_kernarg_preload_length 0
		.amdhsa_user_sgpr_kernarg_preload_offset 0
		.amdhsa_user_sgpr_private_segment_size 0
		.amdhsa_wavefront_size32 1
		.amdhsa_uses_dynamic_stack 0
		.amdhsa_enable_private_segment 0
		.amdhsa_system_sgpr_workgroup_id_x 1
		.amdhsa_system_sgpr_workgroup_id_y 0
		.amdhsa_system_sgpr_workgroup_id_z 0
		.amdhsa_system_sgpr_workgroup_info 0
		.amdhsa_system_vgpr_workitem_id 0
		.amdhsa_next_free_vgpr 18
		.amdhsa_next_free_sgpr 15
		.amdhsa_named_barrier_count 0
		.amdhsa_reserve_vcc 1
		.amdhsa_float_round_mode_32 0
		.amdhsa_float_round_mode_16_64 0
		.amdhsa_float_denorm_mode_32 3
		.amdhsa_float_denorm_mode_16_64 3
		.amdhsa_fp16_overflow 0
		.amdhsa_memory_ordered 1
		.amdhsa_forward_progress 1
		.amdhsa_inst_pref_size 6
		.amdhsa_round_robin_scheduling 0
		.amdhsa_exception_fp_ieee_invalid_op 0
		.amdhsa_exception_fp_denorm_src 0
		.amdhsa_exception_fp_ieee_div_zero 0
		.amdhsa_exception_fp_ieee_overflow 0
		.amdhsa_exception_fp_ieee_underflow 0
		.amdhsa_exception_fp_ieee_inexact 0
		.amdhsa_exception_int_div_zero 0
	.end_amdhsa_kernel
	.section	.text._ZN9rocsparseL32bsr2csr_block_per_row_2_7_kernelILj256ELj3EfiiEEv20rocsparse_direction_T3_S2_21rocsparse_index_base_PKT1_PKT2_PKS2_S2_S3_PS4_PS7_PS2_,"axG",@progbits,_ZN9rocsparseL32bsr2csr_block_per_row_2_7_kernelILj256ELj3EfiiEEv20rocsparse_direction_T3_S2_21rocsparse_index_base_PKT1_PKT2_PKS2_S2_S3_PS4_PS7_PS2_,comdat
.Lfunc_end106:
	.size	_ZN9rocsparseL32bsr2csr_block_per_row_2_7_kernelILj256ELj3EfiiEEv20rocsparse_direction_T3_S2_21rocsparse_index_base_PKT1_PKT2_PKS2_S2_S3_PS4_PS7_PS2_, .Lfunc_end106-_ZN9rocsparseL32bsr2csr_block_per_row_2_7_kernelILj256ELj3EfiiEEv20rocsparse_direction_T3_S2_21rocsparse_index_base_PKT1_PKT2_PKS2_S2_S3_PS4_PS7_PS2_
                                        ; -- End function
	.set _ZN9rocsparseL32bsr2csr_block_per_row_2_7_kernelILj256ELj3EfiiEEv20rocsparse_direction_T3_S2_21rocsparse_index_base_PKT1_PKT2_PKS2_S2_S3_PS4_PS7_PS2_.num_vgpr, 18
	.set _ZN9rocsparseL32bsr2csr_block_per_row_2_7_kernelILj256ELj3EfiiEEv20rocsparse_direction_T3_S2_21rocsparse_index_base_PKT1_PKT2_PKS2_S2_S3_PS4_PS7_PS2_.num_agpr, 0
	.set _ZN9rocsparseL32bsr2csr_block_per_row_2_7_kernelILj256ELj3EfiiEEv20rocsparse_direction_T3_S2_21rocsparse_index_base_PKT1_PKT2_PKS2_S2_S3_PS4_PS7_PS2_.numbered_sgpr, 15
	.set _ZN9rocsparseL32bsr2csr_block_per_row_2_7_kernelILj256ELj3EfiiEEv20rocsparse_direction_T3_S2_21rocsparse_index_base_PKT1_PKT2_PKS2_S2_S3_PS4_PS7_PS2_.num_named_barrier, 0
	.set _ZN9rocsparseL32bsr2csr_block_per_row_2_7_kernelILj256ELj3EfiiEEv20rocsparse_direction_T3_S2_21rocsparse_index_base_PKT1_PKT2_PKS2_S2_S3_PS4_PS7_PS2_.private_seg_size, 0
	.set _ZN9rocsparseL32bsr2csr_block_per_row_2_7_kernelILj256ELj3EfiiEEv20rocsparse_direction_T3_S2_21rocsparse_index_base_PKT1_PKT2_PKS2_S2_S3_PS4_PS7_PS2_.uses_vcc, 1
	.set _ZN9rocsparseL32bsr2csr_block_per_row_2_7_kernelILj256ELj3EfiiEEv20rocsparse_direction_T3_S2_21rocsparse_index_base_PKT1_PKT2_PKS2_S2_S3_PS4_PS7_PS2_.uses_flat_scratch, 0
	.set _ZN9rocsparseL32bsr2csr_block_per_row_2_7_kernelILj256ELj3EfiiEEv20rocsparse_direction_T3_S2_21rocsparse_index_base_PKT1_PKT2_PKS2_S2_S3_PS4_PS7_PS2_.has_dyn_sized_stack, 0
	.set _ZN9rocsparseL32bsr2csr_block_per_row_2_7_kernelILj256ELj3EfiiEEv20rocsparse_direction_T3_S2_21rocsparse_index_base_PKT1_PKT2_PKS2_S2_S3_PS4_PS7_PS2_.has_recursion, 0
	.set _ZN9rocsparseL32bsr2csr_block_per_row_2_7_kernelILj256ELj3EfiiEEv20rocsparse_direction_T3_S2_21rocsparse_index_base_PKT1_PKT2_PKS2_S2_S3_PS4_PS7_PS2_.has_indirect_call, 0
	.section	.AMDGPU.csdata,"",@progbits
; Kernel info:
; codeLenInByte = 648
; TotalNumSgprs: 17
; NumVgprs: 18
; ScratchSize: 0
; MemoryBound: 0
; FloatMode: 240
; IeeeMode: 1
; LDSByteSize: 0 bytes/workgroup (compile time only)
; SGPRBlocks: 0
; VGPRBlocks: 1
; NumSGPRsForWavesPerEU: 17
; NumVGPRsForWavesPerEU: 18
; NamedBarCnt: 0
; Occupancy: 16
; WaveLimiterHint : 1
; COMPUTE_PGM_RSRC2:SCRATCH_EN: 0
; COMPUTE_PGM_RSRC2:USER_SGPR: 2
; COMPUTE_PGM_RSRC2:TRAP_HANDLER: 0
; COMPUTE_PGM_RSRC2:TGID_X_EN: 1
; COMPUTE_PGM_RSRC2:TGID_Y_EN: 0
; COMPUTE_PGM_RSRC2:TGID_Z_EN: 0
; COMPUTE_PGM_RSRC2:TIDIG_COMP_CNT: 0
	.section	.text._ZN9rocsparseL32bsr2csr_block_per_row_2_7_kernelILj256ELj4EfiiEEv20rocsparse_direction_T3_S2_21rocsparse_index_base_PKT1_PKT2_PKS2_S2_S3_PS4_PS7_PS2_,"axG",@progbits,_ZN9rocsparseL32bsr2csr_block_per_row_2_7_kernelILj256ELj4EfiiEEv20rocsparse_direction_T3_S2_21rocsparse_index_base_PKT1_PKT2_PKS2_S2_S3_PS4_PS7_PS2_,comdat
	.globl	_ZN9rocsparseL32bsr2csr_block_per_row_2_7_kernelILj256ELj4EfiiEEv20rocsparse_direction_T3_S2_21rocsparse_index_base_PKT1_PKT2_PKS2_S2_S3_PS4_PS7_PS2_ ; -- Begin function _ZN9rocsparseL32bsr2csr_block_per_row_2_7_kernelILj256ELj4EfiiEEv20rocsparse_direction_T3_S2_21rocsparse_index_base_PKT1_PKT2_PKS2_S2_S3_PS4_PS7_PS2_
	.p2align	8
	.type	_ZN9rocsparseL32bsr2csr_block_per_row_2_7_kernelILj256ELj4EfiiEEv20rocsparse_direction_T3_S2_21rocsparse_index_base_PKT1_PKT2_PKS2_S2_S3_PS4_PS7_PS2_,@function
_ZN9rocsparseL32bsr2csr_block_per_row_2_7_kernelILj256ELj4EfiiEEv20rocsparse_direction_T3_S2_21rocsparse_index_base_PKT1_PKT2_PKS2_S2_S3_PS4_PS7_PS2_: ; @_ZN9rocsparseL32bsr2csr_block_per_row_2_7_kernelILj256ELj4EfiiEEv20rocsparse_direction_T3_S2_21rocsparse_index_base_PKT1_PKT2_PKS2_S2_S3_PS4_PS7_PS2_
; %bb.0:
	s_load_b64 s[6:7], s[0:1], 0x18
	s_bfe_u32 s2, ttmp6, 0x4000c
	s_and_b32 s3, ttmp6, 15
	s_add_co_i32 s2, s2, 1
	s_getreg_b32 s4, hwreg(HW_REG_IB_STS2, 6, 4)
	s_mul_i32 s2, ttmp9, s2
	s_delay_alu instid0(SALU_CYCLE_1)
	s_add_co_i32 s3, s3, s2
	s_cmp_eq_u32 s4, 0
	s_cselect_b32 s4, ttmp9, s3
	s_clause 0x1
	s_load_b32 s14, s[0:1], 0x2c
	s_load_b64 s[2:3], s[0:1], 0x38
	s_ashr_i32 s5, s4, 31
	v_or_b32_e32 v1, s4, v0
	s_lshl_b64 s[8:9], s[4:5], 2
	s_mov_b32 s5, exec_lo
	s_wait_kmcnt 0x0
	s_add_nc_u64 s[6:7], s[6:7], s[8:9]
	s_load_b64 s[12:13], s[6:7], 0x0
	v_cmpx_eq_u32_e32 0, v1
	s_cbranch_execz .LBB107_2
; %bb.1:
	v_dual_mov_b32 v1, 0 :: v_dual_mov_b32 v2, s14
	global_store_b32 v1, v2, s[2:3]
.LBB107_2:
	s_wait_xcnt 0x0
	s_or_b32 exec_lo, exec_lo, s5
	s_load_b32 s15, s[0:1], 0xc
	v_dual_lshrrev_b32 v1, 2, v0 :: v_dual_bitop2_b32 v2, 3, v0 bitop3:0x40
	s_delay_alu instid0(VALU_DEP_1) | instskip(NEXT) | instid1(VALU_DEP_1)
	v_lshl_or_b32 v3, s4, 2, v2
	v_add_nc_u32_e32 v3, 1, v3
	s_wait_kmcnt 0x0
	s_sub_co_i32 s16, s12, s15
	s_sub_co_i32 s13, s13, s15
	v_add_nc_u32_e32 v4, s16, v1
	s_sub_co_i32 s5, s13, s16
	s_delay_alu instid0(SALU_CYCLE_1) | instskip(NEXT) | instid1(SALU_CYCLE_1)
	s_lshl_b32 s5, s5, 2
	v_mul_lo_u32 v9, s5, v2
	s_delay_alu instid0(VALU_DEP_1) | instskip(NEXT) | instid1(VALU_DEP_1)
	v_lshl_add_u32 v8, s16, 4, v9
	v_add3_u32 v5, s5, s14, v8
	global_store_b32 v3, v5, s[2:3] scale_offset
	s_wait_xcnt 0x0
	s_mov_b32 s2, exec_lo
	v_cmpx_gt_i32_e64 s13, v4
	s_cbranch_execz .LBB107_12
; %bb.3:
	s_clause 0x2
	s_load_b64 s[4:5], s[0:1], 0x20
	s_load_b64 s[6:7], s[0:1], 0x30
	s_load_b32 s2, s[0:1], 0x0
	v_dual_add_nc_u32 v3, s12, v1 :: v_dual_lshlrev_b32 v6, 2, v2
	s_clause 0x1
	s_load_b64 s[8:9], s[0:1], 0x10
	s_load_b64 s[10:11], s[0:1], 0x40
	s_mov_b32 s18, exec_lo
	v_subrev_nc_u32_e32 v3, s15, v3
	s_delay_alu instid0(VALU_DEP_1) | instskip(SKIP_4) | instid1(SALU_CYCLE_1)
	v_add_max_i32_e64 v3, v3, 64, s13
	s_wait_kmcnt 0x0
	s_cmp_eq_u32 s2, 0
	s_cselect_b32 vcc_lo, -1, 0
	s_not_b32 s0, s12
	v_add3_u32 v3, s0, s15, v3
	s_delay_alu instid0(VALU_DEP_1) | instskip(NEXT) | instid1(VALU_DEP_1)
	v_sub_nc_u32_e32 v1, v3, v1
	v_cmp_gt_u32_e64 s17, 0x840, v1
	v_cmpx_lt_u32_e32 0x83f, v1
	s_cbranch_execz .LBB107_9
; %bb.4:
	v_and_b32_e32 v0, 0xfc, v0
	s_lshl_b32 s0, s12, 4
	v_and_b32_e32 v14, 0xffffffc0, v1
	v_cmp_gt_u32_e64 s2, 2.0, v1
	s_delay_alu instid0(VALU_DEP_3) | instskip(SKIP_2) | instid1(VALU_DEP_2)
	v_add3_u32 v3, v9, s0, v0
	v_lshrrev_b32_e32 v0, 6, v1
	s_lshl_b32 s0, s15, 4
	v_dual_add_nc_u32 v1, v4, v14 :: v_dual_bitop2_b32 v5, 1, v3 bitop3:0x54
	s_delay_alu instid0(VALU_DEP_2) | instskip(SKIP_2) | instid1(VALU_DEP_4)
	v_dual_lshlrev_b32 v7, 8, v0 :: v_dual_bitop2_b32 v11, 2, v3 bitop3:0x54
	v_subrev_nc_u32_e32 v10, s0, v3
	v_or_b32_e32 v3, 3, v3
	v_subrev_nc_u32_e32 v5, s0, v5
	s_delay_alu instid0(VALU_DEP_4) | instskip(NEXT) | instid1(VALU_DEP_4)
	v_subrev_nc_u32_e32 v11, s0, v11
	v_add_nc_u32_e32 v12, v10, v7
	s_delay_alu instid0(VALU_DEP_4) | instskip(NEXT) | instid1(VALU_DEP_4)
	v_subrev_nc_u32_e32 v3, s0, v3
	v_add_nc_u32_e32 v13, v5, v7
	s_delay_alu instid0(VALU_DEP_3) | instskip(SKIP_1) | instid1(VALU_DEP_3)
	v_cmp_ge_i32_e64 s0, v12, v10
	v_add_nc_u32_e32 v10, v11, v7
	v_cmp_ge_i32_e64 s1, v13, v5
	v_add_nc_u32_e32 v5, v3, v7
	s_delay_alu instid0(VALU_DEP_3)
	v_cmp_ge_i32_e64 s3, v10, v11
	s_and_b32 s1, s1, s0
	v_cmp_ge_i32_e64 s0, v5, v3
	s_and_b32 s2, s1, s2
	;; [unrolled: 2-line block ×3, first 2 shown]
	s_delay_alu instid0(SALU_CYCLE_1) | instskip(NEXT) | instid1(SALU_CYCLE_1)
	s_and_b32 s0, s0, s2
	s_and_b32 s2, s0, s1
	s_mov_b32 s0, -1
	s_and_saveexec_b32 s1, s2
	s_cbranch_execz .LBB107_8
; %bb.5:
	v_dual_mov_b32 v1, v6 :: v_dual_add_nc_u32 v0, 1, v0
	v_dual_add_nc_u32 v5, 64, v4 :: v_dual_mov_b32 v3, v8
	v_dual_mov_b32 v7, v2 :: v_dual_mov_b32 v11, 0
	s_delay_alu instid0(VALU_DEP_3) | instskip(NEXT) | instid1(VALU_DEP_3)
	v_and_b32_e32 v14, 0x7fffffe, v0
	v_mov_b64_e32 v[12:13], v[4:5]
	s_mov_b32 s2, s15
	s_mov_b32 s3, s16
	;; [unrolled: 1-line block ×3, first 2 shown]
	v_mov_b32_e32 v15, v14
	s_mov_b32 s19, 0
.LBB107_6:                              ; =>This Inner Loop Header: Depth=1
	s_clause 0x1
	global_load_b32 v5, v12, s[4:5] scale_offset
	global_load_b32 v28, v13, s[4:5] scale_offset
	v_dual_lshlrev_b32 v10, 4, v13 :: v_dual_lshlrev_b32 v16, 4, v12
	v_dual_mov_b32 v17, v11 :: v_dual_mov_b32 v19, v11
	v_dual_mov_b32 v21, v11 :: v_dual_mov_b32 v23, v11
	s_delay_alu instid0(VALU_DEP_3) | instskip(NEXT) | instid1(VALU_DEP_4)
	v_or_b32_e32 v24, v16, v6
	v_dual_add_nc_u32 v15, -2, v15 :: v_dual_bitop2_b32 v22, v10, v1 bitop3:0x54
	s_delay_alu instid0(VALU_DEP_2) | instskip(SKIP_2) | instid1(VALU_DEP_4)
	v_or_b32_e32 v27, 1, v24
	v_or_b32_e32 v20, v16, v2
	;; [unrolled: 1-line block ×4, first 2 shown]
	v_cmp_eq_u32_e64 s0, 0, v15
	s_delay_alu instid0(VALU_DEP_3) | instskip(SKIP_2) | instid1(VALU_DEP_2)
	v_dual_cndmask_b32 v10, v20, v24, vcc_lo :: v_dual_cndmask_b32 v16, v18, v22, vcc_lo
	v_or_b32_e32 v36, 12, v18
	s_or_b32 s19, s0, s19
	v_lshl_add_u64 v[16:17], v[16:17], 2, s[8:9]
	s_wait_loadcnt 0x1
	v_subrev_nc_u32_e32 v5, s15, v5
	s_wait_loadcnt 0x0
	v_subrev_nc_u32_e32 v28, s2, v28
	s_delay_alu instid0(VALU_DEP_2)
	v_lshl_add_u32 v5, v5, 2, s14
	v_or_b32_e32 v32, 2, v24
	v_or_b32_e32 v29, 4, v18
	;; [unrolled: 1-line block ×4, first 2 shown]
	v_lshl_add_u32 v28, v28, 2, s20
	v_or_b32_e32 v33, 8, v18
	v_cndmask_b32_e32 v18, v29, v26, vcc_lo
	v_or_b32_e32 v31, 2, v22
	v_or_b32_e32 v22, 3, v22
	v_lshl_add_u64 v[24:25], v[10:11], 2, s[8:9]
	s_delay_alu instid0(VALU_DEP_2) | instskip(SKIP_3) | instid1(VALU_DEP_4)
	v_dual_cndmask_b32 v22, v36, v22, vcc_lo :: v_dual_cndmask_b32 v10, v30, v27, vcc_lo
	v_or_b32_e32 v34, 8, v20
	v_dual_cndmask_b32 v20, v33, v31, vcc_lo :: v_dual_bitop2_b32 v37, 12, v20 bitop3:0x54
	v_add_nc_u32_e32 v33, 1, v5
	v_lshl_add_u64 v[26:27], v[10:11], 2, s[8:9]
	s_delay_alu instid0(VALU_DEP_4)
	v_cndmask_b32_e32 v10, v34, v32, vcc_lo
	s_clause 0x1
	global_load_b32 v29, v[24:25], off
	global_load_b32 v30, v[16:17], off
	s_wait_xcnt 0x0
	v_lshl_add_u64 v[16:17], v[18:19], 2, s[8:9]
	v_lshl_add_u64 v[18:19], v[20:21], 2, s[8:9]
	;; [unrolled: 1-line block ×4, first 2 shown]
	v_cndmask_b32_e32 v10, v37, v35, vcc_lo
	s_clause 0x1
	global_load_b32 v24, v[26:27], off
	global_load_b32 v25, v[16:17], off
	v_dual_add_nc_u32 v32, 1, v28 :: v_dual_add_nc_u32 v34, 2, v28
	v_add_nc_u32_e32 v35, 2, v5
	s_wait_xcnt 0x0
	v_lshl_add_u64 v[16:17], v[10:11], 2, s[8:9]
	s_clause 0x3
	global_load_b32 v10, v[22:23], off
	global_load_b32 v26, v[18:19], off
	;; [unrolled: 1-line block ×4, first 2 shown]
	s_wait_xcnt 0x1
	v_subrev_nc_u32_e32 v17, s16, v12
	v_subrev_nc_u32_e32 v16, s3, v13
	v_add_nc_u32_e32 v13, 0x80, v13
	v_add_nc_u32_e32 v12, 0x80, v12
	;; [unrolled: 1-line block ×3, first 2 shown]
	v_lshl_add_u32 v17, v17, 2, v8
	v_lshl_add_u32 v16, v16, 2, v3
	v_add_nc_u32_e32 v37, 3, v5
	s_delay_alu instid0(VALU_DEP_3) | instskip(NEXT) | instid1(VALU_DEP_3)
	v_or_b32_e32 v19, 1, v17
	v_or_b32_e32 v18, 1, v16
	s_wait_xcnt 0x0
	v_or_b32_e32 v20, 2, v16
	v_or_b32_e32 v21, 2, v17
	;; [unrolled: 1-line block ×4, first 2 shown]
	global_store_b32 v17, v5, s[10:11] scale_offset
	s_wait_loadcnt 0x7
	global_store_b32 v17, v29, s[6:7] scale_offset
	global_store_b32 v16, v28, s[10:11] scale_offset
	s_wait_loadcnt 0x6
	global_store_b32 v16, v30, s[6:7] scale_offset
	;; [unrolled: 3-line block ×8, first 2 shown]
	s_wait_xcnt 0x0
	s_and_not1_b32 exec_lo, exec_lo, s19
	s_cbranch_execnz .LBB107_6
; %bb.7:
	s_or_b32 exec_lo, exec_lo, s19
	v_cmp_ne_u32_e64 s0, v0, v14
	v_lshl_add_u32 v4, v14, 6, v4
	s_or_not1_b32 s0, s0, exec_lo
.LBB107_8:
	s_or_b32 exec_lo, exec_lo, s1
	s_delay_alu instid0(SALU_CYCLE_1) | instskip(SKIP_1) | instid1(SALU_CYCLE_1)
	s_and_not1_b32 s1, s17, exec_lo
	s_and_b32 s0, s0, exec_lo
	s_or_b32 s17, s1, s0
.LBB107_9:
	s_or_b32 exec_lo, exec_lo, s18
	s_delay_alu instid0(SALU_CYCLE_1)
	s_and_b32 exec_lo, exec_lo, s17
	s_cbranch_execz .LBB107_12
; %bb.10:
	v_dual_lshlrev_b32 v0, 2, v4 :: v_dual_lshlrev_b32 v3, 4, v4
	s_mul_i32 s0, s12, 12
	s_mov_b32 s1, 0
	s_delay_alu instid0(VALU_DEP_1)
	v_add3_u32 v0, v9, s0, v0
	s_mul_i32 s0, s15, 12
	s_delay_alu instid0(VALU_DEP_1) | instid1(SALU_CYCLE_1)
	v_subrev_nc_u32_e32 v0, s0, v0
.LBB107_11:                             ; =>This Inner Loop Header: Depth=1
	global_load_b32 v7, v4, s[4:5] scale_offset
	v_add_nc_u32_e32 v5, v2, v3
	s_wait_xcnt 0x0
	v_dual_add_nc_u32 v1, v6, v3 :: v_dual_add_nc_u32 v4, 64, v4
	v_add_nc_u32_e32 v3, 0x400, v3
	s_delay_alu instid0(VALU_DEP_3) | instskip(NEXT) | instid1(VALU_DEP_3)
	v_add_nc_u32_e32 v9, 4, v5
	v_dual_add_nc_u32 v8, 1, v1 :: v_dual_add_nc_u32 v10, 2, v1
	v_add_nc_u32_e32 v12, 3, v1
	v_dual_add_nc_u32 v11, 8, v5 :: v_dual_add_nc_u32 v13, 12, v5
	v_cndmask_b32_e32 v1, v5, v1, vcc_lo
	s_delay_alu instid0(VALU_DEP_4) | instskip(SKIP_1) | instid1(VALU_DEP_4)
	v_cndmask_b32_e32 v5, v9, v8, vcc_lo
	v_cmp_le_i32_e64 s0, s13, v4
	v_dual_cndmask_b32 v14, v11, v10, vcc_lo :: v_dual_cndmask_b32 v12, v13, v12, vcc_lo
	s_clause 0x3
	global_load_b32 v8, v1, s[8:9] scale_offset
	global_load_b32 v9, v5, s[8:9] scale_offset
	;; [unrolled: 1-line block ×4, first 2 shown]
	s_wait_xcnt 0x3
	v_ashrrev_i32_e32 v1, 31, v0
	s_or_b32 s1, s0, s1
	s_wait_xcnt 0x1
	s_delay_alu instid0(VALU_DEP_1) | instskip(SKIP_1) | instid1(VALU_DEP_2)
	v_lshlrev_b64_e32 v[14:15], 2, v[0:1]
	v_add_nc_u32_e32 v0, 0x100, v0
	v_add_nc_u64_e32 v[16:17], s[10:11], v[14:15]
	v_add_nc_u64_e32 v[18:19], s[6:7], v[14:15]
	s_wait_loadcnt 0x4
	v_subrev_nc_u32_e32 v1, s15, v7
	s_wait_xcnt 0x0
	s_delay_alu instid0(VALU_DEP_1) | instskip(NEXT) | instid1(VALU_DEP_1)
	v_lshl_add_u32 v12, v1, 2, s14
	v_dual_add_nc_u32 v14, 2, v12 :: v_dual_add_nc_u32 v13, 1, v12
	v_add_nc_u32_e32 v15, 3, v12
	global_store_b128 v[16:17], v[12:15], off
	s_wait_loadcnt 0x0
	global_store_b128 v[18:19], v[8:11], off
	s_wait_xcnt 0x0
	s_and_not1_b32 exec_lo, exec_lo, s1
	s_cbranch_execnz .LBB107_11
.LBB107_12:
	s_endpgm
	.section	.rodata,"a",@progbits
	.p2align	6, 0x0
	.amdhsa_kernel _ZN9rocsparseL32bsr2csr_block_per_row_2_7_kernelILj256ELj4EfiiEEv20rocsparse_direction_T3_S2_21rocsparse_index_base_PKT1_PKT2_PKS2_S2_S3_PS4_PS7_PS2_
		.amdhsa_group_segment_fixed_size 0
		.amdhsa_private_segment_fixed_size 0
		.amdhsa_kernarg_size 72
		.amdhsa_user_sgpr_count 2
		.amdhsa_user_sgpr_dispatch_ptr 0
		.amdhsa_user_sgpr_queue_ptr 0
		.amdhsa_user_sgpr_kernarg_segment_ptr 1
		.amdhsa_user_sgpr_dispatch_id 0
		.amdhsa_user_sgpr_kernarg_preload_length 0
		.amdhsa_user_sgpr_kernarg_preload_offset 0
		.amdhsa_user_sgpr_private_segment_size 0
		.amdhsa_wavefront_size32 1
		.amdhsa_uses_dynamic_stack 0
		.amdhsa_enable_private_segment 0
		.amdhsa_system_sgpr_workgroup_id_x 1
		.amdhsa_system_sgpr_workgroup_id_y 0
		.amdhsa_system_sgpr_workgroup_id_z 0
		.amdhsa_system_sgpr_workgroup_info 0
		.amdhsa_system_vgpr_workitem_id 0
		.amdhsa_next_free_vgpr 38
		.amdhsa_next_free_sgpr 21
		.amdhsa_named_barrier_count 0
		.amdhsa_reserve_vcc 1
		.amdhsa_float_round_mode_32 0
		.amdhsa_float_round_mode_16_64 0
		.amdhsa_float_denorm_mode_32 3
		.amdhsa_float_denorm_mode_16_64 3
		.amdhsa_fp16_overflow 0
		.amdhsa_memory_ordered 1
		.amdhsa_forward_progress 1
		.amdhsa_inst_pref_size 15
		.amdhsa_round_robin_scheduling 0
		.amdhsa_exception_fp_ieee_invalid_op 0
		.amdhsa_exception_fp_denorm_src 0
		.amdhsa_exception_fp_ieee_div_zero 0
		.amdhsa_exception_fp_ieee_overflow 0
		.amdhsa_exception_fp_ieee_underflow 0
		.amdhsa_exception_fp_ieee_inexact 0
		.amdhsa_exception_int_div_zero 0
	.end_amdhsa_kernel
	.section	.text._ZN9rocsparseL32bsr2csr_block_per_row_2_7_kernelILj256ELj4EfiiEEv20rocsparse_direction_T3_S2_21rocsparse_index_base_PKT1_PKT2_PKS2_S2_S3_PS4_PS7_PS2_,"axG",@progbits,_ZN9rocsparseL32bsr2csr_block_per_row_2_7_kernelILj256ELj4EfiiEEv20rocsparse_direction_T3_S2_21rocsparse_index_base_PKT1_PKT2_PKS2_S2_S3_PS4_PS7_PS2_,comdat
.Lfunc_end107:
	.size	_ZN9rocsparseL32bsr2csr_block_per_row_2_7_kernelILj256ELj4EfiiEEv20rocsparse_direction_T3_S2_21rocsparse_index_base_PKT1_PKT2_PKS2_S2_S3_PS4_PS7_PS2_, .Lfunc_end107-_ZN9rocsparseL32bsr2csr_block_per_row_2_7_kernelILj256ELj4EfiiEEv20rocsparse_direction_T3_S2_21rocsparse_index_base_PKT1_PKT2_PKS2_S2_S3_PS4_PS7_PS2_
                                        ; -- End function
	.set _ZN9rocsparseL32bsr2csr_block_per_row_2_7_kernelILj256ELj4EfiiEEv20rocsparse_direction_T3_S2_21rocsparse_index_base_PKT1_PKT2_PKS2_S2_S3_PS4_PS7_PS2_.num_vgpr, 38
	.set _ZN9rocsparseL32bsr2csr_block_per_row_2_7_kernelILj256ELj4EfiiEEv20rocsparse_direction_T3_S2_21rocsparse_index_base_PKT1_PKT2_PKS2_S2_S3_PS4_PS7_PS2_.num_agpr, 0
	.set _ZN9rocsparseL32bsr2csr_block_per_row_2_7_kernelILj256ELj4EfiiEEv20rocsparse_direction_T3_S2_21rocsparse_index_base_PKT1_PKT2_PKS2_S2_S3_PS4_PS7_PS2_.numbered_sgpr, 21
	.set _ZN9rocsparseL32bsr2csr_block_per_row_2_7_kernelILj256ELj4EfiiEEv20rocsparse_direction_T3_S2_21rocsparse_index_base_PKT1_PKT2_PKS2_S2_S3_PS4_PS7_PS2_.num_named_barrier, 0
	.set _ZN9rocsparseL32bsr2csr_block_per_row_2_7_kernelILj256ELj4EfiiEEv20rocsparse_direction_T3_S2_21rocsparse_index_base_PKT1_PKT2_PKS2_S2_S3_PS4_PS7_PS2_.private_seg_size, 0
	.set _ZN9rocsparseL32bsr2csr_block_per_row_2_7_kernelILj256ELj4EfiiEEv20rocsparse_direction_T3_S2_21rocsparse_index_base_PKT1_PKT2_PKS2_S2_S3_PS4_PS7_PS2_.uses_vcc, 1
	.set _ZN9rocsparseL32bsr2csr_block_per_row_2_7_kernelILj256ELj4EfiiEEv20rocsparse_direction_T3_S2_21rocsparse_index_base_PKT1_PKT2_PKS2_S2_S3_PS4_PS7_PS2_.uses_flat_scratch, 0
	.set _ZN9rocsparseL32bsr2csr_block_per_row_2_7_kernelILj256ELj4EfiiEEv20rocsparse_direction_T3_S2_21rocsparse_index_base_PKT1_PKT2_PKS2_S2_S3_PS4_PS7_PS2_.has_dyn_sized_stack, 0
	.set _ZN9rocsparseL32bsr2csr_block_per_row_2_7_kernelILj256ELj4EfiiEEv20rocsparse_direction_T3_S2_21rocsparse_index_base_PKT1_PKT2_PKS2_S2_S3_PS4_PS7_PS2_.has_recursion, 0
	.set _ZN9rocsparseL32bsr2csr_block_per_row_2_7_kernelILj256ELj4EfiiEEv20rocsparse_direction_T3_S2_21rocsparse_index_base_PKT1_PKT2_PKS2_S2_S3_PS4_PS7_PS2_.has_indirect_call, 0
	.section	.AMDGPU.csdata,"",@progbits
; Kernel info:
; codeLenInByte = 1824
; TotalNumSgprs: 23
; NumVgprs: 38
; ScratchSize: 0
; MemoryBound: 0
; FloatMode: 240
; IeeeMode: 1
; LDSByteSize: 0 bytes/workgroup (compile time only)
; SGPRBlocks: 0
; VGPRBlocks: 2
; NumSGPRsForWavesPerEU: 23
; NumVGPRsForWavesPerEU: 38
; NamedBarCnt: 0
; Occupancy: 16
; WaveLimiterHint : 0
; COMPUTE_PGM_RSRC2:SCRATCH_EN: 0
; COMPUTE_PGM_RSRC2:USER_SGPR: 2
; COMPUTE_PGM_RSRC2:TRAP_HANDLER: 0
; COMPUTE_PGM_RSRC2:TGID_X_EN: 1
; COMPUTE_PGM_RSRC2:TGID_Y_EN: 0
; COMPUTE_PGM_RSRC2:TGID_Z_EN: 0
; COMPUTE_PGM_RSRC2:TIDIG_COMP_CNT: 0
	.section	.text._ZN9rocsparseL32bsr2csr_block_per_row_2_7_kernelILj256ELj5EfiiEEv20rocsparse_direction_T3_S2_21rocsparse_index_base_PKT1_PKT2_PKS2_S2_S3_PS4_PS7_PS2_,"axG",@progbits,_ZN9rocsparseL32bsr2csr_block_per_row_2_7_kernelILj256ELj5EfiiEEv20rocsparse_direction_T3_S2_21rocsparse_index_base_PKT1_PKT2_PKS2_S2_S3_PS4_PS7_PS2_,comdat
	.globl	_ZN9rocsparseL32bsr2csr_block_per_row_2_7_kernelILj256ELj5EfiiEEv20rocsparse_direction_T3_S2_21rocsparse_index_base_PKT1_PKT2_PKS2_S2_S3_PS4_PS7_PS2_ ; -- Begin function _ZN9rocsparseL32bsr2csr_block_per_row_2_7_kernelILj256ELj5EfiiEEv20rocsparse_direction_T3_S2_21rocsparse_index_base_PKT1_PKT2_PKS2_S2_S3_PS4_PS7_PS2_
	.p2align	8
	.type	_ZN9rocsparseL32bsr2csr_block_per_row_2_7_kernelILj256ELj5EfiiEEv20rocsparse_direction_T3_S2_21rocsparse_index_base_PKT1_PKT2_PKS2_S2_S3_PS4_PS7_PS2_,@function
_ZN9rocsparseL32bsr2csr_block_per_row_2_7_kernelILj256ELj5EfiiEEv20rocsparse_direction_T3_S2_21rocsparse_index_base_PKT1_PKT2_PKS2_S2_S3_PS4_PS7_PS2_: ; @_ZN9rocsparseL32bsr2csr_block_per_row_2_7_kernelILj256ELj5EfiiEEv20rocsparse_direction_T3_S2_21rocsparse_index_base_PKT1_PKT2_PKS2_S2_S3_PS4_PS7_PS2_
; %bb.0:
	s_clause 0x1
	s_load_b32 s12, s[0:1], 0x2c
	s_load_b64 s[2:3], s[0:1], 0x38
	s_bfe_u32 s4, ttmp6, 0x4000c
	s_and_b32 s5, ttmp6, 15
	s_add_co_i32 s4, s4, 1
	s_getreg_b32 s6, hwreg(HW_REG_IB_STS2, 6, 4)
	s_mul_i32 s4, ttmp9, s4
	s_delay_alu instid0(SALU_CYCLE_1) | instskip(SKIP_4) | instid1(VALU_DEP_1)
	s_add_co_i32 s5, s5, s4
	s_cmp_eq_u32 s6, 0
	s_cselect_b32 s4, ttmp9, s5
	s_mov_b32 s5, exec_lo
	v_or_b32_e32 v1, s4, v0
	v_cmpx_eq_u32_e32 0, v1
	s_cbranch_execz .LBB108_2
; %bb.1:
	s_wait_kmcnt 0x0
	v_dual_mov_b32 v1, 0 :: v_dual_mov_b32 v2, s12
	global_store_b32 v1, v2, s[2:3]
.LBB108_2:
	s_wait_xcnt 0x0
	s_or_b32 exec_lo, exec_lo, s5
	v_and_b32_e32 v1, 7, v0
	s_mov_b32 s5, exec_lo
	s_delay_alu instid0(VALU_DEP_1)
	v_cmpx_gt_u32_e32 5, v1
	s_cbranch_execz .LBB108_6
; %bb.3:
	s_clause 0x1
	s_load_b64 s[6:7], s[0:1], 0x18
	s_load_b32 s13, s[0:1], 0xc
	s_ashr_i32 s5, s4, 31
	v_lshrrev_b32_e32 v0, 3, v0
	s_lshl_b64 s[8:9], s[4:5], 2
	s_mul_i32 s4, s4, 5
	s_delay_alu instid0(SALU_CYCLE_1)
	v_add3_u32 v5, v1, s4, 1
	s_wait_kmcnt 0x0
	s_add_nc_u64 s[6:7], s[6:7], s[8:9]
	s_load_b64 s[10:11], s[6:7], 0x0
	s_wait_kmcnt 0x0
	s_sub_co_i32 s5, s10, s13
	s_sub_co_i32 s11, s11, s13
	v_add_nc_u32_e32 v2, s5, v0
	s_sub_co_i32 s6, s11, s5
	s_mul_i32 s7, s5, 25
	s_mul_i32 s6, s6, 5
	s_delay_alu instid0(SALU_CYCLE_1) | instskip(SKIP_2) | instid1(VALU_DEP_2)
	v_mul_lo_u32 v3, s6, v1
	s_add_co_i32 s6, s6, s12
	v_cmp_gt_i32_e32 vcc_lo, s11, v2
	v_add3_u32 v4, s6, s7, v3
	global_store_b32 v5, v4, s[2:3] scale_offset
	s_wait_xcnt 0x0
	s_and_b32 exec_lo, exec_lo, vcc_lo
	s_cbranch_execz .LBB108_6
; %bb.4:
	s_clause 0x2
	s_load_b64 s[2:3], s[0:1], 0x20
	s_load_b64 s[4:5], s[0:1], 0x30
	s_load_b32 s14, s[0:1], 0x0
	v_add_nc_u32_e32 v4, s10, v0
	v_mul_u32_u24_e32 v5, 5, v1
	s_clause 0x1
	s_load_b64 s[6:7], s[0:1], 0x10
	s_load_b64 s[8:9], s[0:1], 0x40
	v_mul_u32_u24_e32 v0, 5, v0
	s_wait_xcnt 0x0
	s_mul_i32 s0, s10, 25
	s_mov_b32 s1, 0
	v_mad_u32 v4, v4, 25, v5
	s_mov_b32 s10, 0
	v_add3_u32 v0, v3, s0, v0
	v_mad_u32 v3, v2, 25, v1
	s_mul_i32 s0, s13, 25
	s_delay_alu instid0(VALU_DEP_2) | instid1(SALU_CYCLE_1)
	v_subrev_nc_u32_e32 v0, s0, v0
	s_delay_alu instid0(VALU_DEP_4)
	v_subrev_nc_u32_e32 v4, s0, v4
	s_wait_kmcnt 0x0
	s_cmp_eq_u32 s14, 0
	s_cselect_b32 vcc_lo, -1, 0
.LBB108_5:                              ; =>This Inner Loop Header: Depth=1
	global_load_b32 v5, v2, s[2:3] scale_offset
	v_dual_add_nc_u32 v1, s10, v4 :: v_dual_add_nc_u32 v6, s10, v3
	s_wait_xcnt 0x0
	v_add_nc_u32_e32 v2, 32, v2
	s_addk_co_i32 s10, 0x320
	s_delay_alu instid0(VALU_DEP_2) | instskip(SKIP_3) | instid1(VALU_DEP_3)
	v_dual_add_nc_u32 v9, 2, v1 :: v_dual_add_nc_u32 v10, 4, v1
	v_dual_add_nc_u32 v11, 20, v6 :: v_dual_add_nc_u32 v12, 10, v6
	;; [unrolled: 1-line block ×4, first 2 shown]
	v_dual_cndmask_b32 v1, v6, v1 :: v_dual_cndmask_b32 v10, v11, v10
	s_delay_alu instid0(VALU_DEP_3) | instskip(SKIP_1) | instid1(VALU_DEP_4)
	v_cndmask_b32_e32 v11, v8, v7, vcc_lo
	v_cndmask_b32_e32 v12, v12, v9, vcc_lo
	;; [unrolled: 1-line block ×3, first 2 shown]
	s_clause 0x4
	global_load_b32 v6, v1, s[6:7] scale_offset
	global_load_b32 v18, v10, s[6:7] scale_offset
	;; [unrolled: 1-line block ×5, first 2 shown]
	s_wait_xcnt 0x4
	v_ashrrev_i32_e32 v1, 31, v0
	v_cmp_le_i32_e64 s0, s11, v2
	s_delay_alu instid0(VALU_DEP_2) | instskip(SKIP_1) | instid1(VALU_DEP_1)
	v_lshlrev_b64_e32 v[14:15], 2, v[0:1]
	s_or_b32 s1, s0, s1
	v_add_nc_u64_e32 v[16:17], s[8:9], v[14:15]
	v_add_nc_u64_e32 v[14:15], s[4:5], v[14:15]
	s_wait_loadcnt 0x5
	v_subrev_nc_u32_e32 v1, s13, v5
	s_wait_xcnt 0x3
	s_delay_alu instid0(VALU_DEP_1) | instskip(SKIP_1) | instid1(VALU_DEP_1)
	v_mad_u32 v10, v1, 5, s12
	s_wait_xcnt 0x1
	v_dual_add_nc_u32 v11, 1, v10 :: v_dual_add_nc_u32 v12, 2, v10
	s_wait_xcnt 0x0
	v_dual_add_nc_u32 v13, 3, v10 :: v_dual_add_nc_u32 v1, 4, v10
	s_clause 0x1
	global_store_b128 v[16:17], v[10:13], off
	global_store_b32 v0, v1, s[8:9] offset:16 scale_offset
	s_wait_loadcnt 0x3
	global_store_b32 v0, v18, s[4:5] offset:16 scale_offset
	s_wait_xcnt 0x0
	v_add_nc_u32_e32 v0, 0xa0, v0
	s_wait_loadcnt 0x0
	global_store_b128 v[14:15], v[6:9], off
	s_wait_xcnt 0x0
	s_and_not1_b32 exec_lo, exec_lo, s1
	s_cbranch_execnz .LBB108_5
.LBB108_6:
	s_endpgm
	.section	.rodata,"a",@progbits
	.p2align	6, 0x0
	.amdhsa_kernel _ZN9rocsparseL32bsr2csr_block_per_row_2_7_kernelILj256ELj5EfiiEEv20rocsparse_direction_T3_S2_21rocsparse_index_base_PKT1_PKT2_PKS2_S2_S3_PS4_PS7_PS2_
		.amdhsa_group_segment_fixed_size 0
		.amdhsa_private_segment_fixed_size 0
		.amdhsa_kernarg_size 72
		.amdhsa_user_sgpr_count 2
		.amdhsa_user_sgpr_dispatch_ptr 0
		.amdhsa_user_sgpr_queue_ptr 0
		.amdhsa_user_sgpr_kernarg_segment_ptr 1
		.amdhsa_user_sgpr_dispatch_id 0
		.amdhsa_user_sgpr_kernarg_preload_length 0
		.amdhsa_user_sgpr_kernarg_preload_offset 0
		.amdhsa_user_sgpr_private_segment_size 0
		.amdhsa_wavefront_size32 1
		.amdhsa_uses_dynamic_stack 0
		.amdhsa_enable_private_segment 0
		.amdhsa_system_sgpr_workgroup_id_x 1
		.amdhsa_system_sgpr_workgroup_id_y 0
		.amdhsa_system_sgpr_workgroup_id_z 0
		.amdhsa_system_sgpr_workgroup_info 0
		.amdhsa_system_vgpr_workitem_id 0
		.amdhsa_next_free_vgpr 19
		.amdhsa_next_free_sgpr 15
		.amdhsa_named_barrier_count 0
		.amdhsa_reserve_vcc 1
		.amdhsa_float_round_mode_32 0
		.amdhsa_float_round_mode_16_64 0
		.amdhsa_float_denorm_mode_32 3
		.amdhsa_float_denorm_mode_16_64 3
		.amdhsa_fp16_overflow 0
		.amdhsa_memory_ordered 1
		.amdhsa_forward_progress 1
		.amdhsa_inst_pref_size 6
		.amdhsa_round_robin_scheduling 0
		.amdhsa_exception_fp_ieee_invalid_op 0
		.amdhsa_exception_fp_denorm_src 0
		.amdhsa_exception_fp_ieee_div_zero 0
		.amdhsa_exception_fp_ieee_overflow 0
		.amdhsa_exception_fp_ieee_underflow 0
		.amdhsa_exception_fp_ieee_inexact 0
		.amdhsa_exception_int_div_zero 0
	.end_amdhsa_kernel
	.section	.text._ZN9rocsparseL32bsr2csr_block_per_row_2_7_kernelILj256ELj5EfiiEEv20rocsparse_direction_T3_S2_21rocsparse_index_base_PKT1_PKT2_PKS2_S2_S3_PS4_PS7_PS2_,"axG",@progbits,_ZN9rocsparseL32bsr2csr_block_per_row_2_7_kernelILj256ELj5EfiiEEv20rocsparse_direction_T3_S2_21rocsparse_index_base_PKT1_PKT2_PKS2_S2_S3_PS4_PS7_PS2_,comdat
.Lfunc_end108:
	.size	_ZN9rocsparseL32bsr2csr_block_per_row_2_7_kernelILj256ELj5EfiiEEv20rocsparse_direction_T3_S2_21rocsparse_index_base_PKT1_PKT2_PKS2_S2_S3_PS4_PS7_PS2_, .Lfunc_end108-_ZN9rocsparseL32bsr2csr_block_per_row_2_7_kernelILj256ELj5EfiiEEv20rocsparse_direction_T3_S2_21rocsparse_index_base_PKT1_PKT2_PKS2_S2_S3_PS4_PS7_PS2_
                                        ; -- End function
	.set _ZN9rocsparseL32bsr2csr_block_per_row_2_7_kernelILj256ELj5EfiiEEv20rocsparse_direction_T3_S2_21rocsparse_index_base_PKT1_PKT2_PKS2_S2_S3_PS4_PS7_PS2_.num_vgpr, 19
	.set _ZN9rocsparseL32bsr2csr_block_per_row_2_7_kernelILj256ELj5EfiiEEv20rocsparse_direction_T3_S2_21rocsparse_index_base_PKT1_PKT2_PKS2_S2_S3_PS4_PS7_PS2_.num_agpr, 0
	.set _ZN9rocsparseL32bsr2csr_block_per_row_2_7_kernelILj256ELj5EfiiEEv20rocsparse_direction_T3_S2_21rocsparse_index_base_PKT1_PKT2_PKS2_S2_S3_PS4_PS7_PS2_.numbered_sgpr, 15
	.set _ZN9rocsparseL32bsr2csr_block_per_row_2_7_kernelILj256ELj5EfiiEEv20rocsparse_direction_T3_S2_21rocsparse_index_base_PKT1_PKT2_PKS2_S2_S3_PS4_PS7_PS2_.num_named_barrier, 0
	.set _ZN9rocsparseL32bsr2csr_block_per_row_2_7_kernelILj256ELj5EfiiEEv20rocsparse_direction_T3_S2_21rocsparse_index_base_PKT1_PKT2_PKS2_S2_S3_PS4_PS7_PS2_.private_seg_size, 0
	.set _ZN9rocsparseL32bsr2csr_block_per_row_2_7_kernelILj256ELj5EfiiEEv20rocsparse_direction_T3_S2_21rocsparse_index_base_PKT1_PKT2_PKS2_S2_S3_PS4_PS7_PS2_.uses_vcc, 1
	.set _ZN9rocsparseL32bsr2csr_block_per_row_2_7_kernelILj256ELj5EfiiEEv20rocsparse_direction_T3_S2_21rocsparse_index_base_PKT1_PKT2_PKS2_S2_S3_PS4_PS7_PS2_.uses_flat_scratch, 0
	.set _ZN9rocsparseL32bsr2csr_block_per_row_2_7_kernelILj256ELj5EfiiEEv20rocsparse_direction_T3_S2_21rocsparse_index_base_PKT1_PKT2_PKS2_S2_S3_PS4_PS7_PS2_.has_dyn_sized_stack, 0
	.set _ZN9rocsparseL32bsr2csr_block_per_row_2_7_kernelILj256ELj5EfiiEEv20rocsparse_direction_T3_S2_21rocsparse_index_base_PKT1_PKT2_PKS2_S2_S3_PS4_PS7_PS2_.has_recursion, 0
	.set _ZN9rocsparseL32bsr2csr_block_per_row_2_7_kernelILj256ELj5EfiiEEv20rocsparse_direction_T3_S2_21rocsparse_index_base_PKT1_PKT2_PKS2_S2_S3_PS4_PS7_PS2_.has_indirect_call, 0
	.section	.AMDGPU.csdata,"",@progbits
; Kernel info:
; codeLenInByte = 760
; TotalNumSgprs: 17
; NumVgprs: 19
; ScratchSize: 0
; MemoryBound: 0
; FloatMode: 240
; IeeeMode: 1
; LDSByteSize: 0 bytes/workgroup (compile time only)
; SGPRBlocks: 0
; VGPRBlocks: 1
; NumSGPRsForWavesPerEU: 17
; NumVGPRsForWavesPerEU: 19
; NamedBarCnt: 0
; Occupancy: 16
; WaveLimiterHint : 1
; COMPUTE_PGM_RSRC2:SCRATCH_EN: 0
; COMPUTE_PGM_RSRC2:USER_SGPR: 2
; COMPUTE_PGM_RSRC2:TRAP_HANDLER: 0
; COMPUTE_PGM_RSRC2:TGID_X_EN: 1
; COMPUTE_PGM_RSRC2:TGID_Y_EN: 0
; COMPUTE_PGM_RSRC2:TGID_Z_EN: 0
; COMPUTE_PGM_RSRC2:TIDIG_COMP_CNT: 0
	.section	.text._ZN9rocsparseL32bsr2csr_block_per_row_2_7_kernelILj256ELj6EfiiEEv20rocsparse_direction_T3_S2_21rocsparse_index_base_PKT1_PKT2_PKS2_S2_S3_PS4_PS7_PS2_,"axG",@progbits,_ZN9rocsparseL32bsr2csr_block_per_row_2_7_kernelILj256ELj6EfiiEEv20rocsparse_direction_T3_S2_21rocsparse_index_base_PKT1_PKT2_PKS2_S2_S3_PS4_PS7_PS2_,comdat
	.globl	_ZN9rocsparseL32bsr2csr_block_per_row_2_7_kernelILj256ELj6EfiiEEv20rocsparse_direction_T3_S2_21rocsparse_index_base_PKT1_PKT2_PKS2_S2_S3_PS4_PS7_PS2_ ; -- Begin function _ZN9rocsparseL32bsr2csr_block_per_row_2_7_kernelILj256ELj6EfiiEEv20rocsparse_direction_T3_S2_21rocsparse_index_base_PKT1_PKT2_PKS2_S2_S3_PS4_PS7_PS2_
	.p2align	8
	.type	_ZN9rocsparseL32bsr2csr_block_per_row_2_7_kernelILj256ELj6EfiiEEv20rocsparse_direction_T3_S2_21rocsparse_index_base_PKT1_PKT2_PKS2_S2_S3_PS4_PS7_PS2_,@function
_ZN9rocsparseL32bsr2csr_block_per_row_2_7_kernelILj256ELj6EfiiEEv20rocsparse_direction_T3_S2_21rocsparse_index_base_PKT1_PKT2_PKS2_S2_S3_PS4_PS7_PS2_: ; @_ZN9rocsparseL32bsr2csr_block_per_row_2_7_kernelILj256ELj6EfiiEEv20rocsparse_direction_T3_S2_21rocsparse_index_base_PKT1_PKT2_PKS2_S2_S3_PS4_PS7_PS2_
; %bb.0:
	s_clause 0x1
	s_load_b32 s12, s[0:1], 0x2c
	s_load_b64 s[2:3], s[0:1], 0x38
	s_bfe_u32 s4, ttmp6, 0x4000c
	s_and_b32 s5, ttmp6, 15
	s_add_co_i32 s4, s4, 1
	s_getreg_b32 s6, hwreg(HW_REG_IB_STS2, 6, 4)
	s_mul_i32 s4, ttmp9, s4
	s_delay_alu instid0(SALU_CYCLE_1) | instskip(SKIP_4) | instid1(VALU_DEP_1)
	s_add_co_i32 s5, s5, s4
	s_cmp_eq_u32 s6, 0
	s_cselect_b32 s4, ttmp9, s5
	s_mov_b32 s5, exec_lo
	v_or_b32_e32 v1, s4, v0
	v_cmpx_eq_u32_e32 0, v1
	s_cbranch_execz .LBB109_2
; %bb.1:
	s_wait_kmcnt 0x0
	v_dual_mov_b32 v1, 0 :: v_dual_mov_b32 v2, s12
	global_store_b32 v1, v2, s[2:3]
.LBB109_2:
	s_wait_xcnt 0x0
	s_or_b32 exec_lo, exec_lo, s5
	v_and_b32_e32 v1, 7, v0
	s_mov_b32 s5, exec_lo
	s_delay_alu instid0(VALU_DEP_1)
	v_cmpx_gt_u32_e32 6, v1
	s_cbranch_execz .LBB109_6
; %bb.3:
	s_clause 0x1
	s_load_b64 s[6:7], s[0:1], 0x18
	s_load_b32 s13, s[0:1], 0xc
	s_ashr_i32 s5, s4, 31
	v_lshrrev_b32_e32 v0, 3, v0
	s_lshl_b64 s[8:9], s[4:5], 2
	s_mul_i32 s4, s4, 6
	s_delay_alu instid0(SALU_CYCLE_1)
	v_add3_u32 v5, v1, s4, 1
	s_wait_kmcnt 0x0
	s_add_nc_u64 s[6:7], s[6:7], s[8:9]
	s_load_b64 s[10:11], s[6:7], 0x0
	s_wait_kmcnt 0x0
	s_sub_co_i32 s5, s10, s13
	s_sub_co_i32 s11, s11, s13
	v_add_nc_u32_e32 v2, s5, v0
	s_sub_co_i32 s6, s11, s5
	s_mul_i32 s7, s5, 36
	s_mul_i32 s6, s6, 6
	s_delay_alu instid0(SALU_CYCLE_1) | instskip(SKIP_2) | instid1(VALU_DEP_2)
	v_mul_lo_u32 v4, s6, v1
	s_add_co_i32 s6, s6, s12
	v_cmp_gt_i32_e32 vcc_lo, s11, v2
	v_add3_u32 v3, s6, s7, v4
	global_store_b32 v5, v3, s[2:3] scale_offset
	s_wait_xcnt 0x0
	s_and_b32 exec_lo, exec_lo, vcc_lo
	s_cbranch_execz .LBB109_6
; %bb.4:
	s_clause 0x4
	s_load_b64 s[2:3], s[0:1], 0x20
	s_load_b64 s[4:5], s[0:1], 0x30
	s_load_b32 s14, s[0:1], 0x0
	s_load_b64 s[6:7], s[0:1], 0x10
	s_load_b64 s[8:9], s[0:1], 0x40
	v_mul_u32_u24_e32 v0, 6, v0
	s_wait_xcnt 0x0
	s_mul_i32 s0, s10, 36
	v_mad_u32 v3, v2, 36, v1
	s_mov_b32 s1, 0
	v_add3_u32 v0, v4, s0, v0
	s_mul_i32 s0, s13, 36
	v_mul_u32_u24_e32 v4, 5, v1
	s_delay_alu instid0(VALU_DEP_2)
	v_subrev_nc_u32_e32 v0, s0, v0
	s_wait_kmcnt 0x0
	s_cmp_eq_u32 s14, 0
	s_cselect_b32 vcc_lo, -1, 0
.LBB109_5:                              ; =>This Inner Loop Header: Depth=1
	global_load_b32 v5, v2, s[2:3] scale_offset
	v_dual_add_nc_u32 v1, v4, v3 :: v_dual_add_nc_u32 v6, 6, v3
	v_dual_add_nc_u32 v7, 12, v3 :: v_dual_add_nc_u32 v8, 18, v3
	;; [unrolled: 1-line block ×3, first 2 shown]
	s_delay_alu instid0(VALU_DEP_3) | instskip(SKIP_2) | instid1(VALU_DEP_2)
	v_dual_cndmask_b32 v11, v3, v1 :: v_dual_add_nc_u32 v12, 1, v1
	v_dual_add_nc_u32 v13, 2, v1 :: v_dual_add_nc_u32 v14, 3, v1
	v_dual_add_nc_u32 v15, 4, v1 :: v_dual_add_nc_u32 v1, 5, v1
	v_dual_cndmask_b32 v12, v6, v12 :: v_dual_cndmask_b32 v13, v7, v13
	s_delay_alu instid0(VALU_DEP_2) | instskip(SKIP_1) | instid1(VALU_DEP_3)
	v_dual_cndmask_b32 v16, v8, v14 :: v_dual_cndmask_b32 v17, v9, v15
	s_wait_xcnt 0x0
	v_dual_cndmask_b32 v1, v10, v1 :: v_dual_add_nc_u32 v2, 32, v2
	s_clause 0x5
	global_load_b32 v6, v11, s[6:7] scale_offset
	global_load_b32 v7, v12, s[6:7] scale_offset
	;; [unrolled: 1-line block ×6, first 2 shown]
	v_add_nc_u32_e32 v3, 0x480, v3
	v_cmp_le_i32_e64 s0, s11, v2
	s_or_b32 s1, s0, s1
	s_wait_loadcnt 0x6
	v_subrev_nc_u32_e32 v5, s13, v5
	s_delay_alu instid0(VALU_DEP_1) | instskip(SKIP_1) | instid1(VALU_DEP_1)
	v_mad_u32 v10, v5, 6, s12
	s_wait_xcnt 0x0
	v_dual_ashrrev_i32 v1, 31, v0 :: v_dual_add_nc_u32 v11, 1, v10
	s_delay_alu instid0(VALU_DEP_1) | instskip(SKIP_2) | instid1(VALU_DEP_3)
	v_lshlrev_b64_e32 v[12:13], 2, v[0:1]
	v_add_nc_u32_e32 v0, 0xc0, v0
	v_dual_add_nc_u32 v20, 4, v10 :: v_dual_add_nc_u32 v21, 5, v10
	v_add_nc_u64_e32 v[18:19], s[4:5], v[12:13]
	v_add_nc_u64_e32 v[16:17], s[8:9], v[12:13]
	v_dual_add_nc_u32 v12, 2, v10 :: v_dual_add_nc_u32 v13, 3, v10
	s_wait_loadcnt 0x2
	global_store_b128 v[18:19], v[6:9], off
	s_wait_loadcnt 0x0
	global_store_b64 v[18:19], v[14:15], off offset:16
	s_clause 0x1
	global_store_b128 v[16:17], v[10:13], off
	global_store_b64 v[16:17], v[20:21], off offset:16
	s_wait_xcnt 0x0
	s_and_not1_b32 exec_lo, exec_lo, s1
	s_cbranch_execnz .LBB109_5
.LBB109_6:
	s_endpgm
	.section	.rodata,"a",@progbits
	.p2align	6, 0x0
	.amdhsa_kernel _ZN9rocsparseL32bsr2csr_block_per_row_2_7_kernelILj256ELj6EfiiEEv20rocsparse_direction_T3_S2_21rocsparse_index_base_PKT1_PKT2_PKS2_S2_S3_PS4_PS7_PS2_
		.amdhsa_group_segment_fixed_size 0
		.amdhsa_private_segment_fixed_size 0
		.amdhsa_kernarg_size 72
		.amdhsa_user_sgpr_count 2
		.amdhsa_user_sgpr_dispatch_ptr 0
		.amdhsa_user_sgpr_queue_ptr 0
		.amdhsa_user_sgpr_kernarg_segment_ptr 1
		.amdhsa_user_sgpr_dispatch_id 0
		.amdhsa_user_sgpr_kernarg_preload_length 0
		.amdhsa_user_sgpr_kernarg_preload_offset 0
		.amdhsa_user_sgpr_private_segment_size 0
		.amdhsa_wavefront_size32 1
		.amdhsa_uses_dynamic_stack 0
		.amdhsa_enable_private_segment 0
		.amdhsa_system_sgpr_workgroup_id_x 1
		.amdhsa_system_sgpr_workgroup_id_y 0
		.amdhsa_system_sgpr_workgroup_id_z 0
		.amdhsa_system_sgpr_workgroup_info 0
		.amdhsa_system_vgpr_workitem_id 0
		.amdhsa_next_free_vgpr 22
		.amdhsa_next_free_sgpr 15
		.amdhsa_named_barrier_count 0
		.amdhsa_reserve_vcc 1
		.amdhsa_float_round_mode_32 0
		.amdhsa_float_round_mode_16_64 0
		.amdhsa_float_denorm_mode_32 3
		.amdhsa_float_denorm_mode_16_64 3
		.amdhsa_fp16_overflow 0
		.amdhsa_memory_ordered 1
		.amdhsa_forward_progress 1
		.amdhsa_inst_pref_size 6
		.amdhsa_round_robin_scheduling 0
		.amdhsa_exception_fp_ieee_invalid_op 0
		.amdhsa_exception_fp_denorm_src 0
		.amdhsa_exception_fp_ieee_div_zero 0
		.amdhsa_exception_fp_ieee_overflow 0
		.amdhsa_exception_fp_ieee_underflow 0
		.amdhsa_exception_fp_ieee_inexact 0
		.amdhsa_exception_int_div_zero 0
	.end_amdhsa_kernel
	.section	.text._ZN9rocsparseL32bsr2csr_block_per_row_2_7_kernelILj256ELj6EfiiEEv20rocsparse_direction_T3_S2_21rocsparse_index_base_PKT1_PKT2_PKS2_S2_S3_PS4_PS7_PS2_,"axG",@progbits,_ZN9rocsparseL32bsr2csr_block_per_row_2_7_kernelILj256ELj6EfiiEEv20rocsparse_direction_T3_S2_21rocsparse_index_base_PKT1_PKT2_PKS2_S2_S3_PS4_PS7_PS2_,comdat
.Lfunc_end109:
	.size	_ZN9rocsparseL32bsr2csr_block_per_row_2_7_kernelILj256ELj6EfiiEEv20rocsparse_direction_T3_S2_21rocsparse_index_base_PKT1_PKT2_PKS2_S2_S3_PS4_PS7_PS2_, .Lfunc_end109-_ZN9rocsparseL32bsr2csr_block_per_row_2_7_kernelILj256ELj6EfiiEEv20rocsparse_direction_T3_S2_21rocsparse_index_base_PKT1_PKT2_PKS2_S2_S3_PS4_PS7_PS2_
                                        ; -- End function
	.set _ZN9rocsparseL32bsr2csr_block_per_row_2_7_kernelILj256ELj6EfiiEEv20rocsparse_direction_T3_S2_21rocsparse_index_base_PKT1_PKT2_PKS2_S2_S3_PS4_PS7_PS2_.num_vgpr, 22
	.set _ZN9rocsparseL32bsr2csr_block_per_row_2_7_kernelILj256ELj6EfiiEEv20rocsparse_direction_T3_S2_21rocsparse_index_base_PKT1_PKT2_PKS2_S2_S3_PS4_PS7_PS2_.num_agpr, 0
	.set _ZN9rocsparseL32bsr2csr_block_per_row_2_7_kernelILj256ELj6EfiiEEv20rocsparse_direction_T3_S2_21rocsparse_index_base_PKT1_PKT2_PKS2_S2_S3_PS4_PS7_PS2_.numbered_sgpr, 15
	.set _ZN9rocsparseL32bsr2csr_block_per_row_2_7_kernelILj256ELj6EfiiEEv20rocsparse_direction_T3_S2_21rocsparse_index_base_PKT1_PKT2_PKS2_S2_S3_PS4_PS7_PS2_.num_named_barrier, 0
	.set _ZN9rocsparseL32bsr2csr_block_per_row_2_7_kernelILj256ELj6EfiiEEv20rocsparse_direction_T3_S2_21rocsparse_index_base_PKT1_PKT2_PKS2_S2_S3_PS4_PS7_PS2_.private_seg_size, 0
	.set _ZN9rocsparseL32bsr2csr_block_per_row_2_7_kernelILj256ELj6EfiiEEv20rocsparse_direction_T3_S2_21rocsparse_index_base_PKT1_PKT2_PKS2_S2_S3_PS4_PS7_PS2_.uses_vcc, 1
	.set _ZN9rocsparseL32bsr2csr_block_per_row_2_7_kernelILj256ELj6EfiiEEv20rocsparse_direction_T3_S2_21rocsparse_index_base_PKT1_PKT2_PKS2_S2_S3_PS4_PS7_PS2_.uses_flat_scratch, 0
	.set _ZN9rocsparseL32bsr2csr_block_per_row_2_7_kernelILj256ELj6EfiiEEv20rocsparse_direction_T3_S2_21rocsparse_index_base_PKT1_PKT2_PKS2_S2_S3_PS4_PS7_PS2_.has_dyn_sized_stack, 0
	.set _ZN9rocsparseL32bsr2csr_block_per_row_2_7_kernelILj256ELj6EfiiEEv20rocsparse_direction_T3_S2_21rocsparse_index_base_PKT1_PKT2_PKS2_S2_S3_PS4_PS7_PS2_.has_recursion, 0
	.set _ZN9rocsparseL32bsr2csr_block_per_row_2_7_kernelILj256ELj6EfiiEEv20rocsparse_direction_T3_S2_21rocsparse_index_base_PKT1_PKT2_PKS2_S2_S3_PS4_PS7_PS2_.has_indirect_call, 0
	.section	.AMDGPU.csdata,"",@progbits
; Kernel info:
; codeLenInByte = 748
; TotalNumSgprs: 17
; NumVgprs: 22
; ScratchSize: 0
; MemoryBound: 0
; FloatMode: 240
; IeeeMode: 1
; LDSByteSize: 0 bytes/workgroup (compile time only)
; SGPRBlocks: 0
; VGPRBlocks: 1
; NumSGPRsForWavesPerEU: 17
; NumVGPRsForWavesPerEU: 22
; NamedBarCnt: 0
; Occupancy: 16
; WaveLimiterHint : 0
; COMPUTE_PGM_RSRC2:SCRATCH_EN: 0
; COMPUTE_PGM_RSRC2:USER_SGPR: 2
; COMPUTE_PGM_RSRC2:TRAP_HANDLER: 0
; COMPUTE_PGM_RSRC2:TGID_X_EN: 1
; COMPUTE_PGM_RSRC2:TGID_Y_EN: 0
; COMPUTE_PGM_RSRC2:TGID_Z_EN: 0
; COMPUTE_PGM_RSRC2:TIDIG_COMP_CNT: 0
	.section	.text._ZN9rocsparseL32bsr2csr_block_per_row_2_7_kernelILj256ELj7EfiiEEv20rocsparse_direction_T3_S2_21rocsparse_index_base_PKT1_PKT2_PKS2_S2_S3_PS4_PS7_PS2_,"axG",@progbits,_ZN9rocsparseL32bsr2csr_block_per_row_2_7_kernelILj256ELj7EfiiEEv20rocsparse_direction_T3_S2_21rocsparse_index_base_PKT1_PKT2_PKS2_S2_S3_PS4_PS7_PS2_,comdat
	.globl	_ZN9rocsparseL32bsr2csr_block_per_row_2_7_kernelILj256ELj7EfiiEEv20rocsparse_direction_T3_S2_21rocsparse_index_base_PKT1_PKT2_PKS2_S2_S3_PS4_PS7_PS2_ ; -- Begin function _ZN9rocsparseL32bsr2csr_block_per_row_2_7_kernelILj256ELj7EfiiEEv20rocsparse_direction_T3_S2_21rocsparse_index_base_PKT1_PKT2_PKS2_S2_S3_PS4_PS7_PS2_
	.p2align	8
	.type	_ZN9rocsparseL32bsr2csr_block_per_row_2_7_kernelILj256ELj7EfiiEEv20rocsparse_direction_T3_S2_21rocsparse_index_base_PKT1_PKT2_PKS2_S2_S3_PS4_PS7_PS2_,@function
_ZN9rocsparseL32bsr2csr_block_per_row_2_7_kernelILj256ELj7EfiiEEv20rocsparse_direction_T3_S2_21rocsparse_index_base_PKT1_PKT2_PKS2_S2_S3_PS4_PS7_PS2_: ; @_ZN9rocsparseL32bsr2csr_block_per_row_2_7_kernelILj256ELj7EfiiEEv20rocsparse_direction_T3_S2_21rocsparse_index_base_PKT1_PKT2_PKS2_S2_S3_PS4_PS7_PS2_
; %bb.0:
	s_clause 0x1
	s_load_b32 s12, s[0:1], 0x2c
	s_load_b64 s[2:3], s[0:1], 0x38
	s_bfe_u32 s4, ttmp6, 0x4000c
	s_and_b32 s5, ttmp6, 15
	s_add_co_i32 s4, s4, 1
	s_getreg_b32 s6, hwreg(HW_REG_IB_STS2, 6, 4)
	s_mul_i32 s4, ttmp9, s4
	s_delay_alu instid0(SALU_CYCLE_1) | instskip(SKIP_4) | instid1(VALU_DEP_1)
	s_add_co_i32 s5, s5, s4
	s_cmp_eq_u32 s6, 0
	s_cselect_b32 s4, ttmp9, s5
	s_mov_b32 s5, exec_lo
	v_or_b32_e32 v1, s4, v0
	v_cmpx_eq_u32_e32 0, v1
	s_cbranch_execz .LBB110_2
; %bb.1:
	s_wait_kmcnt 0x0
	v_dual_mov_b32 v1, 0 :: v_dual_mov_b32 v2, s12
	global_store_b32 v1, v2, s[2:3]
.LBB110_2:
	s_wait_xcnt 0x0
	s_or_b32 exec_lo, exec_lo, s5
	v_and_b32_e32 v1, 7, v0
	s_mov_b32 s5, exec_lo
	s_delay_alu instid0(VALU_DEP_1)
	v_cmpx_ne_u32_e32 7, v1
	s_cbranch_execz .LBB110_6
; %bb.3:
	s_clause 0x1
	s_load_b64 s[6:7], s[0:1], 0x18
	s_load_b32 s13, s[0:1], 0xc
	s_ashr_i32 s5, s4, 31
	v_lshrrev_b32_e32 v0, 3, v0
	s_lshl_b64 s[8:9], s[4:5], 2
	s_mul_i32 s4, s4, 7
	s_delay_alu instid0(SALU_CYCLE_1)
	v_add3_u32 v5, v1, s4, 1
	s_wait_kmcnt 0x0
	s_add_nc_u64 s[6:7], s[6:7], s[8:9]
	s_load_b64 s[10:11], s[6:7], 0x0
	s_wait_kmcnt 0x0
	s_sub_co_i32 s5, s10, s13
	s_sub_co_i32 s11, s11, s13
	v_add_nc_u32_e32 v2, s5, v0
	s_sub_co_i32 s6, s11, s5
	s_mul_i32 s7, s5, 49
	s_mul_i32 s6, s6, 7
	s_delay_alu instid0(SALU_CYCLE_1) | instskip(SKIP_2) | instid1(VALU_DEP_2)
	v_mul_lo_u32 v4, s6, v1
	s_add_co_i32 s6, s6, s12
	v_cmp_gt_i32_e32 vcc_lo, s11, v2
	v_add3_u32 v3, s6, s7, v4
	global_store_b32 v5, v3, s[2:3] scale_offset
	s_wait_xcnt 0x0
	s_and_b32 exec_lo, exec_lo, vcc_lo
	s_cbranch_execz .LBB110_6
; %bb.4:
	s_clause 0x4
	s_load_b64 s[2:3], s[0:1], 0x20
	s_load_b64 s[4:5], s[0:1], 0x30
	s_load_b32 s14, s[0:1], 0x0
	s_load_b64 s[6:7], s[0:1], 0x10
	s_load_b64 s[8:9], s[0:1], 0x40
	v_mul_u32_u24_e32 v0, 7, v0
	s_wait_xcnt 0x0
	s_mul_i32 s0, s10, 49
	v_mad_u32 v3, v2, 49, v1
	s_mov_b32 s1, 0
	v_add3_u32 v0, v4, s0, v0
	s_mul_i32 s0, s13, 49
	v_mul_u32_u24_e32 v4, 6, v1
	s_delay_alu instid0(VALU_DEP_2)
	v_subrev_nc_u32_e32 v0, s0, v0
	s_wait_kmcnt 0x0
	s_cmp_eq_u32 s14, 0
	s_cselect_b32 vcc_lo, -1, 0
.LBB110_5:                              ; =>This Inner Loop Header: Depth=1
	global_load_b32 v5, v2, s[2:3] scale_offset
	v_dual_add_nc_u32 v1, v4, v3 :: v_dual_add_nc_u32 v6, 7, v3
	v_dual_add_nc_u32 v7, 14, v3 :: v_dual_add_nc_u32 v8, 21, v3
	;; [unrolled: 1-line block ×3, first 2 shown]
	s_delay_alu instid0(VALU_DEP_3) | instskip(SKIP_3) | instid1(VALU_DEP_4)
	v_dual_add_nc_u32 v13, 1, v1 :: v_dual_add_nc_u32 v14, 2, v1
	v_dual_add_nc_u32 v15, 3, v1 :: v_dual_add_nc_u32 v16, 4, v1
	v_dual_cndmask_b32 v12, v3, v1 :: v_dual_add_nc_u32 v11, 42, v3
	v_dual_add_nc_u32 v17, 5, v1 :: v_dual_add_nc_u32 v1, 6, v1
	v_dual_cndmask_b32 v13, v6, v13 :: v_dual_cndmask_b32 v18, v7, v14
	s_delay_alu instid0(VALU_DEP_4) | instskip(NEXT) | instid1(VALU_DEP_3)
	v_dual_cndmask_b32 v19, v8, v15 :: v_dual_cndmask_b32 v20, v9, v16
	v_cndmask_b32_e32 v10, v10, v17, vcc_lo
	s_wait_xcnt 0x0
	v_dual_cndmask_b32 v1, v11, v1 :: v_dual_add_nc_u32 v2, 32, v2
	s_clause 0x6
	global_load_b32 v6, v12, s[6:7] scale_offset
	global_load_b32 v7, v13, s[6:7] scale_offset
	global_load_b32 v8, v18, s[6:7] scale_offset
	global_load_b32 v9, v19, s[6:7] scale_offset
	global_load_b32 v14, v20, s[6:7] scale_offset
	global_load_b32 v15, v10, s[6:7] scale_offset
	global_load_b32 v16, v1, s[6:7] scale_offset
	s_wait_xcnt 0x0
	v_ashrrev_i32_e32 v1, 31, v0
	v_add_nc_u32_e32 v3, 0x620, v3
	v_cmp_le_i32_e64 s0, s11, v2
	s_delay_alu instid0(VALU_DEP_3) | instskip(SKIP_2) | instid1(VALU_DEP_2)
	v_lshlrev_b64_e32 v[12:13], 2, v[0:1]
	v_add_nc_u32_e32 v0, 0xe0, v0
	s_or_b32 s1, s0, s1
	v_add_nc_u64_e32 v[24:25], s[4:5], v[12:13]
	v_add_nc_u64_e32 v[22:23], s[8:9], v[12:13]
	s_wait_loadcnt 0x7
	v_subrev_nc_u32_e32 v1, s13, v5
	s_delay_alu instid0(VALU_DEP_1) | instskip(NEXT) | instid1(VALU_DEP_1)
	v_mad_u32 v10, v1, 7, s12
	v_dual_add_nc_u32 v11, 1, v10 :: v_dual_add_nc_u32 v12, 2, v10
	v_dual_add_nc_u32 v13, 3, v10 :: v_dual_add_nc_u32 v18, 4, v10
	v_dual_add_nc_u32 v19, 5, v10 :: v_dual_add_nc_u32 v20, 6, v10
	s_wait_loadcnt 0x3
	global_store_b128 v[24:25], v[6:9], off
	s_wait_loadcnt 0x0
	global_store_b96 v[24:25], v[14:16], off offset:16
	s_clause 0x1
	global_store_b128 v[22:23], v[10:13], off
	global_store_b96 v[22:23], v[18:20], off offset:16
	s_wait_xcnt 0x0
	s_and_not1_b32 exec_lo, exec_lo, s1
	s_cbranch_execnz .LBB110_5
.LBB110_6:
	s_endpgm
	.section	.rodata,"a",@progbits
	.p2align	6, 0x0
	.amdhsa_kernel _ZN9rocsparseL32bsr2csr_block_per_row_2_7_kernelILj256ELj7EfiiEEv20rocsparse_direction_T3_S2_21rocsparse_index_base_PKT1_PKT2_PKS2_S2_S3_PS4_PS7_PS2_
		.amdhsa_group_segment_fixed_size 0
		.amdhsa_private_segment_fixed_size 0
		.amdhsa_kernarg_size 72
		.amdhsa_user_sgpr_count 2
		.amdhsa_user_sgpr_dispatch_ptr 0
		.amdhsa_user_sgpr_queue_ptr 0
		.amdhsa_user_sgpr_kernarg_segment_ptr 1
		.amdhsa_user_sgpr_dispatch_id 0
		.amdhsa_user_sgpr_kernarg_preload_length 0
		.amdhsa_user_sgpr_kernarg_preload_offset 0
		.amdhsa_user_sgpr_private_segment_size 0
		.amdhsa_wavefront_size32 1
		.amdhsa_uses_dynamic_stack 0
		.amdhsa_enable_private_segment 0
		.amdhsa_system_sgpr_workgroup_id_x 1
		.amdhsa_system_sgpr_workgroup_id_y 0
		.amdhsa_system_sgpr_workgroup_id_z 0
		.amdhsa_system_sgpr_workgroup_info 0
		.amdhsa_system_vgpr_workitem_id 0
		.amdhsa_next_free_vgpr 26
		.amdhsa_next_free_sgpr 15
		.amdhsa_named_barrier_count 0
		.amdhsa_reserve_vcc 1
		.amdhsa_float_round_mode_32 0
		.amdhsa_float_round_mode_16_64 0
		.amdhsa_float_denorm_mode_32 3
		.amdhsa_float_denorm_mode_16_64 3
		.amdhsa_fp16_overflow 0
		.amdhsa_memory_ordered 1
		.amdhsa_forward_progress 1
		.amdhsa_inst_pref_size 7
		.amdhsa_round_robin_scheduling 0
		.amdhsa_exception_fp_ieee_invalid_op 0
		.amdhsa_exception_fp_denorm_src 0
		.amdhsa_exception_fp_ieee_div_zero 0
		.amdhsa_exception_fp_ieee_overflow 0
		.amdhsa_exception_fp_ieee_underflow 0
		.amdhsa_exception_fp_ieee_inexact 0
		.amdhsa_exception_int_div_zero 0
	.end_amdhsa_kernel
	.section	.text._ZN9rocsparseL32bsr2csr_block_per_row_2_7_kernelILj256ELj7EfiiEEv20rocsparse_direction_T3_S2_21rocsparse_index_base_PKT1_PKT2_PKS2_S2_S3_PS4_PS7_PS2_,"axG",@progbits,_ZN9rocsparseL32bsr2csr_block_per_row_2_7_kernelILj256ELj7EfiiEEv20rocsparse_direction_T3_S2_21rocsparse_index_base_PKT1_PKT2_PKS2_S2_S3_PS4_PS7_PS2_,comdat
.Lfunc_end110:
	.size	_ZN9rocsparseL32bsr2csr_block_per_row_2_7_kernelILj256ELj7EfiiEEv20rocsparse_direction_T3_S2_21rocsparse_index_base_PKT1_PKT2_PKS2_S2_S3_PS4_PS7_PS2_, .Lfunc_end110-_ZN9rocsparseL32bsr2csr_block_per_row_2_7_kernelILj256ELj7EfiiEEv20rocsparse_direction_T3_S2_21rocsparse_index_base_PKT1_PKT2_PKS2_S2_S3_PS4_PS7_PS2_
                                        ; -- End function
	.set _ZN9rocsparseL32bsr2csr_block_per_row_2_7_kernelILj256ELj7EfiiEEv20rocsparse_direction_T3_S2_21rocsparse_index_base_PKT1_PKT2_PKS2_S2_S3_PS4_PS7_PS2_.num_vgpr, 26
	.set _ZN9rocsparseL32bsr2csr_block_per_row_2_7_kernelILj256ELj7EfiiEEv20rocsparse_direction_T3_S2_21rocsparse_index_base_PKT1_PKT2_PKS2_S2_S3_PS4_PS7_PS2_.num_agpr, 0
	.set _ZN9rocsparseL32bsr2csr_block_per_row_2_7_kernelILj256ELj7EfiiEEv20rocsparse_direction_T3_S2_21rocsparse_index_base_PKT1_PKT2_PKS2_S2_S3_PS4_PS7_PS2_.numbered_sgpr, 15
	.set _ZN9rocsparseL32bsr2csr_block_per_row_2_7_kernelILj256ELj7EfiiEEv20rocsparse_direction_T3_S2_21rocsparse_index_base_PKT1_PKT2_PKS2_S2_S3_PS4_PS7_PS2_.num_named_barrier, 0
	.set _ZN9rocsparseL32bsr2csr_block_per_row_2_7_kernelILj256ELj7EfiiEEv20rocsparse_direction_T3_S2_21rocsparse_index_base_PKT1_PKT2_PKS2_S2_S3_PS4_PS7_PS2_.private_seg_size, 0
	.set _ZN9rocsparseL32bsr2csr_block_per_row_2_7_kernelILj256ELj7EfiiEEv20rocsparse_direction_T3_S2_21rocsparse_index_base_PKT1_PKT2_PKS2_S2_S3_PS4_PS7_PS2_.uses_vcc, 1
	.set _ZN9rocsparseL32bsr2csr_block_per_row_2_7_kernelILj256ELj7EfiiEEv20rocsparse_direction_T3_S2_21rocsparse_index_base_PKT1_PKT2_PKS2_S2_S3_PS4_PS7_PS2_.uses_flat_scratch, 0
	.set _ZN9rocsparseL32bsr2csr_block_per_row_2_7_kernelILj256ELj7EfiiEEv20rocsparse_direction_T3_S2_21rocsparse_index_base_PKT1_PKT2_PKS2_S2_S3_PS4_PS7_PS2_.has_dyn_sized_stack, 0
	.set _ZN9rocsparseL32bsr2csr_block_per_row_2_7_kernelILj256ELj7EfiiEEv20rocsparse_direction_T3_S2_21rocsparse_index_base_PKT1_PKT2_PKS2_S2_S3_PS4_PS7_PS2_.has_recursion, 0
	.set _ZN9rocsparseL32bsr2csr_block_per_row_2_7_kernelILj256ELj7EfiiEEv20rocsparse_direction_T3_S2_21rocsparse_index_base_PKT1_PKT2_PKS2_S2_S3_PS4_PS7_PS2_.has_indirect_call, 0
	.section	.AMDGPU.csdata,"",@progbits
; Kernel info:
; codeLenInByte = 780
; TotalNumSgprs: 17
; NumVgprs: 26
; ScratchSize: 0
; MemoryBound: 0
; FloatMode: 240
; IeeeMode: 1
; LDSByteSize: 0 bytes/workgroup (compile time only)
; SGPRBlocks: 0
; VGPRBlocks: 1
; NumSGPRsForWavesPerEU: 17
; NumVGPRsForWavesPerEU: 26
; NamedBarCnt: 0
; Occupancy: 16
; WaveLimiterHint : 0
; COMPUTE_PGM_RSRC2:SCRATCH_EN: 0
; COMPUTE_PGM_RSRC2:USER_SGPR: 2
; COMPUTE_PGM_RSRC2:TRAP_HANDLER: 0
; COMPUTE_PGM_RSRC2:TGID_X_EN: 1
; COMPUTE_PGM_RSRC2:TGID_Y_EN: 0
; COMPUTE_PGM_RSRC2:TGID_Z_EN: 0
; COMPUTE_PGM_RSRC2:TIDIG_COMP_CNT: 0
	.section	.text._ZN9rocsparseL33bsr2csr_block_per_row_8_32_kernelILj1024ELj8EfiiEEv20rocsparse_direction_T3_S2_21rocsparse_index_base_PKT1_PKT2_PKS2_S2_S3_PS4_PS7_PS2_,"axG",@progbits,_ZN9rocsparseL33bsr2csr_block_per_row_8_32_kernelILj1024ELj8EfiiEEv20rocsparse_direction_T3_S2_21rocsparse_index_base_PKT1_PKT2_PKS2_S2_S3_PS4_PS7_PS2_,comdat
	.globl	_ZN9rocsparseL33bsr2csr_block_per_row_8_32_kernelILj1024ELj8EfiiEEv20rocsparse_direction_T3_S2_21rocsparse_index_base_PKT1_PKT2_PKS2_S2_S3_PS4_PS7_PS2_ ; -- Begin function _ZN9rocsparseL33bsr2csr_block_per_row_8_32_kernelILj1024ELj8EfiiEEv20rocsparse_direction_T3_S2_21rocsparse_index_base_PKT1_PKT2_PKS2_S2_S3_PS4_PS7_PS2_
	.p2align	8
	.type	_ZN9rocsparseL33bsr2csr_block_per_row_8_32_kernelILj1024ELj8EfiiEEv20rocsparse_direction_T3_S2_21rocsparse_index_base_PKT1_PKT2_PKS2_S2_S3_PS4_PS7_PS2_,@function
_ZN9rocsparseL33bsr2csr_block_per_row_8_32_kernelILj1024ELj8EfiiEEv20rocsparse_direction_T3_S2_21rocsparse_index_base_PKT1_PKT2_PKS2_S2_S3_PS4_PS7_PS2_: ; @_ZN9rocsparseL33bsr2csr_block_per_row_8_32_kernelILj1024ELj8EfiiEEv20rocsparse_direction_T3_S2_21rocsparse_index_base_PKT1_PKT2_PKS2_S2_S3_PS4_PS7_PS2_
; %bb.0:
	s_clause 0x1
	s_load_b64 s[4:5], s[0:1], 0x28
	s_load_b64 s[2:3], s[0:1], 0x38
	s_bfe_u32 s6, ttmp6, 0x4000c
	s_and_b32 s7, ttmp6, 15
	s_add_co_i32 s6, s6, 1
	s_getreg_b32 s8, hwreg(HW_REG_IB_STS2, 6, 4)
	s_mul_i32 s6, ttmp9, s6
	s_delay_alu instid0(SALU_CYCLE_1) | instskip(SKIP_4) | instid1(VALU_DEP_1)
	s_add_co_i32 s7, s7, s6
	s_cmp_eq_u32 s8, 0
	s_cselect_b32 s6, ttmp9, s7
	s_mov_b32 s7, exec_lo
	v_or_b32_e32 v1, s6, v0
	v_cmpx_eq_u32_e32 0, v1
	s_cbranch_execz .LBB111_2
; %bb.1:
	s_wait_kmcnt 0x0
	v_dual_mov_b32 v1, 0 :: v_dual_mov_b32 v2, s5
	global_store_b32 v1, v2, s[2:3]
.LBB111_2:
	s_wait_xcnt 0x0
	s_or_b32 exec_lo, exec_lo, s7
	v_and_b32_e32 v10, 7, v0
	v_bfe_u32 v4, v0, 3, 3
	s_mov_b32 s7, exec_lo
	s_delay_alu instid0(VALU_DEP_1) | instskip(SKIP_1) | instid1(VALU_DEP_1)
	v_max_i32_e32 v1, v4, v10
	s_wait_kmcnt 0x0
	v_cmpx_gt_i32_e64 s4, v1
	s_cbranch_execz .LBB111_15
; %bb.3:
	s_clause 0x1
	s_load_b64 s[8:9], s[0:1], 0x18
	s_load_b32 s16, s[0:1], 0xc
	s_ashr_i32 s7, s6, 31
	s_mul_i32 s17, s4, s4
	s_lshl_b64 s[10:11], s[6:7], 2
	v_lshrrev_b32_e32 v5, 6, v0
	v_mad_u32 v2, s4, s6, v4
	s_wait_kmcnt 0x0
	s_add_nc_u64 s[8:9], s[8:9], s[10:11]
	s_load_b64 s[12:13], s[8:9], 0x0
	s_wait_kmcnt 0x0
	s_sub_co_i32 s18, s12, s16
	s_sub_co_i32 s13, s13, s16
	s_mul_i32 s7, s18, s17
	s_sub_co_i32 s19, s13, s18
	v_add_nc_u32_e32 v0, s18, v5
	s_mul_i32 s8, s19, s4
	s_delay_alu instid0(SALU_CYCLE_1) | instskip(NEXT) | instid1(VALU_DEP_2)
	v_mad_u32 v1, s8, v4, s7
	v_cmp_gt_i32_e32 vcc_lo, s13, v0
	s_delay_alu instid0(VALU_DEP_2)
	v_add3_u32 v3, s8, s5, v1
	global_store_b32 v2, v3, s[2:3] offset:4 scale_offset
	s_wait_xcnt 0x0
	s_and_b32 exec_lo, exec_lo, vcc_lo
	s_cbranch_execz .LBB111_15
; %bb.4:
	s_clause 0x2
	s_load_b64 s[6:7], s[0:1], 0x20
	s_load_b64 s[8:9], s[0:1], 0x30
	s_load_b32 s2, s[0:1], 0x0
	v_add_nc_u32_e32 v2, s12, v5
	s_clause 0x1
	s_load_b64 s[10:11], s[0:1], 0x10
	s_load_b64 s[14:15], s[0:1], 0x40
	v_mad_u32 v11, s4, v10, v4
	v_mad_u32 v12, s4, v4, v10
	v_mul_lo_u32 v13, s19, v4
	v_subrev_nc_u32_e32 v2, s16, v2
	s_wait_xcnt 0x0
	s_mov_b32 s1, 0
	s_mul_i32 s3, s4, s18
                                        ; implicit-def: $vgpr6
                                        ; implicit-def: $vgpr3
	s_delay_alu instid0(VALU_DEP_1)
	v_add_max_i32_e64 v2, v2, 16, s13
	s_wait_kmcnt 0x0
	s_cmp_eq_u32 s2, 0
	s_mov_b32 s2, exec_lo
	s_cselect_b32 vcc_lo, -1, 0
	s_not_b32 s0, s12
	s_delay_alu instid0(SALU_CYCLE_1) | instskip(NEXT) | instid1(VALU_DEP_1)
	v_add3_u32 v2, s0, s16, v2
	v_dual_sub_nc_u32 v7, v2, v5 :: v_dual_add_nc_u32 v2, s5, v10
	s_delay_alu instid0(VALU_DEP_1)
	v_cmpx_lt_u32_e32 0x18f, v7
	s_xor_b32 s5, exec_lo, s2
	s_cbranch_execnz .LBB111_7
; %bb.5:
	s_and_not1_saveexec_b32 s0, s5
	s_cbranch_execnz .LBB111_12
.LBB111_6:
	s_or_b32 exec_lo, exec_lo, s0
	s_delay_alu instid0(SALU_CYCLE_1)
	s_and_b32 exec_lo, exec_lo, s1
	s_cbranch_execnz .LBB111_13
	s_branch .LBB111_15
.LBB111_7:
	v_mul_lo_u32 v13, s19, v4
	s_lshl_b32 s19, s4, 4
	s_mov_b32 s20, 0
	s_sub_co_i32 s1, 0, s19
	s_cmp_lt_i32 s19, 0
	s_cselect_b32 s0, -1, 0
	s_delay_alu instid0(SALU_CYCLE_1) | instskip(SKIP_1) | instid1(VALU_DEP_1)
	s_and_b32 s2, s0, exec_lo
	s_cselect_b32 s2, s1, s19
	v_add3_u32 v4, v5, s3, v13
	s_delay_alu instid0(VALU_DEP_1) | instskip(SKIP_1) | instid1(VALU_DEP_1)
	v_mad_u32 v4, s4, v4, v10
	v_lshrrev_b32_e32 v3, 4, v7
	v_mul_lo_u32 v5, s2, v3
	s_delay_alu instid0(VALU_DEP_1) | instskip(NEXT) | instid1(VALU_DEP_1)
	v_sub_nc_u32_e32 v6, v4, v5
	v_cmp_gt_i32_e64 s1, v6, v4
	s_delay_alu instid0(VALU_DEP_1) | instskip(SKIP_1) | instid1(VALU_DEP_1)
	v_cndmask_b32_e64 v6, 0, 1, s1
	v_add_nc_u32_e32 v5, v4, v5
	v_cmp_lt_i32_e64 s1, v5, v4
	v_mul_hi_u32 v5, s2, v3
	s_delay_alu instid0(VALU_DEP_2) | instskip(NEXT) | instid1(VALU_DEP_1)
	v_cndmask_b32_e64 v4, 0, 1, s1
	v_dual_cndmask_b32 v4, v4, v6, s0 :: v_dual_bitop2_b32 v6, -16, v7 bitop3:0x40
	s_delay_alu instid0(VALU_DEP_3) | instskip(NEXT) | instid1(VALU_DEP_2)
	v_cmp_eq_u32_e64 s1, 0, v5
	v_dual_add_nc_u32 v6, v0, v6 :: v_dual_bitop2_b32 v4, 1, v4 bitop3:0x40
	s_delay_alu instid0(VALU_DEP_1) | instskip(NEXT) | instid1(VALU_DEP_2)
	v_cmp_eq_u32_e64 s0, 1, v4
	v_cmp_ge_i32_e64 s2, v6, v0
	s_xor_b32 s0, s0, -1
	s_delay_alu instid0(SALU_CYCLE_1) | instskip(SKIP_2) | instid1(SALU_CYCLE_1)
	s_and_b32 s1, s0, s1
	s_mov_b32 s0, -1
	s_and_b32 s2, s2, s1
	s_and_saveexec_b32 s1, s2
	s_cbranch_execz .LBB111_11
; %bb.8:
	v_dual_add_nc_u32 v14, 1, v3 :: v_dual_add_nc_u32 v4, v1, v10
	v_dual_cndmask_b32 v6, v11, v12 :: v_dual_mov_b32 v3, v2
	v_add_nc_u32_e32 v1, 16, v0
	s_delay_alu instid0(VALU_DEP_3) | instskip(NEXT) | instid1(VALU_DEP_3)
	v_and_b32_e32 v15, 0x1ffffffe, v14
	v_dual_mov_b32 v7, v4 :: v_dual_mov_b32 v5, v6
	s_mov_b32 s2, s16
	s_delay_alu instid0(VALU_DEP_3) | instskip(NEXT) | instid1(VALU_DEP_3)
	v_mov_b64_e32 v[8:9], v[0:1]
	v_mov_b32_e32 v16, v15
	s_mov_b32 s21, s18
	s_mov_b32 s22, s4
	;; [unrolled: 1-line block ×3, first 2 shown]
.LBB111_9:                              ; =>This Inner Loop Header: Depth=1
	s_clause 0x1
	global_load_b32 v1, v8, s[6:7] scale_offset
	global_load_b32 v17, v9, s[6:7] scale_offset
	v_mad_u32 v18, v8, s17, v6
	v_mad_u32 v19, v9, s23, v5
	v_add_nc_u32_e32 v16, -2, v16
	s_clause 0x1
	global_load_b32 v20, v18, s[10:11] scale_offset
	global_load_b32 v21, v19, s[10:11] scale_offset
	s_wait_xcnt 0x0
	v_subrev_nc_u32_e32 v19, s18, v8
	v_subrev_nc_u32_e32 v18, s21, v9
	v_add_nc_u32_e32 v9, 32, v9
	v_cmp_eq_u32_e64 s0, 0, v16
	v_add_nc_u32_e32 v8, 32, v8
	v_mad_u32 v19, v19, s4, v4
	v_mad_u32 v18, v18, s22, v7
	s_or_b32 s20, s0, s20
	s_wait_loadcnt 0x3
	v_subrev_nc_u32_e32 v1, s16, v1
	s_wait_loadcnt 0x2
	v_subrev_nc_u32_e32 v17, s2, v17
	s_delay_alu instid0(VALU_DEP_2) | instskip(NEXT) | instid1(VALU_DEP_2)
	v_mad_u32 v1, v1, s4, v2
	v_mad_u32 v17, v17, s22, v3
	global_store_b32 v19, v1, s[14:15] scale_offset
	s_wait_loadcnt 0x1
	global_store_b32 v19, v20, s[8:9] scale_offset
	global_store_b32 v18, v17, s[14:15] scale_offset
	s_wait_loadcnt 0x0
	global_store_b32 v18, v21, s[8:9] scale_offset
	s_wait_xcnt 0x0
	s_and_not1_b32 exec_lo, exec_lo, s20
	s_cbranch_execnz .LBB111_9
; %bb.10:
	s_or_b32 exec_lo, exec_lo, s20
	v_cmp_ne_u32_e64 s0, v14, v15
	v_lshl_add_u32 v0, v15, 4, v0
	s_or_not1_b32 s0, s0, exec_lo
.LBB111_11:
	s_or_b32 exec_lo, exec_lo, s1
	v_dual_mov_b32 v3, s19 :: v_dual_mov_b32 v6, s3
	s_and_b32 s1, s0, exec_lo
	s_and_not1_saveexec_b32 s0, s5
	s_cbranch_execz .LBB111_6
.LBB111_12:
	s_lshl_b32 s2, s4, 4
	s_delay_alu instid0(SALU_CYCLE_1) | instskip(SKIP_2) | instid1(SALU_CYCLE_1)
	v_dual_mov_b32 v6, s3 :: v_dual_mov_b32 v3, s2
	s_or_b32 s1, s1, exec_lo
	s_or_b32 exec_lo, exec_lo, s0
	s_and_b32 exec_lo, exec_lo, s1
	s_cbranch_execz .LBB111_15
.LBB111_13:
	v_add_nc_u32_e32 v1, s16, v0
	v_cndmask_b32_e32 v4, v11, v12, vcc_lo
	s_lshl_b32 s0, s17, 4
	s_mov_b32 s1, 0
	s_delay_alu instid0(VALU_DEP_2) | instskip(NEXT) | instid1(VALU_DEP_1)
	v_add3_u32 v1, v1, v6, v13
	v_subrev_nc_u32_e32 v5, s12, v1
	v_mad_u32 v1, v0, s17, v4
	s_delay_alu instid0(VALU_DEP_2)
	v_mad_u32 v4, s4, v5, v10
.LBB111_14:                             ; =>This Inner Loop Header: Depth=1
	global_load_b32 v5, v0, s[6:7] scale_offset
	global_load_b32 v6, v1, s[10:11] scale_offset
	s_wait_xcnt 0x0
	v_dual_add_nc_u32 v0, 16, v0 :: v_dual_add_nc_u32 v1, s0, v1
	s_delay_alu instid0(VALU_DEP_1) | instskip(SKIP_3) | instid1(VALU_DEP_1)
	v_cmp_le_i32_e32 vcc_lo, s13, v0
	s_or_b32 s1, vcc_lo, s1
	s_wait_loadcnt 0x1
	v_subrev_nc_u32_e32 v5, s16, v5
	v_mad_u32 v5, v5, s4, v2
	global_store_b32 v4, v5, s[14:15] scale_offset
	s_wait_loadcnt 0x0
	global_store_b32 v4, v6, s[8:9] scale_offset
	s_wait_xcnt 0x0
	v_add_nc_u32_e32 v4, v4, v3
	s_and_not1_b32 exec_lo, exec_lo, s1
	s_cbranch_execnz .LBB111_14
.LBB111_15:
	s_endpgm
	.section	.rodata,"a",@progbits
	.p2align	6, 0x0
	.amdhsa_kernel _ZN9rocsparseL33bsr2csr_block_per_row_8_32_kernelILj1024ELj8EfiiEEv20rocsparse_direction_T3_S2_21rocsparse_index_base_PKT1_PKT2_PKS2_S2_S3_PS4_PS7_PS2_
		.amdhsa_group_segment_fixed_size 0
		.amdhsa_private_segment_fixed_size 0
		.amdhsa_kernarg_size 72
		.amdhsa_user_sgpr_count 2
		.amdhsa_user_sgpr_dispatch_ptr 0
		.amdhsa_user_sgpr_queue_ptr 0
		.amdhsa_user_sgpr_kernarg_segment_ptr 1
		.amdhsa_user_sgpr_dispatch_id 0
		.amdhsa_user_sgpr_kernarg_preload_length 0
		.amdhsa_user_sgpr_kernarg_preload_offset 0
		.amdhsa_user_sgpr_private_segment_size 0
		.amdhsa_wavefront_size32 1
		.amdhsa_uses_dynamic_stack 0
		.amdhsa_enable_private_segment 0
		.amdhsa_system_sgpr_workgroup_id_x 1
		.amdhsa_system_sgpr_workgroup_id_y 0
		.amdhsa_system_sgpr_workgroup_id_z 0
		.amdhsa_system_sgpr_workgroup_info 0
		.amdhsa_system_vgpr_workitem_id 0
		.amdhsa_next_free_vgpr 22
		.amdhsa_next_free_sgpr 24
		.amdhsa_named_barrier_count 0
		.amdhsa_reserve_vcc 1
		.amdhsa_float_round_mode_32 0
		.amdhsa_float_round_mode_16_64 0
		.amdhsa_float_denorm_mode_32 3
		.amdhsa_float_denorm_mode_16_64 3
		.amdhsa_fp16_overflow 0
		.amdhsa_memory_ordered 1
		.amdhsa_forward_progress 1
		.amdhsa_inst_pref_size 10
		.amdhsa_round_robin_scheduling 0
		.amdhsa_exception_fp_ieee_invalid_op 0
		.amdhsa_exception_fp_denorm_src 0
		.amdhsa_exception_fp_ieee_div_zero 0
		.amdhsa_exception_fp_ieee_overflow 0
		.amdhsa_exception_fp_ieee_underflow 0
		.amdhsa_exception_fp_ieee_inexact 0
		.amdhsa_exception_int_div_zero 0
	.end_amdhsa_kernel
	.section	.text._ZN9rocsparseL33bsr2csr_block_per_row_8_32_kernelILj1024ELj8EfiiEEv20rocsparse_direction_T3_S2_21rocsparse_index_base_PKT1_PKT2_PKS2_S2_S3_PS4_PS7_PS2_,"axG",@progbits,_ZN9rocsparseL33bsr2csr_block_per_row_8_32_kernelILj1024ELj8EfiiEEv20rocsparse_direction_T3_S2_21rocsparse_index_base_PKT1_PKT2_PKS2_S2_S3_PS4_PS7_PS2_,comdat
.Lfunc_end111:
	.size	_ZN9rocsparseL33bsr2csr_block_per_row_8_32_kernelILj1024ELj8EfiiEEv20rocsparse_direction_T3_S2_21rocsparse_index_base_PKT1_PKT2_PKS2_S2_S3_PS4_PS7_PS2_, .Lfunc_end111-_ZN9rocsparseL33bsr2csr_block_per_row_8_32_kernelILj1024ELj8EfiiEEv20rocsparse_direction_T3_S2_21rocsparse_index_base_PKT1_PKT2_PKS2_S2_S3_PS4_PS7_PS2_
                                        ; -- End function
	.set _ZN9rocsparseL33bsr2csr_block_per_row_8_32_kernelILj1024ELj8EfiiEEv20rocsparse_direction_T3_S2_21rocsparse_index_base_PKT1_PKT2_PKS2_S2_S3_PS4_PS7_PS2_.num_vgpr, 22
	.set _ZN9rocsparseL33bsr2csr_block_per_row_8_32_kernelILj1024ELj8EfiiEEv20rocsparse_direction_T3_S2_21rocsparse_index_base_PKT1_PKT2_PKS2_S2_S3_PS4_PS7_PS2_.num_agpr, 0
	.set _ZN9rocsparseL33bsr2csr_block_per_row_8_32_kernelILj1024ELj8EfiiEEv20rocsparse_direction_T3_S2_21rocsparse_index_base_PKT1_PKT2_PKS2_S2_S3_PS4_PS7_PS2_.numbered_sgpr, 24
	.set _ZN9rocsparseL33bsr2csr_block_per_row_8_32_kernelILj1024ELj8EfiiEEv20rocsparse_direction_T3_S2_21rocsparse_index_base_PKT1_PKT2_PKS2_S2_S3_PS4_PS7_PS2_.num_named_barrier, 0
	.set _ZN9rocsparseL33bsr2csr_block_per_row_8_32_kernelILj1024ELj8EfiiEEv20rocsparse_direction_T3_S2_21rocsparse_index_base_PKT1_PKT2_PKS2_S2_S3_PS4_PS7_PS2_.private_seg_size, 0
	.set _ZN9rocsparseL33bsr2csr_block_per_row_8_32_kernelILj1024ELj8EfiiEEv20rocsparse_direction_T3_S2_21rocsparse_index_base_PKT1_PKT2_PKS2_S2_S3_PS4_PS7_PS2_.uses_vcc, 1
	.set _ZN9rocsparseL33bsr2csr_block_per_row_8_32_kernelILj1024ELj8EfiiEEv20rocsparse_direction_T3_S2_21rocsparse_index_base_PKT1_PKT2_PKS2_S2_S3_PS4_PS7_PS2_.uses_flat_scratch, 0
	.set _ZN9rocsparseL33bsr2csr_block_per_row_8_32_kernelILj1024ELj8EfiiEEv20rocsparse_direction_T3_S2_21rocsparse_index_base_PKT1_PKT2_PKS2_S2_S3_PS4_PS7_PS2_.has_dyn_sized_stack, 0
	.set _ZN9rocsparseL33bsr2csr_block_per_row_8_32_kernelILj1024ELj8EfiiEEv20rocsparse_direction_T3_S2_21rocsparse_index_base_PKT1_PKT2_PKS2_S2_S3_PS4_PS7_PS2_.has_recursion, 0
	.set _ZN9rocsparseL33bsr2csr_block_per_row_8_32_kernelILj1024ELj8EfiiEEv20rocsparse_direction_T3_S2_21rocsparse_index_base_PKT1_PKT2_PKS2_S2_S3_PS4_PS7_PS2_.has_indirect_call, 0
	.section	.AMDGPU.csdata,"",@progbits
; Kernel info:
; codeLenInByte = 1252
; TotalNumSgprs: 26
; NumVgprs: 22
; ScratchSize: 0
; MemoryBound: 0
; FloatMode: 240
; IeeeMode: 1
; LDSByteSize: 0 bytes/workgroup (compile time only)
; SGPRBlocks: 0
; VGPRBlocks: 1
; NumSGPRsForWavesPerEU: 26
; NumVGPRsForWavesPerEU: 22
; NamedBarCnt: 0
; Occupancy: 16
; WaveLimiterHint : 0
; COMPUTE_PGM_RSRC2:SCRATCH_EN: 0
; COMPUTE_PGM_RSRC2:USER_SGPR: 2
; COMPUTE_PGM_RSRC2:TRAP_HANDLER: 0
; COMPUTE_PGM_RSRC2:TGID_X_EN: 1
; COMPUTE_PGM_RSRC2:TGID_Y_EN: 0
; COMPUTE_PGM_RSRC2:TGID_Z_EN: 0
; COMPUTE_PGM_RSRC2:TIDIG_COMP_CNT: 0
	.section	.text._ZN9rocsparseL33bsr2csr_block_per_row_8_32_kernelILj1024ELj16EfiiEEv20rocsparse_direction_T3_S2_21rocsparse_index_base_PKT1_PKT2_PKS2_S2_S3_PS4_PS7_PS2_,"axG",@progbits,_ZN9rocsparseL33bsr2csr_block_per_row_8_32_kernelILj1024ELj16EfiiEEv20rocsparse_direction_T3_S2_21rocsparse_index_base_PKT1_PKT2_PKS2_S2_S3_PS4_PS7_PS2_,comdat
	.globl	_ZN9rocsparseL33bsr2csr_block_per_row_8_32_kernelILj1024ELj16EfiiEEv20rocsparse_direction_T3_S2_21rocsparse_index_base_PKT1_PKT2_PKS2_S2_S3_PS4_PS7_PS2_ ; -- Begin function _ZN9rocsparseL33bsr2csr_block_per_row_8_32_kernelILj1024ELj16EfiiEEv20rocsparse_direction_T3_S2_21rocsparse_index_base_PKT1_PKT2_PKS2_S2_S3_PS4_PS7_PS2_
	.p2align	8
	.type	_ZN9rocsparseL33bsr2csr_block_per_row_8_32_kernelILj1024ELj16EfiiEEv20rocsparse_direction_T3_S2_21rocsparse_index_base_PKT1_PKT2_PKS2_S2_S3_PS4_PS7_PS2_,@function
_ZN9rocsparseL33bsr2csr_block_per_row_8_32_kernelILj1024ELj16EfiiEEv20rocsparse_direction_T3_S2_21rocsparse_index_base_PKT1_PKT2_PKS2_S2_S3_PS4_PS7_PS2_: ; @_ZN9rocsparseL33bsr2csr_block_per_row_8_32_kernelILj1024ELj16EfiiEEv20rocsparse_direction_T3_S2_21rocsparse_index_base_PKT1_PKT2_PKS2_S2_S3_PS4_PS7_PS2_
; %bb.0:
	s_clause 0x1
	s_load_b64 s[4:5], s[0:1], 0x28
	s_load_b64 s[2:3], s[0:1], 0x38
	s_bfe_u32 s6, ttmp6, 0x4000c
	s_and_b32 s7, ttmp6, 15
	s_add_co_i32 s6, s6, 1
	s_getreg_b32 s8, hwreg(HW_REG_IB_STS2, 6, 4)
	s_mul_i32 s6, ttmp9, s6
	s_delay_alu instid0(SALU_CYCLE_1) | instskip(SKIP_4) | instid1(VALU_DEP_1)
	s_add_co_i32 s7, s7, s6
	s_cmp_eq_u32 s8, 0
	s_cselect_b32 s6, ttmp9, s7
	s_mov_b32 s7, exec_lo
	v_or_b32_e32 v1, s6, v0
	v_cmpx_eq_u32_e32 0, v1
	s_cbranch_execz .LBB112_2
; %bb.1:
	s_wait_kmcnt 0x0
	v_dual_mov_b32 v1, 0 :: v_dual_mov_b32 v2, s5
	global_store_b32 v1, v2, s[2:3]
.LBB112_2:
	s_wait_xcnt 0x0
	s_or_b32 exec_lo, exec_lo, s7
	v_and_b32_e32 v10, 15, v0
	v_bfe_u32 v4, v0, 4, 4
	s_mov_b32 s7, exec_lo
	s_delay_alu instid0(VALU_DEP_1) | instskip(SKIP_1) | instid1(VALU_DEP_1)
	v_max_i32_e32 v1, v4, v10
	s_wait_kmcnt 0x0
	v_cmpx_gt_i32_e64 s4, v1
	s_cbranch_execz .LBB112_15
; %bb.3:
	s_clause 0x1
	s_load_b64 s[8:9], s[0:1], 0x18
	s_load_b32 s16, s[0:1], 0xc
	s_ashr_i32 s7, s6, 31
	s_mul_i32 s17, s4, s4
	s_lshl_b64 s[10:11], s[6:7], 2
	v_lshrrev_b32_e32 v5, 8, v0
	v_mad_u32 v2, s4, s6, v4
	s_wait_kmcnt 0x0
	s_add_nc_u64 s[8:9], s[8:9], s[10:11]
	s_load_b64 s[12:13], s[8:9], 0x0
	s_wait_kmcnt 0x0
	s_sub_co_i32 s18, s12, s16
	s_sub_co_i32 s13, s13, s16
	s_mul_i32 s7, s18, s17
	s_sub_co_i32 s19, s13, s18
	v_add_nc_u32_e32 v0, s18, v5
	s_mul_i32 s8, s19, s4
	s_delay_alu instid0(SALU_CYCLE_1) | instskip(NEXT) | instid1(VALU_DEP_2)
	v_mad_u32 v1, s8, v4, s7
	v_cmp_gt_i32_e32 vcc_lo, s13, v0
	s_delay_alu instid0(VALU_DEP_2)
	v_add3_u32 v3, s8, s5, v1
	global_store_b32 v2, v3, s[2:3] offset:4 scale_offset
	s_wait_xcnt 0x0
	s_and_b32 exec_lo, exec_lo, vcc_lo
	s_cbranch_execz .LBB112_15
; %bb.4:
	s_clause 0x2
	s_load_b64 s[6:7], s[0:1], 0x20
	s_load_b64 s[8:9], s[0:1], 0x30
	s_load_b32 s2, s[0:1], 0x0
	v_add_nc_u32_e32 v2, s12, v5
	s_clause 0x1
	s_load_b64 s[10:11], s[0:1], 0x10
	s_load_b64 s[14:15], s[0:1], 0x40
	v_mad_u32 v11, s4, v10, v4
	v_mad_u32 v12, s4, v4, v10
	v_mul_lo_u32 v13, s19, v4
	v_subrev_nc_u32_e32 v2, s16, v2
	s_wait_xcnt 0x0
	s_mov_b32 s1, 0
	s_mul_i32 s3, s4, s18
                                        ; implicit-def: $vgpr6
                                        ; implicit-def: $vgpr3
	s_delay_alu instid0(VALU_DEP_1)
	v_add_max_i32_e64 v2, v2, 4, s13
	s_wait_kmcnt 0x0
	s_cmp_eq_u32 s2, 0
	s_mov_b32 s2, exec_lo
	s_cselect_b32 vcc_lo, -1, 0
	s_not_b32 s0, s12
	s_delay_alu instid0(SALU_CYCLE_1) | instskip(NEXT) | instid1(VALU_DEP_1)
	v_add3_u32 v2, s0, s16, v2
	v_dual_sub_nc_u32 v7, v2, v5 :: v_dual_add_nc_u32 v2, s5, v10
	s_delay_alu instid0(VALU_DEP_1)
	v_cmpx_lt_u32_e32 0x63, v7
	s_xor_b32 s5, exec_lo, s2
	s_cbranch_execnz .LBB112_7
; %bb.5:
	s_and_not1_saveexec_b32 s0, s5
	s_cbranch_execnz .LBB112_12
.LBB112_6:
	s_or_b32 exec_lo, exec_lo, s0
	s_delay_alu instid0(SALU_CYCLE_1)
	s_and_b32 exec_lo, exec_lo, s1
	s_cbranch_execnz .LBB112_13
	s_branch .LBB112_15
.LBB112_7:
	v_mul_lo_u32 v13, s19, v4
	s_lshl_b32 s19, s4, 2
	s_mov_b32 s20, 0
	s_sub_co_i32 s1, 0, s19
	s_cmp_lt_i32 s19, 0
	s_cselect_b32 s0, -1, 0
	s_delay_alu instid0(SALU_CYCLE_1) | instskip(SKIP_1) | instid1(VALU_DEP_1)
	s_and_b32 s2, s0, exec_lo
	s_cselect_b32 s2, s1, s19
	v_add3_u32 v4, v5, s3, v13
	s_delay_alu instid0(VALU_DEP_1) | instskip(SKIP_1) | instid1(VALU_DEP_1)
	v_mad_u32 v4, s4, v4, v10
	v_lshrrev_b32_e32 v3, 2, v7
	v_mul_lo_u32 v5, s2, v3
	s_delay_alu instid0(VALU_DEP_1) | instskip(NEXT) | instid1(VALU_DEP_1)
	v_sub_nc_u32_e32 v6, v4, v5
	v_cmp_gt_i32_e64 s1, v6, v4
	s_delay_alu instid0(VALU_DEP_1) | instskip(SKIP_1) | instid1(VALU_DEP_1)
	v_cndmask_b32_e64 v6, 0, 1, s1
	v_add_nc_u32_e32 v5, v4, v5
	v_cmp_lt_i32_e64 s1, v5, v4
	v_mul_hi_u32 v5, s2, v3
	s_delay_alu instid0(VALU_DEP_2) | instskip(NEXT) | instid1(VALU_DEP_1)
	v_cndmask_b32_e64 v4, 0, 1, s1
	v_dual_cndmask_b32 v4, v4, v6, s0 :: v_dual_bitop2_b32 v6, -4, v7 bitop3:0x40
	s_delay_alu instid0(VALU_DEP_3) | instskip(NEXT) | instid1(VALU_DEP_2)
	v_cmp_eq_u32_e64 s1, 0, v5
	v_dual_add_nc_u32 v6, v0, v6 :: v_dual_bitop2_b32 v4, 1, v4 bitop3:0x40
	s_delay_alu instid0(VALU_DEP_1) | instskip(NEXT) | instid1(VALU_DEP_2)
	v_cmp_eq_u32_e64 s0, 1, v4
	v_cmp_ge_i32_e64 s2, v6, v0
	s_xor_b32 s0, s0, -1
	s_delay_alu instid0(SALU_CYCLE_1) | instskip(SKIP_2) | instid1(SALU_CYCLE_1)
	s_and_b32 s1, s0, s1
	s_mov_b32 s0, -1
	s_and_b32 s2, s2, s1
	s_and_saveexec_b32 s1, s2
	s_cbranch_execz .LBB112_11
; %bb.8:
	v_dual_add_nc_u32 v14, 1, v3 :: v_dual_add_nc_u32 v4, v1, v10
	v_dual_cndmask_b32 v6, v11, v12 :: v_dual_mov_b32 v3, v2
	v_add_nc_u32_e32 v1, 4, v0
	s_delay_alu instid0(VALU_DEP_3) | instskip(NEXT) | instid1(VALU_DEP_3)
	v_and_b32_e32 v15, 0x7ffffffe, v14
	v_dual_mov_b32 v7, v4 :: v_dual_mov_b32 v5, v6
	s_mov_b32 s2, s16
	s_delay_alu instid0(VALU_DEP_3) | instskip(NEXT) | instid1(VALU_DEP_3)
	v_mov_b64_e32 v[8:9], v[0:1]
	v_mov_b32_e32 v16, v15
	s_mov_b32 s21, s18
	s_mov_b32 s22, s4
	;; [unrolled: 1-line block ×3, first 2 shown]
.LBB112_9:                              ; =>This Inner Loop Header: Depth=1
	s_clause 0x1
	global_load_b32 v1, v8, s[6:7] scale_offset
	global_load_b32 v17, v9, s[6:7] scale_offset
	v_mad_u32 v18, v8, s17, v6
	v_mad_u32 v19, v9, s23, v5
	v_add_nc_u32_e32 v16, -2, v16
	s_clause 0x1
	global_load_b32 v20, v18, s[10:11] scale_offset
	global_load_b32 v21, v19, s[10:11] scale_offset
	s_wait_xcnt 0x0
	v_subrev_nc_u32_e32 v19, s18, v8
	v_subrev_nc_u32_e32 v18, s21, v9
	v_add_nc_u32_e32 v9, 8, v9
	v_cmp_eq_u32_e64 s0, 0, v16
	v_add_nc_u32_e32 v8, 8, v8
	v_mad_u32 v19, v19, s4, v4
	v_mad_u32 v18, v18, s22, v7
	s_or_b32 s20, s0, s20
	s_wait_loadcnt 0x3
	v_subrev_nc_u32_e32 v1, s16, v1
	s_wait_loadcnt 0x2
	v_subrev_nc_u32_e32 v17, s2, v17
	s_delay_alu instid0(VALU_DEP_2) | instskip(NEXT) | instid1(VALU_DEP_2)
	v_mad_u32 v1, v1, s4, v2
	v_mad_u32 v17, v17, s22, v3
	global_store_b32 v19, v1, s[14:15] scale_offset
	s_wait_loadcnt 0x1
	global_store_b32 v19, v20, s[8:9] scale_offset
	global_store_b32 v18, v17, s[14:15] scale_offset
	s_wait_loadcnt 0x0
	global_store_b32 v18, v21, s[8:9] scale_offset
	s_wait_xcnt 0x0
	s_and_not1_b32 exec_lo, exec_lo, s20
	s_cbranch_execnz .LBB112_9
; %bb.10:
	s_or_b32 exec_lo, exec_lo, s20
	v_cmp_ne_u32_e64 s0, v14, v15
	v_lshl_add_u32 v0, v15, 2, v0
	s_or_not1_b32 s0, s0, exec_lo
.LBB112_11:
	s_or_b32 exec_lo, exec_lo, s1
	v_dual_mov_b32 v3, s19 :: v_dual_mov_b32 v6, s3
	s_and_b32 s1, s0, exec_lo
	s_and_not1_saveexec_b32 s0, s5
	s_cbranch_execz .LBB112_6
.LBB112_12:
	s_lshl_b32 s2, s4, 2
	s_delay_alu instid0(SALU_CYCLE_1) | instskip(SKIP_2) | instid1(SALU_CYCLE_1)
	v_dual_mov_b32 v6, s3 :: v_dual_mov_b32 v3, s2
	s_or_b32 s1, s1, exec_lo
	s_or_b32 exec_lo, exec_lo, s0
	s_and_b32 exec_lo, exec_lo, s1
	s_cbranch_execz .LBB112_15
.LBB112_13:
	v_add_nc_u32_e32 v1, s16, v0
	v_cndmask_b32_e32 v4, v11, v12, vcc_lo
	s_lshl_b32 s0, s17, 2
	s_mov_b32 s1, 0
	s_delay_alu instid0(VALU_DEP_2) | instskip(NEXT) | instid1(VALU_DEP_1)
	v_add3_u32 v1, v1, v6, v13
	v_subrev_nc_u32_e32 v5, s12, v1
	v_mad_u32 v1, v0, s17, v4
	s_delay_alu instid0(VALU_DEP_2)
	v_mad_u32 v4, s4, v5, v10
.LBB112_14:                             ; =>This Inner Loop Header: Depth=1
	global_load_b32 v5, v0, s[6:7] scale_offset
	global_load_b32 v6, v1, s[10:11] scale_offset
	s_wait_xcnt 0x0
	v_dual_add_nc_u32 v0, 4, v0 :: v_dual_add_nc_u32 v1, s0, v1
	s_delay_alu instid0(VALU_DEP_1) | instskip(SKIP_3) | instid1(VALU_DEP_1)
	v_cmp_le_i32_e32 vcc_lo, s13, v0
	s_or_b32 s1, vcc_lo, s1
	s_wait_loadcnt 0x1
	v_subrev_nc_u32_e32 v5, s16, v5
	v_mad_u32 v5, v5, s4, v2
	global_store_b32 v4, v5, s[14:15] scale_offset
	s_wait_loadcnt 0x0
	global_store_b32 v4, v6, s[8:9] scale_offset
	s_wait_xcnt 0x0
	v_add_nc_u32_e32 v4, v4, v3
	s_and_not1_b32 exec_lo, exec_lo, s1
	s_cbranch_execnz .LBB112_14
.LBB112_15:
	s_endpgm
	.section	.rodata,"a",@progbits
	.p2align	6, 0x0
	.amdhsa_kernel _ZN9rocsparseL33bsr2csr_block_per_row_8_32_kernelILj1024ELj16EfiiEEv20rocsparse_direction_T3_S2_21rocsparse_index_base_PKT1_PKT2_PKS2_S2_S3_PS4_PS7_PS2_
		.amdhsa_group_segment_fixed_size 0
		.amdhsa_private_segment_fixed_size 0
		.amdhsa_kernarg_size 72
		.amdhsa_user_sgpr_count 2
		.amdhsa_user_sgpr_dispatch_ptr 0
		.amdhsa_user_sgpr_queue_ptr 0
		.amdhsa_user_sgpr_kernarg_segment_ptr 1
		.amdhsa_user_sgpr_dispatch_id 0
		.amdhsa_user_sgpr_kernarg_preload_length 0
		.amdhsa_user_sgpr_kernarg_preload_offset 0
		.amdhsa_user_sgpr_private_segment_size 0
		.amdhsa_wavefront_size32 1
		.amdhsa_uses_dynamic_stack 0
		.amdhsa_enable_private_segment 0
		.amdhsa_system_sgpr_workgroup_id_x 1
		.amdhsa_system_sgpr_workgroup_id_y 0
		.amdhsa_system_sgpr_workgroup_id_z 0
		.amdhsa_system_sgpr_workgroup_info 0
		.amdhsa_system_vgpr_workitem_id 0
		.amdhsa_next_free_vgpr 22
		.amdhsa_next_free_sgpr 24
		.amdhsa_named_barrier_count 0
		.amdhsa_reserve_vcc 1
		.amdhsa_float_round_mode_32 0
		.amdhsa_float_round_mode_16_64 0
		.amdhsa_float_denorm_mode_32 3
		.amdhsa_float_denorm_mode_16_64 3
		.amdhsa_fp16_overflow 0
		.amdhsa_memory_ordered 1
		.amdhsa_forward_progress 1
		.amdhsa_inst_pref_size 10
		.amdhsa_round_robin_scheduling 0
		.amdhsa_exception_fp_ieee_invalid_op 0
		.amdhsa_exception_fp_denorm_src 0
		.amdhsa_exception_fp_ieee_div_zero 0
		.amdhsa_exception_fp_ieee_overflow 0
		.amdhsa_exception_fp_ieee_underflow 0
		.amdhsa_exception_fp_ieee_inexact 0
		.amdhsa_exception_int_div_zero 0
	.end_amdhsa_kernel
	.section	.text._ZN9rocsparseL33bsr2csr_block_per_row_8_32_kernelILj1024ELj16EfiiEEv20rocsparse_direction_T3_S2_21rocsparse_index_base_PKT1_PKT2_PKS2_S2_S3_PS4_PS7_PS2_,"axG",@progbits,_ZN9rocsparseL33bsr2csr_block_per_row_8_32_kernelILj1024ELj16EfiiEEv20rocsparse_direction_T3_S2_21rocsparse_index_base_PKT1_PKT2_PKS2_S2_S3_PS4_PS7_PS2_,comdat
.Lfunc_end112:
	.size	_ZN9rocsparseL33bsr2csr_block_per_row_8_32_kernelILj1024ELj16EfiiEEv20rocsparse_direction_T3_S2_21rocsparse_index_base_PKT1_PKT2_PKS2_S2_S3_PS4_PS7_PS2_, .Lfunc_end112-_ZN9rocsparseL33bsr2csr_block_per_row_8_32_kernelILj1024ELj16EfiiEEv20rocsparse_direction_T3_S2_21rocsparse_index_base_PKT1_PKT2_PKS2_S2_S3_PS4_PS7_PS2_
                                        ; -- End function
	.set _ZN9rocsparseL33bsr2csr_block_per_row_8_32_kernelILj1024ELj16EfiiEEv20rocsparse_direction_T3_S2_21rocsparse_index_base_PKT1_PKT2_PKS2_S2_S3_PS4_PS7_PS2_.num_vgpr, 22
	.set _ZN9rocsparseL33bsr2csr_block_per_row_8_32_kernelILj1024ELj16EfiiEEv20rocsparse_direction_T3_S2_21rocsparse_index_base_PKT1_PKT2_PKS2_S2_S3_PS4_PS7_PS2_.num_agpr, 0
	.set _ZN9rocsparseL33bsr2csr_block_per_row_8_32_kernelILj1024ELj16EfiiEEv20rocsparse_direction_T3_S2_21rocsparse_index_base_PKT1_PKT2_PKS2_S2_S3_PS4_PS7_PS2_.numbered_sgpr, 24
	.set _ZN9rocsparseL33bsr2csr_block_per_row_8_32_kernelILj1024ELj16EfiiEEv20rocsparse_direction_T3_S2_21rocsparse_index_base_PKT1_PKT2_PKS2_S2_S3_PS4_PS7_PS2_.num_named_barrier, 0
	.set _ZN9rocsparseL33bsr2csr_block_per_row_8_32_kernelILj1024ELj16EfiiEEv20rocsparse_direction_T3_S2_21rocsparse_index_base_PKT1_PKT2_PKS2_S2_S3_PS4_PS7_PS2_.private_seg_size, 0
	.set _ZN9rocsparseL33bsr2csr_block_per_row_8_32_kernelILj1024ELj16EfiiEEv20rocsparse_direction_T3_S2_21rocsparse_index_base_PKT1_PKT2_PKS2_S2_S3_PS4_PS7_PS2_.uses_vcc, 1
	.set _ZN9rocsparseL33bsr2csr_block_per_row_8_32_kernelILj1024ELj16EfiiEEv20rocsparse_direction_T3_S2_21rocsparse_index_base_PKT1_PKT2_PKS2_S2_S3_PS4_PS7_PS2_.uses_flat_scratch, 0
	.set _ZN9rocsparseL33bsr2csr_block_per_row_8_32_kernelILj1024ELj16EfiiEEv20rocsparse_direction_T3_S2_21rocsparse_index_base_PKT1_PKT2_PKS2_S2_S3_PS4_PS7_PS2_.has_dyn_sized_stack, 0
	.set _ZN9rocsparseL33bsr2csr_block_per_row_8_32_kernelILj1024ELj16EfiiEEv20rocsparse_direction_T3_S2_21rocsparse_index_base_PKT1_PKT2_PKS2_S2_S3_PS4_PS7_PS2_.has_recursion, 0
	.set _ZN9rocsparseL33bsr2csr_block_per_row_8_32_kernelILj1024ELj16EfiiEEv20rocsparse_direction_T3_S2_21rocsparse_index_base_PKT1_PKT2_PKS2_S2_S3_PS4_PS7_PS2_.has_indirect_call, 0
	.section	.AMDGPU.csdata,"",@progbits
; Kernel info:
; codeLenInByte = 1252
; TotalNumSgprs: 26
; NumVgprs: 22
; ScratchSize: 0
; MemoryBound: 0
; FloatMode: 240
; IeeeMode: 1
; LDSByteSize: 0 bytes/workgroup (compile time only)
; SGPRBlocks: 0
; VGPRBlocks: 1
; NumSGPRsForWavesPerEU: 26
; NumVGPRsForWavesPerEU: 22
; NamedBarCnt: 0
; Occupancy: 16
; WaveLimiterHint : 0
; COMPUTE_PGM_RSRC2:SCRATCH_EN: 0
; COMPUTE_PGM_RSRC2:USER_SGPR: 2
; COMPUTE_PGM_RSRC2:TRAP_HANDLER: 0
; COMPUTE_PGM_RSRC2:TGID_X_EN: 1
; COMPUTE_PGM_RSRC2:TGID_Y_EN: 0
; COMPUTE_PGM_RSRC2:TGID_Z_EN: 0
; COMPUTE_PGM_RSRC2:TIDIG_COMP_CNT: 0
	.section	.text._ZN9rocsparseL33bsr2csr_block_per_row_8_32_kernelILj1024ELj32EfiiEEv20rocsparse_direction_T3_S2_21rocsparse_index_base_PKT1_PKT2_PKS2_S2_S3_PS4_PS7_PS2_,"axG",@progbits,_ZN9rocsparseL33bsr2csr_block_per_row_8_32_kernelILj1024ELj32EfiiEEv20rocsparse_direction_T3_S2_21rocsparse_index_base_PKT1_PKT2_PKS2_S2_S3_PS4_PS7_PS2_,comdat
	.globl	_ZN9rocsparseL33bsr2csr_block_per_row_8_32_kernelILj1024ELj32EfiiEEv20rocsparse_direction_T3_S2_21rocsparse_index_base_PKT1_PKT2_PKS2_S2_S3_PS4_PS7_PS2_ ; -- Begin function _ZN9rocsparseL33bsr2csr_block_per_row_8_32_kernelILj1024ELj32EfiiEEv20rocsparse_direction_T3_S2_21rocsparse_index_base_PKT1_PKT2_PKS2_S2_S3_PS4_PS7_PS2_
	.p2align	8
	.type	_ZN9rocsparseL33bsr2csr_block_per_row_8_32_kernelILj1024ELj32EfiiEEv20rocsparse_direction_T3_S2_21rocsparse_index_base_PKT1_PKT2_PKS2_S2_S3_PS4_PS7_PS2_,@function
_ZN9rocsparseL33bsr2csr_block_per_row_8_32_kernelILj1024ELj32EfiiEEv20rocsparse_direction_T3_S2_21rocsparse_index_base_PKT1_PKT2_PKS2_S2_S3_PS4_PS7_PS2_: ; @_ZN9rocsparseL33bsr2csr_block_per_row_8_32_kernelILj1024ELj32EfiiEEv20rocsparse_direction_T3_S2_21rocsparse_index_base_PKT1_PKT2_PKS2_S2_S3_PS4_PS7_PS2_
; %bb.0:
	s_clause 0x1
	s_load_b64 s[2:3], s[0:1], 0x28
	s_load_b64 s[4:5], s[0:1], 0x38
	s_bfe_u32 s6, ttmp6, 0x4000c
	s_and_b32 s7, ttmp6, 15
	s_add_co_i32 s6, s6, 1
	s_getreg_b32 s8, hwreg(HW_REG_IB_STS2, 6, 4)
	s_mul_i32 s6, ttmp9, s6
	s_delay_alu instid0(SALU_CYCLE_1) | instskip(SKIP_4) | instid1(VALU_DEP_1)
	s_add_co_i32 s7, s7, s6
	s_cmp_eq_u32 s8, 0
	s_cselect_b32 s6, ttmp9, s7
	s_mov_b32 s7, exec_lo
	v_or_b32_e32 v1, s6, v0
	v_cmpx_eq_u32_e32 0, v1
	s_cbranch_execz .LBB113_2
; %bb.1:
	s_wait_kmcnt 0x0
	v_dual_mov_b32 v1, 0 :: v_dual_mov_b32 v2, s3
	global_store_b32 v1, v2, s[4:5]
.LBB113_2:
	s_wait_xcnt 0x0
	s_or_b32 exec_lo, exec_lo, s7
	v_dual_lshrrev_b32 v1, 5, v0 :: v_dual_bitop2_b32 v6, 31, v0 bitop3:0x40
	s_mov_b32 s7, exec_lo
	s_delay_alu instid0(VALU_DEP_1) | instskip(SKIP_1) | instid1(VALU_DEP_1)
	v_max_i32_e32 v0, v1, v6
	s_wait_kmcnt 0x0
	v_cmpx_gt_i32_e64 s2, v0
	s_cbranch_execz .LBB113_18
; %bb.3:
	s_clause 0x1
	s_load_b64 s[8:9], s[0:1], 0x18
	s_load_b32 s20, s[0:1], 0xc
	s_ashr_i32 s7, s6, 31
	s_mul_i32 s22, s2, s2
	s_lshl_b64 s[10:11], s[6:7], 2
	v_mad_u32 v2, s2, s6, v1
	s_wait_kmcnt 0x0
	s_add_nc_u64 s[8:9], s[8:9], s[10:11]
	s_load_b64 s[10:11], s[8:9], 0x0
	s_wait_kmcnt 0x0
	s_sub_co_i32 s12, s10, s20
	s_sub_co_i32 s21, s11, s20
	s_mul_i32 s23, s12, s22
	s_sub_co_i32 s13, s21, s12
	s_delay_alu instid0(SALU_CYCLE_1) | instskip(NEXT) | instid1(SALU_CYCLE_1)
	s_mul_i32 s7, s13, s2
	s_add_co_i32 s8, s7, s3
	s_delay_alu instid0(SALU_CYCLE_1)
	s_add_co_i32 s8, s8, s23
	s_cmp_ge_i32 s10, s11
	v_mad_u32 v0, s7, v1, s8
	global_store_b32 v2, v0, s[4:5] offset:4 scale_offset
	s_cbranch_scc1 .LBB113_18
; %bb.4:
	s_clause 0x4
	s_load_b64 s[14:15], s[0:1], 0x20
	s_load_b32 s11, s[0:1], 0x0
	s_load_b64 s[4:5], s[0:1], 0x10
	s_load_b64 s[6:7], s[0:1], 0x30
	;; [unrolled: 1-line block ×3, first 2 shown]
	v_mad_u32 v7, s2, v6, v1
	v_mad_u32 v8, s2, v1, v6
	v_mul_lo_u32 v9, v1, s13
	v_add_nc_u32_e32 v0, s3, v6
	s_wait_kmcnt 0x0
	s_cmp_eq_u32 s11, 0
	s_mov_b32 s11, 0
	s_cselect_b32 s0, -1, 0
	s_sub_co_i32 s1, s10, s20
	s_delay_alu instid0(SALU_CYCLE_1) | instskip(NEXT) | instid1(SALU_CYCLE_1)
	s_add_co_i32 s1, s1, 1
	s_max_i32 s1, s1, s21
	s_delay_alu instid0(SALU_CYCLE_1) | instskip(NEXT) | instid1(SALU_CYCLE_1)
	s_add_co_i32 s1, s20, s1
	s_sub_co_i32 s3, s1, s10
	s_delay_alu instid0(SALU_CYCLE_1)
	s_cmp_gt_u32 s3, 7
	s_cbranch_scc0 .LBB113_10
; %bb.5:
	v_mul_lo_u32 v10, v1, s13
	s_cmp_eq_u32 s2, 1
	s_cselect_b32 s11, -1, 0
	s_not_b32 s13, s10
	s_delay_alu instid0(VALU_DEP_1) | instskip(NEXT) | instid1(VALU_DEP_1)
	v_add3_u32 v1, s10, v10, v6
	v_subrev_nc_u32_e32 v1, s20, v1
	s_delay_alu instid0(VALU_DEP_1) | instskip(NEXT) | instid1(VALU_DEP_1)
	v_add3_u32 v2, s1, s13, v1
	v_cmp_ge_i32_e32 vcc_lo, v2, v1
	v_dual_mov_b32 v2, s12 :: v_dual_mov_b32 v1, s23
	s_and_b32 s13, s11, vcc_lo
	s_mov_b32 s11, -1
	s_and_saveexec_b32 s1, s13
	s_cbranch_execz .LBB113_14
; %bb.6:
	v_dual_cndmask_b32 v2, v7, v8, s0 :: v_dual_mov_b32 v1, v0
	v_add3_u32 v4, s12, v10, v6
	s_and_b32 s11, s3, -2
	s_add_co_i32 s13, s12, 1
	s_delay_alu instid0(VALU_DEP_2)
	v_mov_b32_e32 v3, v2
	s_mov_b32 s24, s20
	s_mov_b32 s25, s22
	;; [unrolled: 1-line block ×4, first 2 shown]
	s_mov_b64 s[18:19], s[12:13]
.LBB113_7:                              ; =>This Inner Loop Header: Depth=1
	s_delay_alu instid0(SALU_CYCLE_1)
	v_mad_u32 v5, s18, s22, v2
	v_mad_u32 v11, s19, s25, v3
	s_ashr_i32 s17, s16, 31
	s_add_co_i32 s26, s26, -2
	s_lshl_b64 s[28:29], s[16:17], 2
	s_add_co_i32 s19, s19, 2
	s_add_nc_u64 s[28:29], s[14:15], s[28:29]
	s_add_co_i32 s18, s18, 2
	s_add_co_i32 s16, s16, 2
	s_clause 0x1
	global_load_b32 v12, v5, s[4:5] scale_offset
	global_load_b32 v13, v11, s[4:5] scale_offset
	s_load_b64 s[30:31], s[28:29], 0x0
	s_wait_kmcnt 0x0
	s_sub_co_i32 s13, s31, s24
	s_delay_alu instid0(SALU_CYCLE_1) | instskip(SKIP_3) | instid1(VALU_DEP_2)
	v_dual_ashrrev_i32 v5, 31, v4 :: v_dual_add_nc_u32 v19, s13, v1
	s_sub_co_i32 s17, s30, s20
	s_cmp_lg_u32 s26, 0
	v_add_nc_u32_e32 v18, s17, v0
	v_lshlrev_b64_e32 v[14:15], 2, v[4:5]
	v_add_nc_u32_e32 v4, 2, v4
	s_delay_alu instid0(VALU_DEP_2)
	v_add_nc_u64_e32 v[16:17], s[8:9], v[14:15]
	v_add_nc_u64_e32 v[14:15], s[6:7], v[14:15]
	global_store_b64 v[16:17], v[18:19], off
	s_wait_loadcnt 0x0
	global_store_b64 v[14:15], v[12:13], off
	s_cbranch_scc1 .LBB113_7
; %bb.8:
	s_cmp_eq_u32 s3, s11
	s_cbranch_scc1 .LBB113_12
; %bb.9:
	s_add_co_i32 s11, s12, s11
	s_mov_b32 s3, -1
	s_mul_i32 s13, s11, s22
	s_branch .LBB113_13
.LBB113_10:
                                        ; implicit-def: $vgpr2
                                        ; implicit-def: $vgpr1
                                        ; implicit-def: $vgpr10
	s_cbranch_execnz .LBB113_15
.LBB113_11:
	v_mov_b32_e32 v9, v10
	s_and_b32 exec_lo, exec_lo, s11
	s_cbranch_execnz .LBB113_16
	s_branch .LBB113_18
.LBB113_12:
	s_mov_b32 s3, 0
                                        ; implicit-def: $sgpr11
                                        ; implicit-def: $sgpr13
.LBB113_13:
	v_dual_mov_b32 v2, s11 :: v_dual_mov_b32 v1, s13
	s_or_not1_b32 s11, s3, exec_lo
.LBB113_14:
	s_wait_xcnt 0x0
	s_or_b32 exec_lo, exec_lo, s1
	s_branch .LBB113_11
.LBB113_15:
	v_dual_mov_b32 v2, s12 :: v_dual_mov_b32 v1, s23
	s_or_b32 s11, s11, exec_lo
	s_delay_alu instid0(SALU_CYCLE_1)
	s_and_b32 exec_lo, exec_lo, s11
	s_cbranch_execz .LBB113_18
.LBB113_16:
	s_mul_i32 s1, s2, s12
	v_cndmask_b32_e64 v4, v7, v8, s0
	s_add_co_i32 s1, s1, s20
	s_mov_b32 s0, 0
	v_add3_u32 v3, s1, v2, v9
	s_delay_alu instid0(VALU_DEP_1) | instskip(NEXT) | instid1(VALU_DEP_1)
	v_subrev_nc_u32_e32 v3, s10, v3
	v_mad_u32 v6, s2, v3, v6
	v_dual_ashrrev_i32 v3, 31, v2 :: v_dual_add_nc_u32 v1, v4, v1
	s_delay_alu instid0(VALU_DEP_1)
	v_lshl_add_u64 v[4:5], v[2:3], 2, s[14:15]
.LBB113_17:                             ; =>This Inner Loop Header: Depth=1
	global_load_b32 v3, v[4:5], off
	global_load_b32 v7, v1, s[4:5] scale_offset
	s_wait_xcnt 0x0
	v_dual_add_nc_u32 v2, 1, v2 :: v_dual_add_nc_u32 v1, s22, v1
	v_add_nc_u64_e32 v[4:5], 4, v[4:5]
	s_delay_alu instid0(VALU_DEP_2) | instskip(SKIP_3) | instid1(VALU_DEP_1)
	v_cmp_le_i32_e32 vcc_lo, s21, v2
	s_or_b32 s0, vcc_lo, s0
	s_wait_loadcnt 0x1
	v_subrev_nc_u32_e32 v3, s20, v3
	v_mad_u32 v3, v3, s2, v0
	global_store_b32 v6, v3, s[8:9] scale_offset
	s_wait_loadcnt 0x0
	global_store_b32 v6, v7, s[6:7] scale_offset
	s_wait_xcnt 0x0
	v_add_nc_u32_e32 v6, s2, v6
	s_and_not1_b32 exec_lo, exec_lo, s0
	s_cbranch_execnz .LBB113_17
.LBB113_18:
	s_endpgm
	.section	.rodata,"a",@progbits
	.p2align	6, 0x0
	.amdhsa_kernel _ZN9rocsparseL33bsr2csr_block_per_row_8_32_kernelILj1024ELj32EfiiEEv20rocsparse_direction_T3_S2_21rocsparse_index_base_PKT1_PKT2_PKS2_S2_S3_PS4_PS7_PS2_
		.amdhsa_group_segment_fixed_size 0
		.amdhsa_private_segment_fixed_size 0
		.amdhsa_kernarg_size 72
		.amdhsa_user_sgpr_count 2
		.amdhsa_user_sgpr_dispatch_ptr 0
		.amdhsa_user_sgpr_queue_ptr 0
		.amdhsa_user_sgpr_kernarg_segment_ptr 1
		.amdhsa_user_sgpr_dispatch_id 0
		.amdhsa_user_sgpr_kernarg_preload_length 0
		.amdhsa_user_sgpr_kernarg_preload_offset 0
		.amdhsa_user_sgpr_private_segment_size 0
		.amdhsa_wavefront_size32 1
		.amdhsa_uses_dynamic_stack 0
		.amdhsa_enable_private_segment 0
		.amdhsa_system_sgpr_workgroup_id_x 1
		.amdhsa_system_sgpr_workgroup_id_y 0
		.amdhsa_system_sgpr_workgroup_id_z 0
		.amdhsa_system_sgpr_workgroup_info 0
		.amdhsa_system_vgpr_workitem_id 0
		.amdhsa_next_free_vgpr 20
		.amdhsa_next_free_sgpr 32
		.amdhsa_named_barrier_count 0
		.amdhsa_reserve_vcc 1
		.amdhsa_float_round_mode_32 0
		.amdhsa_float_round_mode_16_64 0
		.amdhsa_float_denorm_mode_32 3
		.amdhsa_float_denorm_mode_16_64 3
		.amdhsa_fp16_overflow 0
		.amdhsa_memory_ordered 1
		.amdhsa_forward_progress 1
		.amdhsa_inst_pref_size 8
		.amdhsa_round_robin_scheduling 0
		.amdhsa_exception_fp_ieee_invalid_op 0
		.amdhsa_exception_fp_denorm_src 0
		.amdhsa_exception_fp_ieee_div_zero 0
		.amdhsa_exception_fp_ieee_overflow 0
		.amdhsa_exception_fp_ieee_underflow 0
		.amdhsa_exception_fp_ieee_inexact 0
		.amdhsa_exception_int_div_zero 0
	.end_amdhsa_kernel
	.section	.text._ZN9rocsparseL33bsr2csr_block_per_row_8_32_kernelILj1024ELj32EfiiEEv20rocsparse_direction_T3_S2_21rocsparse_index_base_PKT1_PKT2_PKS2_S2_S3_PS4_PS7_PS2_,"axG",@progbits,_ZN9rocsparseL33bsr2csr_block_per_row_8_32_kernelILj1024ELj32EfiiEEv20rocsparse_direction_T3_S2_21rocsparse_index_base_PKT1_PKT2_PKS2_S2_S3_PS4_PS7_PS2_,comdat
.Lfunc_end113:
	.size	_ZN9rocsparseL33bsr2csr_block_per_row_8_32_kernelILj1024ELj32EfiiEEv20rocsparse_direction_T3_S2_21rocsparse_index_base_PKT1_PKT2_PKS2_S2_S3_PS4_PS7_PS2_, .Lfunc_end113-_ZN9rocsparseL33bsr2csr_block_per_row_8_32_kernelILj1024ELj32EfiiEEv20rocsparse_direction_T3_S2_21rocsparse_index_base_PKT1_PKT2_PKS2_S2_S3_PS4_PS7_PS2_
                                        ; -- End function
	.set _ZN9rocsparseL33bsr2csr_block_per_row_8_32_kernelILj1024ELj32EfiiEEv20rocsparse_direction_T3_S2_21rocsparse_index_base_PKT1_PKT2_PKS2_S2_S3_PS4_PS7_PS2_.num_vgpr, 20
	.set _ZN9rocsparseL33bsr2csr_block_per_row_8_32_kernelILj1024ELj32EfiiEEv20rocsparse_direction_T3_S2_21rocsparse_index_base_PKT1_PKT2_PKS2_S2_S3_PS4_PS7_PS2_.num_agpr, 0
	.set _ZN9rocsparseL33bsr2csr_block_per_row_8_32_kernelILj1024ELj32EfiiEEv20rocsparse_direction_T3_S2_21rocsparse_index_base_PKT1_PKT2_PKS2_S2_S3_PS4_PS7_PS2_.numbered_sgpr, 32
	.set _ZN9rocsparseL33bsr2csr_block_per_row_8_32_kernelILj1024ELj32EfiiEEv20rocsparse_direction_T3_S2_21rocsparse_index_base_PKT1_PKT2_PKS2_S2_S3_PS4_PS7_PS2_.num_named_barrier, 0
	.set _ZN9rocsparseL33bsr2csr_block_per_row_8_32_kernelILj1024ELj32EfiiEEv20rocsparse_direction_T3_S2_21rocsparse_index_base_PKT1_PKT2_PKS2_S2_S3_PS4_PS7_PS2_.private_seg_size, 0
	.set _ZN9rocsparseL33bsr2csr_block_per_row_8_32_kernelILj1024ELj32EfiiEEv20rocsparse_direction_T3_S2_21rocsparse_index_base_PKT1_PKT2_PKS2_S2_S3_PS4_PS7_PS2_.uses_vcc, 1
	.set _ZN9rocsparseL33bsr2csr_block_per_row_8_32_kernelILj1024ELj32EfiiEEv20rocsparse_direction_T3_S2_21rocsparse_index_base_PKT1_PKT2_PKS2_S2_S3_PS4_PS7_PS2_.uses_flat_scratch, 0
	.set _ZN9rocsparseL33bsr2csr_block_per_row_8_32_kernelILj1024ELj32EfiiEEv20rocsparse_direction_T3_S2_21rocsparse_index_base_PKT1_PKT2_PKS2_S2_S3_PS4_PS7_PS2_.has_dyn_sized_stack, 0
	.set _ZN9rocsparseL33bsr2csr_block_per_row_8_32_kernelILj1024ELj32EfiiEEv20rocsparse_direction_T3_S2_21rocsparse_index_base_PKT1_PKT2_PKS2_S2_S3_PS4_PS7_PS2_.has_recursion, 0
	.set _ZN9rocsparseL33bsr2csr_block_per_row_8_32_kernelILj1024ELj32EfiiEEv20rocsparse_direction_T3_S2_21rocsparse_index_base_PKT1_PKT2_PKS2_S2_S3_PS4_PS7_PS2_.has_indirect_call, 0
	.section	.AMDGPU.csdata,"",@progbits
; Kernel info:
; codeLenInByte = 988
; TotalNumSgprs: 34
; NumVgprs: 20
; ScratchSize: 0
; MemoryBound: 0
; FloatMode: 240
; IeeeMode: 1
; LDSByteSize: 0 bytes/workgroup (compile time only)
; SGPRBlocks: 0
; VGPRBlocks: 1
; NumSGPRsForWavesPerEU: 34
; NumVGPRsForWavesPerEU: 20
; NamedBarCnt: 0
; Occupancy: 16
; WaveLimiterHint : 0
; COMPUTE_PGM_RSRC2:SCRATCH_EN: 0
; COMPUTE_PGM_RSRC2:USER_SGPR: 2
; COMPUTE_PGM_RSRC2:TRAP_HANDLER: 0
; COMPUTE_PGM_RSRC2:TGID_X_EN: 1
; COMPUTE_PGM_RSRC2:TGID_Y_EN: 0
; COMPUTE_PGM_RSRC2:TGID_Z_EN: 0
; COMPUTE_PGM_RSRC2:TIDIG_COMP_CNT: 0
	.section	.text._ZN9rocsparseL35bsr2csr_block_per_row_33_256_kernelILj1024ELj64ELj32EfiiEEv20rocsparse_direction_T4_S2_21rocsparse_index_base_PKT2_PKT3_PKS2_S2_S3_PS4_PS7_PS2_,"axG",@progbits,_ZN9rocsparseL35bsr2csr_block_per_row_33_256_kernelILj1024ELj64ELj32EfiiEEv20rocsparse_direction_T4_S2_21rocsparse_index_base_PKT2_PKT3_PKS2_S2_S3_PS4_PS7_PS2_,comdat
	.globl	_ZN9rocsparseL35bsr2csr_block_per_row_33_256_kernelILj1024ELj64ELj32EfiiEEv20rocsparse_direction_T4_S2_21rocsparse_index_base_PKT2_PKT3_PKS2_S2_S3_PS4_PS7_PS2_ ; -- Begin function _ZN9rocsparseL35bsr2csr_block_per_row_33_256_kernelILj1024ELj64ELj32EfiiEEv20rocsparse_direction_T4_S2_21rocsparse_index_base_PKT2_PKT3_PKS2_S2_S3_PS4_PS7_PS2_
	.p2align	8
	.type	_ZN9rocsparseL35bsr2csr_block_per_row_33_256_kernelILj1024ELj64ELj32EfiiEEv20rocsparse_direction_T4_S2_21rocsparse_index_base_PKT2_PKT3_PKS2_S2_S3_PS4_PS7_PS2_,@function
_ZN9rocsparseL35bsr2csr_block_per_row_33_256_kernelILj1024ELj64ELj32EfiiEEv20rocsparse_direction_T4_S2_21rocsparse_index_base_PKT2_PKT3_PKS2_S2_S3_PS4_PS7_PS2_: ; @_ZN9rocsparseL35bsr2csr_block_per_row_33_256_kernelILj1024ELj64ELj32EfiiEEv20rocsparse_direction_T4_S2_21rocsparse_index_base_PKT2_PKT3_PKS2_S2_S3_PS4_PS7_PS2_
; %bb.0:
	s_load_b64 s[2:3], s[0:1], 0x18
	s_bfe_u32 s4, ttmp6, 0x4000c
	s_and_b32 s5, ttmp6, 15
	s_add_co_i32 s4, s4, 1
	s_getreg_b32 s6, hwreg(HW_REG_IB_STS2, 6, 4)
	s_mul_i32 s4, ttmp9, s4
	s_delay_alu instid0(SALU_CYCLE_1)
	s_add_co_i32 s5, s5, s4
	s_cmp_eq_u32 s6, 0
	s_cselect_b32 s10, ttmp9, s5
	s_clause 0x1
	s_load_b64 s[4:5], s[0:1], 0x28
	s_load_b64 s[8:9], s[0:1], 0x38
	s_ashr_i32 s11, s10, 31
	v_or_b32_e32 v1, s10, v0
	s_lshl_b64 s[6:7], s[10:11], 2
	s_wait_kmcnt 0x0
	s_add_nc_u64 s[2:3], s[2:3], s[6:7]
	s_load_b64 s[14:15], s[2:3], 0x0
	s_wait_xcnt 0x0
	s_mov_b32 s2, exec_lo
	v_cmpx_eq_u32_e32 0, v1
	s_cbranch_execz .LBB114_2
; %bb.1:
	v_dual_mov_b32 v1, 0 :: v_dual_mov_b32 v2, s5
	global_store_b32 v1, v2, s[8:9]
.LBB114_2:
	s_wait_xcnt 0x0
	s_or_b32 exec_lo, exec_lo, s2
	s_load_b32 s16, s[0:1], 0xc
	v_lshrrev_b32_e32 v2, 5, v0
	s_mul_i32 s10, s4, s10
	s_delay_alu instid0(VALU_DEP_1)
	v_cmp_gt_i32_e64 s2, s4, v2
	s_wait_kmcnt 0x0
	s_sub_co_i32 s6, s14, s16
	s_sub_co_i32 s17, s15, s16
	s_mul_i32 s7, s4, s6
	s_sub_co_i32 s12, s17, s6
	s_mul_i32 s3, s7, s4
	s_mul_i32 s13, s12, s4
	s_add_co_i32 s18, s3, s5
	s_delay_alu instid0(SALU_CYCLE_1)
	s_add_co_i32 s18, s18, s13
	s_and_saveexec_b32 s3, s2
	s_cbranch_execz .LBB114_4
; %bb.3:
	v_mad_u32 v1, v2, s13, s18
	v_add_nc_u32_e32 v3, s10, v2
	global_store_b32 v3, v1, s[8:9] offset:4 scale_offset
.LBB114_4:
	s_wait_xcnt 0x0
	s_or_b32 exec_lo, exec_lo, s3
	v_or_b32_e32 v1, 32, v2
	s_delay_alu instid0(VALU_DEP_1)
	v_cmp_gt_i32_e64 s3, s4, v1
	s_and_saveexec_b32 s19, s3
	s_cbranch_execz .LBB114_6
; %bb.5:
	v_mov_b32_e32 v3, 0
	s_ashr_i32 s11, s10, 31
	v_mad_u32 v1, v1, s13, s18
	s_delay_alu instid0(VALU_DEP_2) | instskip(NEXT) | instid1(VALU_DEP_1)
	v_add_nc_u64_e32 v[4:5], s[10:11], v[2:3]
	v_lshl_add_u64 v[4:5], v[4:5], 2, s[8:9]
	global_store_b32 v[4:5], v1, off offset:132
.LBB114_6:
	s_wait_xcnt 0x0
	s_or_b32 exec_lo, exec_lo, s19
	s_cmp_lt_i32 s14, s15
	s_cbranch_scc0 .LBB114_17
; %bb.7:
	s_clause 0x1
	s_load_b64 s[20:21], s[0:1], 0x20
	s_load_b32 s18, s[0:1], 0x0
	v_mad_u32 v8, v2, s12, s7
	v_dual_add_nc_u32 v3, s7, v2 :: v_dual_bitop2_b32 v0, 31, v0 bitop3:0x40
	s_clause 0x2
	s_load_b64 s[8:9], s[0:1], 0x10
	s_load_b64 s[10:11], s[0:1], 0x30
	;; [unrolled: 1-line block ×3, first 2 shown]
	v_dual_add_nc_u32 v5, s7, v0 :: v_dual_bitop2_b32 v1, 32, v0 bitop3:0x54
	v_add_nc_u32_e32 v4, 32, v3
	v_mul_lo_u32 v3, s4, v3
	s_wait_xcnt 0x0
	v_cmp_gt_i32_e64 s0, s4, v0
	v_lshl_add_u32 v6, s15, 5, v8
	v_add_nc_u32_e32 v7, 32, v5
	v_mul_lo_u32 v4, s4, v4
	v_mul_lo_u32 v5, s4, v5
	;; [unrolled: 1-line block ×3, first 2 shown]
	s_wait_kmcnt 0x0
	s_cmp_eq_u32 s18, 0
	s_cselect_b32 vcc_lo, -1, 0
	s_lshl_b32 s1, s14, 5
	s_ashr_i32 s7, s6, 31
	v_subrev_nc_u32_e32 v9, s1, v6
	v_mul_lo_u32 v6, s4, v7
	v_cmp_gt_i32_e64 s1, s4, v1
	s_lshl_b64 s[22:23], s[6:7], 2
	s_mul_i32 s14, s4, s4
	v_mul_lo_u32 v7, s4, v9
	s_and_b32 s15, s2, s0
	s_and_b32 s2, s2, s1
	;; [unrolled: 1-line block ×4, first 2 shown]
	s_add_nc_u64 s[0:1], s[20:21], s[22:23]
	s_branch .LBB114_9
.LBB114_8:                              ;   in Loop: Header=BB114_9 Depth=1
	s_wait_xcnt 0x0
	s_or_b32 exec_lo, exec_lo, s7
	v_dual_add_nc_u32 v4, s14, v4 :: v_dual_add_nc_u32 v3, s14, v3
	v_dual_add_nc_u32 v2, s14, v2 :: v_dual_add_nc_u32 v7, s4, v7
	v_add_nc_u32_e32 v8, s4, v8
	s_add_co_i32 s6, s6, 1
	s_add_nc_u64 s[0:1], s[0:1], 4
	s_cmp_ge_i32 s6, s17
	s_cbranch_scc1 .LBB114_17
.LBB114_9:                              ; =>This Inner Loop Header: Depth=1
	s_load_b32 s7, s[0:1], 0x0
	s_wait_kmcnt 0x0
	s_sub_co_i32 s7, s7, s16
	s_delay_alu instid0(SALU_CYCLE_1) | instskip(NEXT) | instid1(SALU_CYCLE_1)
	s_mul_i32 s7, s7, s4
	s_add_co_i32 s7, s7, s5
	s_delay_alu instid0(SALU_CYCLE_1)
	v_add_nc_u32_e32 v9, s7, v0
	s_and_saveexec_b32 s19, s15
	s_cbranch_execz .LBB114_11
; %bb.10:                               ;   in Loop: Header=BB114_9 Depth=1
	v_dual_add_nc_u32 v10, v0, v3 :: v_dual_add_nc_u32 v11, v5, v2
	s_delay_alu instid0(VALU_DEP_1)
	v_dual_cndmask_b32 v10, v11, v10 :: v_dual_add_nc_u32 v11, v0, v8
	global_load_b32 v10, v10, s[8:9] scale_offset
	global_store_b32 v11, v9, s[12:13] scale_offset
	s_wait_loadcnt 0x0
	global_store_b32 v11, v10, s[10:11] scale_offset
.LBB114_11:                             ;   in Loop: Header=BB114_9 Depth=1
	s_wait_xcnt 0x0
	s_or_b32 exec_lo, exec_lo, s19
	v_dual_add_nc_u32 v10, s7, v1 :: v_dual_add_nc_u32 v11, v6, v2
	s_and_saveexec_b32 s7, s2
	s_cbranch_execnz .LBB114_14
; %bb.12:                               ;   in Loop: Header=BB114_9 Depth=1
	s_or_b32 exec_lo, exec_lo, s7
	v_add_nc_u32_e32 v12, v0, v4
	s_and_saveexec_b32 s7, s18
	s_cbranch_execnz .LBB114_15
.LBB114_13:                             ;   in Loop: Header=BB114_9 Depth=1
	s_or_b32 exec_lo, exec_lo, s7
	s_and_saveexec_b32 s7, s3
	s_cbranch_execz .LBB114_8
	s_branch .LBB114_16
.LBB114_14:                             ;   in Loop: Header=BB114_9 Depth=1
	v_add3_u32 v12, v0, v3, 32
	v_add3_u32 v13, v0, v8, 32
	s_delay_alu instid0(VALU_DEP_2)
	v_cndmask_b32_e32 v12, v11, v12, vcc_lo
	global_load_b32 v12, v12, s[8:9] scale_offset
	global_store_b32 v13, v10, s[12:13] scale_offset
	s_wait_loadcnt 0x0
	global_store_b32 v13, v12, s[10:11] scale_offset
	s_wait_xcnt 0x0
	s_or_b32 exec_lo, exec_lo, s7
	v_add_nc_u32_e32 v12, v0, v4
	s_and_saveexec_b32 s7, s18
	s_cbranch_execz .LBB114_13
.LBB114_15:                             ;   in Loop: Header=BB114_9 Depth=1
	v_add3_u32 v13, v5, v2, 32
	s_delay_alu instid0(VALU_DEP_1)
	v_dual_cndmask_b32 v13, v13, v12 :: v_dual_add_nc_u32 v14, v0, v7
	global_load_b32 v13, v13, s[8:9] scale_offset
	global_store_b32 v14, v9, s[12:13] scale_offset
	s_wait_loadcnt 0x0
	global_store_b32 v14, v13, s[10:11] scale_offset
	s_wait_xcnt 0x0
	s_or_b32 exec_lo, exec_lo, s7
	s_and_saveexec_b32 s7, s3
	s_cbranch_execz .LBB114_8
.LBB114_16:                             ;   in Loop: Header=BB114_9 Depth=1
	v_cndmask_b32_e32 v9, v11, v12, vcc_lo
	v_add3_u32 v11, v0, v7, 32
	s_delay_alu instid0(VALU_DEP_2)
	v_add_nc_u32_e32 v9, 32, v9
	global_load_b32 v9, v9, s[8:9] scale_offset
	global_store_b32 v11, v10, s[12:13] scale_offset
	s_wait_loadcnt 0x0
	global_store_b32 v11, v9, s[10:11] scale_offset
	s_branch .LBB114_8
.LBB114_17:
	s_endpgm
	.section	.rodata,"a",@progbits
	.p2align	6, 0x0
	.amdhsa_kernel _ZN9rocsparseL35bsr2csr_block_per_row_33_256_kernelILj1024ELj64ELj32EfiiEEv20rocsparse_direction_T4_S2_21rocsparse_index_base_PKT2_PKT3_PKS2_S2_S3_PS4_PS7_PS2_
		.amdhsa_group_segment_fixed_size 0
		.amdhsa_private_segment_fixed_size 0
		.amdhsa_kernarg_size 72
		.amdhsa_user_sgpr_count 2
		.amdhsa_user_sgpr_dispatch_ptr 0
		.amdhsa_user_sgpr_queue_ptr 0
		.amdhsa_user_sgpr_kernarg_segment_ptr 1
		.amdhsa_user_sgpr_dispatch_id 0
		.amdhsa_user_sgpr_kernarg_preload_length 0
		.amdhsa_user_sgpr_kernarg_preload_offset 0
		.amdhsa_user_sgpr_private_segment_size 0
		.amdhsa_wavefront_size32 1
		.amdhsa_uses_dynamic_stack 0
		.amdhsa_enable_private_segment 0
		.amdhsa_system_sgpr_workgroup_id_x 1
		.amdhsa_system_sgpr_workgroup_id_y 0
		.amdhsa_system_sgpr_workgroup_id_z 0
		.amdhsa_system_sgpr_workgroup_info 0
		.amdhsa_system_vgpr_workitem_id 0
		.amdhsa_next_free_vgpr 15
		.amdhsa_next_free_sgpr 24
		.amdhsa_named_barrier_count 0
		.amdhsa_reserve_vcc 1
		.amdhsa_float_round_mode_32 0
		.amdhsa_float_round_mode_16_64 0
		.amdhsa_float_denorm_mode_32 3
		.amdhsa_float_denorm_mode_16_64 3
		.amdhsa_fp16_overflow 0
		.amdhsa_memory_ordered 1
		.amdhsa_forward_progress 1
		.amdhsa_inst_pref_size 8
		.amdhsa_round_robin_scheduling 0
		.amdhsa_exception_fp_ieee_invalid_op 0
		.amdhsa_exception_fp_denorm_src 0
		.amdhsa_exception_fp_ieee_div_zero 0
		.amdhsa_exception_fp_ieee_overflow 0
		.amdhsa_exception_fp_ieee_underflow 0
		.amdhsa_exception_fp_ieee_inexact 0
		.amdhsa_exception_int_div_zero 0
	.end_amdhsa_kernel
	.section	.text._ZN9rocsparseL35bsr2csr_block_per_row_33_256_kernelILj1024ELj64ELj32EfiiEEv20rocsparse_direction_T4_S2_21rocsparse_index_base_PKT2_PKT3_PKS2_S2_S3_PS4_PS7_PS2_,"axG",@progbits,_ZN9rocsparseL35bsr2csr_block_per_row_33_256_kernelILj1024ELj64ELj32EfiiEEv20rocsparse_direction_T4_S2_21rocsparse_index_base_PKT2_PKT3_PKS2_S2_S3_PS4_PS7_PS2_,comdat
.Lfunc_end114:
	.size	_ZN9rocsparseL35bsr2csr_block_per_row_33_256_kernelILj1024ELj64ELj32EfiiEEv20rocsparse_direction_T4_S2_21rocsparse_index_base_PKT2_PKT3_PKS2_S2_S3_PS4_PS7_PS2_, .Lfunc_end114-_ZN9rocsparseL35bsr2csr_block_per_row_33_256_kernelILj1024ELj64ELj32EfiiEEv20rocsparse_direction_T4_S2_21rocsparse_index_base_PKT2_PKT3_PKS2_S2_S3_PS4_PS7_PS2_
                                        ; -- End function
	.set _ZN9rocsparseL35bsr2csr_block_per_row_33_256_kernelILj1024ELj64ELj32EfiiEEv20rocsparse_direction_T4_S2_21rocsparse_index_base_PKT2_PKT3_PKS2_S2_S3_PS4_PS7_PS2_.num_vgpr, 15
	.set _ZN9rocsparseL35bsr2csr_block_per_row_33_256_kernelILj1024ELj64ELj32EfiiEEv20rocsparse_direction_T4_S2_21rocsparse_index_base_PKT2_PKT3_PKS2_S2_S3_PS4_PS7_PS2_.num_agpr, 0
	.set _ZN9rocsparseL35bsr2csr_block_per_row_33_256_kernelILj1024ELj64ELj32EfiiEEv20rocsparse_direction_T4_S2_21rocsparse_index_base_PKT2_PKT3_PKS2_S2_S3_PS4_PS7_PS2_.numbered_sgpr, 24
	.set _ZN9rocsparseL35bsr2csr_block_per_row_33_256_kernelILj1024ELj64ELj32EfiiEEv20rocsparse_direction_T4_S2_21rocsparse_index_base_PKT2_PKT3_PKS2_S2_S3_PS4_PS7_PS2_.num_named_barrier, 0
	.set _ZN9rocsparseL35bsr2csr_block_per_row_33_256_kernelILj1024ELj64ELj32EfiiEEv20rocsparse_direction_T4_S2_21rocsparse_index_base_PKT2_PKT3_PKS2_S2_S3_PS4_PS7_PS2_.private_seg_size, 0
	.set _ZN9rocsparseL35bsr2csr_block_per_row_33_256_kernelILj1024ELj64ELj32EfiiEEv20rocsparse_direction_T4_S2_21rocsparse_index_base_PKT2_PKT3_PKS2_S2_S3_PS4_PS7_PS2_.uses_vcc, 1
	.set _ZN9rocsparseL35bsr2csr_block_per_row_33_256_kernelILj1024ELj64ELj32EfiiEEv20rocsparse_direction_T4_S2_21rocsparse_index_base_PKT2_PKT3_PKS2_S2_S3_PS4_PS7_PS2_.uses_flat_scratch, 0
	.set _ZN9rocsparseL35bsr2csr_block_per_row_33_256_kernelILj1024ELj64ELj32EfiiEEv20rocsparse_direction_T4_S2_21rocsparse_index_base_PKT2_PKT3_PKS2_S2_S3_PS4_PS7_PS2_.has_dyn_sized_stack, 0
	.set _ZN9rocsparseL35bsr2csr_block_per_row_33_256_kernelILj1024ELj64ELj32EfiiEEv20rocsparse_direction_T4_S2_21rocsparse_index_base_PKT2_PKT3_PKS2_S2_S3_PS4_PS7_PS2_.has_recursion, 0
	.set _ZN9rocsparseL35bsr2csr_block_per_row_33_256_kernelILj1024ELj64ELj32EfiiEEv20rocsparse_direction_T4_S2_21rocsparse_index_base_PKT2_PKT3_PKS2_S2_S3_PS4_PS7_PS2_.has_indirect_call, 0
	.section	.AMDGPU.csdata,"",@progbits
; Kernel info:
; codeLenInByte = 1000
; TotalNumSgprs: 26
; NumVgprs: 15
; ScratchSize: 0
; MemoryBound: 0
; FloatMode: 240
; IeeeMode: 1
; LDSByteSize: 0 bytes/workgroup (compile time only)
; SGPRBlocks: 0
; VGPRBlocks: 0
; NumSGPRsForWavesPerEU: 26
; NumVGPRsForWavesPerEU: 15
; NamedBarCnt: 0
; Occupancy: 16
; WaveLimiterHint : 1
; COMPUTE_PGM_RSRC2:SCRATCH_EN: 0
; COMPUTE_PGM_RSRC2:USER_SGPR: 2
; COMPUTE_PGM_RSRC2:TRAP_HANDLER: 0
; COMPUTE_PGM_RSRC2:TGID_X_EN: 1
; COMPUTE_PGM_RSRC2:TGID_Y_EN: 0
; COMPUTE_PGM_RSRC2:TGID_Z_EN: 0
; COMPUTE_PGM_RSRC2:TIDIG_COMP_CNT: 0
	.section	.text._ZN9rocsparseL35bsr2csr_block_per_row_33_256_kernelILj1024ELj128ELj32EfiiEEv20rocsparse_direction_T4_S2_21rocsparse_index_base_PKT2_PKT3_PKS2_S2_S3_PS4_PS7_PS2_,"axG",@progbits,_ZN9rocsparseL35bsr2csr_block_per_row_33_256_kernelILj1024ELj128ELj32EfiiEEv20rocsparse_direction_T4_S2_21rocsparse_index_base_PKT2_PKT3_PKS2_S2_S3_PS4_PS7_PS2_,comdat
	.globl	_ZN9rocsparseL35bsr2csr_block_per_row_33_256_kernelILj1024ELj128ELj32EfiiEEv20rocsparse_direction_T4_S2_21rocsparse_index_base_PKT2_PKT3_PKS2_S2_S3_PS4_PS7_PS2_ ; -- Begin function _ZN9rocsparseL35bsr2csr_block_per_row_33_256_kernelILj1024ELj128ELj32EfiiEEv20rocsparse_direction_T4_S2_21rocsparse_index_base_PKT2_PKT3_PKS2_S2_S3_PS4_PS7_PS2_
	.p2align	8
	.type	_ZN9rocsparseL35bsr2csr_block_per_row_33_256_kernelILj1024ELj128ELj32EfiiEEv20rocsparse_direction_T4_S2_21rocsparse_index_base_PKT2_PKT3_PKS2_S2_S3_PS4_PS7_PS2_,@function
_ZN9rocsparseL35bsr2csr_block_per_row_33_256_kernelILj1024ELj128ELj32EfiiEEv20rocsparse_direction_T4_S2_21rocsparse_index_base_PKT2_PKT3_PKS2_S2_S3_PS4_PS7_PS2_: ; @_ZN9rocsparseL35bsr2csr_block_per_row_33_256_kernelILj1024ELj128ELj32EfiiEEv20rocsparse_direction_T4_S2_21rocsparse_index_base_PKT2_PKT3_PKS2_S2_S3_PS4_PS7_PS2_
; %bb.0:
	s_load_b64 s[4:5], s[0:1], 0x18
	s_bfe_u32 s2, ttmp6, 0x4000c
	s_and_b32 s3, ttmp6, 15
	s_add_co_i32 s2, s2, 1
	s_getreg_b32 s6, hwreg(HW_REG_IB_STS2, 6, 4)
	s_mul_i32 s2, ttmp9, s2
	s_delay_alu instid0(SALU_CYCLE_1)
	s_add_co_i32 s3, s3, s2
	s_cmp_eq_u32 s6, 0
	s_clause 0x1
	s_load_b64 s[8:9], s[0:1], 0x28
	s_load_b64 s[6:7], s[0:1], 0x38
	s_cselect_b32 s2, ttmp9, s3
	s_delay_alu instid0(SALU_CYCLE_1)
	s_ashr_i32 s3, s2, 31
	v_or_b32_e32 v1, s2, v0
	s_lshl_b64 s[10:11], s[2:3], 2
	s_mov_b32 s3, exec_lo
	s_wait_kmcnt 0x0
	s_add_nc_u64 s[4:5], s[4:5], s[10:11]
	s_load_b64 s[18:19], s[4:5], 0x0
	v_cmpx_eq_u32_e32 0, v1
	s_cbranch_execz .LBB115_2
; %bb.1:
	v_dual_mov_b32 v1, 0 :: v_dual_mov_b32 v2, s9
	global_store_b32 v1, v2, s[6:7]
.LBB115_2:
	s_wait_xcnt 0x0
	s_or_b32 exec_lo, exec_lo, s3
	s_load_b32 s22, s[0:1], 0xc
	v_lshrrev_b32_e32 v2, 5, v0
	s_mul_i32 s12, s8, s2
	s_delay_alu instid0(VALU_DEP_1)
	v_cmp_gt_i32_e64 s4, s8, v2
	s_wait_kmcnt 0x0
	s_sub_co_i32 s10, s18, s22
	s_sub_co_i32 s23, s19, s22
	s_mul_i32 s11, s8, s10
	s_sub_co_i32 s34, s23, s10
	s_mul_i32 s3, s11, s8
	s_mul_i32 s14, s34, s8
	s_add_co_i32 s15, s3, s9
	s_delay_alu instid0(SALU_CYCLE_1)
	s_add_co_i32 s15, s15, s14
	s_and_saveexec_b32 s2, s4
	s_cbranch_execz .LBB115_4
; %bb.3:
	v_mad_u32 v1, v2, s14, s15
	v_add_nc_u32_e32 v3, s12, v2
	global_store_b32 v3, v1, s[6:7] offset:4 scale_offset
.LBB115_4:
	s_wait_xcnt 0x0
	s_or_b32 exec_lo, exec_lo, s2
	v_or_b32_e32 v1, 32, v2
	s_delay_alu instid0(VALU_DEP_1)
	v_cmp_gt_i32_e64 s5, s8, v1
	s_and_saveexec_b32 s2, s5
	s_cbranch_execz .LBB115_6
; %bb.5:
	v_mov_b32_e32 v3, 0
	s_ashr_i32 s13, s12, 31
	v_mad_u32 v1, v1, s14, s15
	s_delay_alu instid0(VALU_DEP_2) | instskip(NEXT) | instid1(VALU_DEP_1)
	v_add_nc_u64_e32 v[4:5], s[12:13], v[2:3]
	v_lshl_add_u64 v[4:5], v[4:5], 2, s[6:7]
	global_store_b32 v[4:5], v1, off offset:132
.LBB115_6:
	s_wait_xcnt 0x0
	s_or_b32 exec_lo, exec_lo, s2
	v_or_b32_e32 v1, 64, v2
	s_delay_alu instid0(VALU_DEP_1)
	v_cmp_gt_i32_e64 s2, s8, v1
	s_and_saveexec_b32 s3, s2
	s_cbranch_execz .LBB115_8
; %bb.7:
	v_mov_b32_e32 v3, 0
	s_ashr_i32 s13, s12, 31
	v_mad_u32 v1, v1, s14, s15
	s_delay_alu instid0(VALU_DEP_2) | instskip(NEXT) | instid1(VALU_DEP_1)
	v_add_nc_u64_e32 v[4:5], s[12:13], v[2:3]
	v_lshl_add_u64 v[4:5], v[4:5], 2, s[6:7]
	global_store_b32 v[4:5], v1, off offset:260
.LBB115_8:
	;; [unrolled: 16-line block ×3, first 2 shown]
	s_wait_xcnt 0x0
	s_or_b32 exec_lo, exec_lo, s16
	s_cmp_lt_i32 s18, s19
	s_cbranch_scc0 .LBB115_45
; %bb.11:
	s_clause 0x1
	s_load_b64 s[20:21], s[0:1], 0x20
	s_load_b32 s7, s[0:1], 0x0
	v_mad_u32 v15, v2, s34, s11
	v_dual_add_nc_u32 v8, s11, v2 :: v_dual_bitop2_b32 v0, 31, v0 bitop3:0x40
	s_clause 0x2
	s_load_b64 s[12:13], s[0:1], 0x10
	s_load_b64 s[14:15], s[0:1], 0x30
	;; [unrolled: 1-line block ×3, first 2 shown]
	s_mul_i32 s24, s8, s8
	s_mov_b32 s25, 0
	v_dual_add_nc_u32 v12, s11, v0 :: v_dual_bitop2_b32 v1, 32, v0 bitop3:0x54
	v_dual_add_nc_u32 v5, 32, v8 :: v_dual_add_nc_u32 v6, 64, v8
	v_add_nc_u32_e32 v7, 0x60, v8
	v_mad_u32 v11, 0x60, s19, v15
	v_lshl_add_u32 v13, s19, 5, v15
	v_lshl_add_u32 v14, s19, 6, v15
	v_add_nc_u32_e32 v9, 0x60, v12
	v_dual_add_nc_u32 v10, 64, v12 :: v_dual_add_nc_u32 v16, 32, v12
	v_or_b32_e32 v3, 64, v0
	v_or_b32_e32 v4, 0x60, v0
	s_wait_kmcnt 0x0
	s_cmp_eq_u32 s7, 0
	v_mul_lo_u32 v5, s8, v5
	s_cselect_b32 vcc_lo, -1, 0
	s_lshl_b32 s11, s18, 5
	v_mul_lo_u32 v6, s8, v6
	v_subrev_nc_u32_e32 v13, s11, v13
	s_lshl_b32 s11, s18, 6
	s_mulk_i32 s18, 0x60
	v_subrev_nc_u32_e32 v14, s11, v14
	v_subrev_nc_u32_e32 v17, s18, v11
	v_mul_lo_u32 v7, s8, v7
	v_mul_lo_u32 v8, s8, v8
	v_mad_u32 v9, s8, v9, v2
	v_mad_u32 v10, s8, v10, v2
	;; [unrolled: 1-line block ×4, first 2 shown]
	v_mul_lo_u32 v12, s8, v13
	v_mul_lo_u32 v13, s8, v14
	;; [unrolled: 1-line block ×4, first 2 shown]
	v_cmp_gt_i32_e64 s0, s8, v0
	v_cmp_gt_i32_e64 s1, s8, v1
	;; [unrolled: 1-line block ×4, first 2 shown]
	s_ashr_i32 s11, s10, 31
	s_and_b32 s26, s4, s0
	s_and_b32 s27, s4, s1
	;; [unrolled: 1-line block ×8, first 2 shown]
	s_lshl_b64 s[0:1], s[10:11], 2
	s_and_b32 s28, s4, s6
	s_and_b32 s4, s4, s7
	;; [unrolled: 1-line block ×8, first 2 shown]
	s_add_nc_u64 s[0:1], s[20:21], s[0:1]
	s_branch .LBB115_13
.LBB115_12:                             ;   in Loop: Header=BB115_13 Depth=1
	s_wait_xcnt 0x0
	s_or_b32 exec_lo, exec_lo, s7
	v_dual_add_nc_u32 v5, s24, v5 :: v_dual_add_nc_u32 v6, s24, v6
	v_dual_add_nc_u32 v7, s24, v7 :: v_dual_add_nc_u32 v8, s24, v8
	;; [unrolled: 1-line block ×4, first 2 shown]
	s_add_co_i32 s10, s10, 1
	s_add_co_i32 s25, s25, s24
	s_cmp_ge_i32 s10, s23
	s_add_nc_u64 s[0:1], s[0:1], 4
	s_cbranch_scc1 .LBB115_45
.LBB115_13:                             ; =>This Inner Loop Header: Depth=1
	s_load_b32 s7, s[0:1], 0x0
	s_wait_kmcnt 0x0
	s_sub_co_i32 s7, s7, s22
	s_delay_alu instid0(SALU_CYCLE_1) | instskip(NEXT) | instid1(SALU_CYCLE_1)
	s_mul_i32 s7, s7, s8
	s_add_co_i32 s7, s7, s9
	s_delay_alu instid0(SALU_CYCLE_1)
	v_add_nc_u32_e32 v16, s7, v0
	s_and_saveexec_b32 s11, s26
	s_cbranch_execz .LBB115_15
; %bb.14:                               ;   in Loop: Header=BB115_13 Depth=1
	v_dual_add_nc_u32 v17, v0, v8 :: v_dual_add_nc_u32 v18, s25, v2
	s_delay_alu instid0(VALU_DEP_1)
	v_dual_cndmask_b32 v17, v18, v17 :: v_dual_add_nc_u32 v18, v0, v15
	global_load_b32 v17, v17, s[12:13] scale_offset
	global_store_b32 v18, v16, s[16:17] scale_offset
	s_wait_loadcnt 0x0
	global_store_b32 v18, v17, s[14:15] scale_offset
.LBB115_15:                             ;   in Loop: Header=BB115_13 Depth=1
	s_wait_xcnt 0x0
	s_or_b32 exec_lo, exec_lo, s11
	v_dual_add_nc_u32 v17, s7, v1 :: v_dual_add_nc_u32 v22, s25, v11
	s_and_saveexec_b32 s11, s27
	s_cbranch_execz .LBB115_17
; %bb.16:                               ;   in Loop: Header=BB115_13 Depth=1
	v_add3_u32 v18, v0, v8, 32
	v_add3_u32 v19, v0, v15, 32
	s_delay_alu instid0(VALU_DEP_2)
	v_cndmask_b32_e32 v18, v22, v18, vcc_lo
	global_load_b32 v18, v18, s[12:13] scale_offset
	global_store_b32 v19, v17, s[16:17] scale_offset
	s_wait_loadcnt 0x0
	global_store_b32 v19, v18, s[14:15] scale_offset
.LBB115_17:                             ;   in Loop: Header=BB115_13 Depth=1
	s_wait_xcnt 0x0
	s_or_b32 exec_lo, exec_lo, s11
	v_dual_add_nc_u32 v18, s7, v3 :: v_dual_add_nc_u32 v21, s25, v10
	s_and_saveexec_b32 s11, s28
	s_cbranch_execz .LBB115_19
; %bb.18:                               ;   in Loop: Header=BB115_13 Depth=1
	v_add3_u32 v19, v0, v8, 64
	v_add3_u32 v20, v0, v15, 64
	s_delay_alu instid0(VALU_DEP_2)
	v_cndmask_b32_e32 v19, v21, v19, vcc_lo
	global_load_b32 v19, v19, s[12:13] scale_offset
	global_store_b32 v20, v18, s[16:17] scale_offset
	s_wait_loadcnt 0x0
	global_store_b32 v20, v19, s[14:15] scale_offset
.LBB115_19:                             ;   in Loop: Header=BB115_13 Depth=1
	s_wait_xcnt 0x0
	s_or_b32 exec_lo, exec_lo, s11
	v_dual_add_nc_u32 v19, s7, v4 :: v_dual_add_nc_u32 v20, s25, v9
	s_and_saveexec_b32 s7, s4
	s_cbranch_execnz .LBB115_32
; %bb.20:                               ;   in Loop: Header=BB115_13 Depth=1
	s_or_b32 exec_lo, exec_lo, s7
	v_add_nc_u32_e32 v23, v0, v5
	s_and_saveexec_b32 s7, s29
	s_cbranch_execnz .LBB115_33
.LBB115_21:                             ;   in Loop: Header=BB115_13 Depth=1
	s_or_b32 exec_lo, exec_lo, s7
	s_and_saveexec_b32 s7, s30
	s_cbranch_execnz .LBB115_34
.LBB115_22:                             ;   in Loop: Header=BB115_13 Depth=1
	s_or_b32 exec_lo, exec_lo, s7
	s_and_saveexec_b32 s7, s31
	s_cbranch_execnz .LBB115_35
.LBB115_23:                             ;   in Loop: Header=BB115_13 Depth=1
	s_or_b32 exec_lo, exec_lo, s7
	s_and_saveexec_b32 s7, s5
	s_cbranch_execnz .LBB115_36
.LBB115_24:                             ;   in Loop: Header=BB115_13 Depth=1
	s_or_b32 exec_lo, exec_lo, s7
	v_add_nc_u32_e32 v22, v0, v6
	s_and_saveexec_b32 s7, s33
	s_cbranch_execnz .LBB115_37
.LBB115_25:                             ;   in Loop: Header=BB115_13 Depth=1
	s_or_b32 exec_lo, exec_lo, s7
	s_and_saveexec_b32 s7, s34
	s_cbranch_execnz .LBB115_38
.LBB115_26:                             ;   in Loop: Header=BB115_13 Depth=1
	s_or_b32 exec_lo, exec_lo, s7
	s_and_saveexec_b32 s7, s18
	s_cbranch_execnz .LBB115_39
.LBB115_27:                             ;   in Loop: Header=BB115_13 Depth=1
	s_or_b32 exec_lo, exec_lo, s7
	s_and_saveexec_b32 s7, s2
	s_cbranch_execnz .LBB115_40
.LBB115_28:                             ;   in Loop: Header=BB115_13 Depth=1
	s_or_b32 exec_lo, exec_lo, s7
	v_add_nc_u32_e32 v21, v0, v7
	s_and_saveexec_b32 s7, s19
	s_cbranch_execnz .LBB115_41
.LBB115_29:                             ;   in Loop: Header=BB115_13 Depth=1
	s_or_b32 exec_lo, exec_lo, s7
	s_and_saveexec_b32 s7, s35
	s_cbranch_execnz .LBB115_42
.LBB115_30:                             ;   in Loop: Header=BB115_13 Depth=1
	s_or_b32 exec_lo, exec_lo, s7
	s_and_saveexec_b32 s7, s6
	s_cbranch_execnz .LBB115_43
.LBB115_31:                             ;   in Loop: Header=BB115_13 Depth=1
	s_or_b32 exec_lo, exec_lo, s7
	s_and_saveexec_b32 s7, s3
	s_cbranch_execz .LBB115_12
	s_branch .LBB115_44
.LBB115_32:                             ;   in Loop: Header=BB115_13 Depth=1
	v_add3_u32 v23, v0, v8, 0x60
	v_add3_u32 v24, v0, v15, 0x60
	s_delay_alu instid0(VALU_DEP_2)
	v_cndmask_b32_e32 v23, v20, v23, vcc_lo
	global_load_b32 v23, v23, s[12:13] scale_offset
	global_store_b32 v24, v19, s[16:17] scale_offset
	s_wait_loadcnt 0x0
	global_store_b32 v24, v23, s[14:15] scale_offset
	s_wait_xcnt 0x0
	s_or_b32 exec_lo, exec_lo, s7
	v_add_nc_u32_e32 v23, v0, v5
	s_and_saveexec_b32 s7, s29
	s_cbranch_execz .LBB115_21
.LBB115_33:                             ;   in Loop: Header=BB115_13 Depth=1
	v_add3_u32 v24, v2, s25, 32
	v_add_nc_u32_e32 v25, v0, v12
	s_delay_alu instid0(VALU_DEP_2)
	v_cndmask_b32_e32 v24, v24, v23, vcc_lo
	global_load_b32 v24, v24, s[12:13] scale_offset
	global_store_b32 v25, v16, s[16:17] scale_offset
	s_wait_loadcnt 0x0
	global_store_b32 v25, v24, s[14:15] scale_offset
	s_wait_xcnt 0x0
	s_or_b32 exec_lo, exec_lo, s7
	s_and_saveexec_b32 s7, s30
	s_cbranch_execz .LBB115_22
.LBB115_34:                             ;   in Loop: Header=BB115_13 Depth=1
	v_cndmask_b32_e32 v22, v22, v23, vcc_lo
	v_add3_u32 v23, v0, v12, 32
	s_delay_alu instid0(VALU_DEP_2)
	v_add_nc_u32_e32 v22, 32, v22
	global_load_b32 v22, v22, s[12:13] scale_offset
	global_store_b32 v23, v17, s[16:17] scale_offset
	s_wait_loadcnt 0x0
	global_store_b32 v23, v22, s[14:15] scale_offset
	s_wait_xcnt 0x0
	s_or_b32 exec_lo, exec_lo, s7
	s_and_saveexec_b32 s7, s31
	s_cbranch_execz .LBB115_23
.LBB115_35:                             ;   in Loop: Header=BB115_13 Depth=1
	v_add3_u32 v22, v0, v5, 64
	v_add3_u32 v23, v10, s25, 32
	s_delay_alu instid0(VALU_DEP_1)
	v_cndmask_b32_e32 v22, v23, v22, vcc_lo
	v_add3_u32 v23, v0, v12, 64
	global_load_b32 v22, v22, s[12:13] scale_offset
	global_store_b32 v23, v18, s[16:17] scale_offset
	s_wait_loadcnt 0x0
	global_store_b32 v23, v22, s[14:15] scale_offset
	s_wait_xcnt 0x0
	s_or_b32 exec_lo, exec_lo, s7
	s_and_saveexec_b32 s7, s5
	s_cbranch_execz .LBB115_24
.LBB115_36:                             ;   in Loop: Header=BB115_13 Depth=1
	v_add3_u32 v22, v0, v5, 0x60
	v_add3_u32 v23, v9, s25, 32
	s_delay_alu instid0(VALU_DEP_1)
	v_cndmask_b32_e32 v22, v23, v22, vcc_lo
	v_add3_u32 v23, v0, v12, 0x60
	global_load_b32 v22, v22, s[12:13] scale_offset
	global_store_b32 v23, v19, s[16:17] scale_offset
	s_wait_loadcnt 0x0
	global_store_b32 v23, v22, s[14:15] scale_offset
	s_wait_xcnt 0x0
	s_or_b32 exec_lo, exec_lo, s7
	v_add_nc_u32_e32 v22, v0, v6
	s_and_saveexec_b32 s7, s33
	s_cbranch_execz .LBB115_25
.LBB115_37:                             ;   in Loop: Header=BB115_13 Depth=1
	v_add3_u32 v23, v2, s25, 64
	s_delay_alu instid0(VALU_DEP_1)
	v_dual_cndmask_b32 v23, v23, v22 :: v_dual_add_nc_u32 v24, v0, v13
	global_load_b32 v23, v23, s[12:13] scale_offset
	global_store_b32 v24, v16, s[16:17] scale_offset
	s_wait_loadcnt 0x0
	global_store_b32 v24, v23, s[14:15] scale_offset
	s_wait_xcnt 0x0
	s_or_b32 exec_lo, exec_lo, s7
	s_and_saveexec_b32 s7, s34
	s_cbranch_execz .LBB115_26
.LBB115_38:                             ;   in Loop: Header=BB115_13 Depth=1
	v_add3_u32 v23, v0, v6, 32
	v_add3_u32 v24, v11, s25, 64
	s_delay_alu instid0(VALU_DEP_1)
	v_cndmask_b32_e32 v23, v24, v23, vcc_lo
	v_add3_u32 v24, v0, v13, 32
	global_load_b32 v23, v23, s[12:13] scale_offset
	global_store_b32 v24, v17, s[16:17] scale_offset
	s_wait_loadcnt 0x0
	global_store_b32 v24, v23, s[14:15] scale_offset
	s_wait_xcnt 0x0
	s_or_b32 exec_lo, exec_lo, s7
	s_and_saveexec_b32 s7, s18
	s_cbranch_execz .LBB115_27
.LBB115_39:                             ;   in Loop: Header=BB115_13 Depth=1
	v_cndmask_b32_e32 v21, v21, v22, vcc_lo
	v_add3_u32 v22, v0, v13, 64
	s_delay_alu instid0(VALU_DEP_2)
	v_add_nc_u32_e32 v21, 64, v21
	global_load_b32 v21, v21, s[12:13] scale_offset
	global_store_b32 v22, v18, s[16:17] scale_offset
	s_wait_loadcnt 0x0
	global_store_b32 v22, v21, s[14:15] scale_offset
	s_wait_xcnt 0x0
	s_or_b32 exec_lo, exec_lo, s7
	s_and_saveexec_b32 s7, s2
	s_cbranch_execz .LBB115_28
.LBB115_40:                             ;   in Loop: Header=BB115_13 Depth=1
	v_add3_u32 v21, v0, v6, 0x60
	v_add3_u32 v22, v9, s25, 64
	s_delay_alu instid0(VALU_DEP_1)
	v_cndmask_b32_e32 v21, v22, v21, vcc_lo
	v_add3_u32 v22, v0, v13, 0x60
	global_load_b32 v21, v21, s[12:13] scale_offset
	global_store_b32 v22, v19, s[16:17] scale_offset
	s_wait_loadcnt 0x0
	global_store_b32 v22, v21, s[14:15] scale_offset
	s_wait_xcnt 0x0
	s_or_b32 exec_lo, exec_lo, s7
	v_add_nc_u32_e32 v21, v0, v7
	s_and_saveexec_b32 s7, s19
	s_cbranch_execz .LBB115_29
.LBB115_41:                             ;   in Loop: Header=BB115_13 Depth=1
	v_add3_u32 v22, v2, s25, 0x60
	s_delay_alu instid0(VALU_DEP_1)
	v_dual_cndmask_b32 v22, v22, v21 :: v_dual_add_nc_u32 v23, v0, v14
	global_load_b32 v22, v22, s[12:13] scale_offset
	global_store_b32 v23, v16, s[16:17] scale_offset
	s_wait_loadcnt 0x0
	global_store_b32 v23, v22, s[14:15] scale_offset
	s_wait_xcnt 0x0
	s_or_b32 exec_lo, exec_lo, s7
	s_and_saveexec_b32 s7, s35
	s_cbranch_execz .LBB115_30
.LBB115_42:                             ;   in Loop: Header=BB115_13 Depth=1
	v_add3_u32 v16, v0, v7, 32
	v_add3_u32 v22, v11, s25, 0x60
	s_delay_alu instid0(VALU_DEP_1)
	v_cndmask_b32_e32 v16, v22, v16, vcc_lo
	v_add3_u32 v22, v0, v14, 32
	global_load_b32 v16, v16, s[12:13] scale_offset
	global_store_b32 v22, v17, s[16:17] scale_offset
	s_wait_loadcnt 0x0
	global_store_b32 v22, v16, s[14:15] scale_offset
	s_wait_xcnt 0x0
	s_or_b32 exec_lo, exec_lo, s7
	s_and_saveexec_b32 s7, s6
	s_cbranch_execz .LBB115_31
.LBB115_43:                             ;   in Loop: Header=BB115_13 Depth=1
	v_add3_u32 v16, v0, v7, 64
	v_add3_u32 v17, v10, s25, 0x60
	s_delay_alu instid0(VALU_DEP_1)
	v_cndmask_b32_e32 v16, v17, v16, vcc_lo
	v_add3_u32 v17, v0, v14, 64
	global_load_b32 v16, v16, s[12:13] scale_offset
	global_store_b32 v17, v18, s[16:17] scale_offset
	s_wait_loadcnt 0x0
	global_store_b32 v17, v16, s[14:15] scale_offset
	s_wait_xcnt 0x0
	s_or_b32 exec_lo, exec_lo, s7
	s_and_saveexec_b32 s7, s3
	s_cbranch_execz .LBB115_12
.LBB115_44:                             ;   in Loop: Header=BB115_13 Depth=1
	v_cndmask_b32_e32 v16, v20, v21, vcc_lo
	v_add3_u32 v17, v0, v14, 0x60
	s_delay_alu instid0(VALU_DEP_2)
	v_add_nc_u32_e32 v16, 0x60, v16
	global_load_b32 v16, v16, s[12:13] scale_offset
	global_store_b32 v17, v19, s[16:17] scale_offset
	s_wait_loadcnt 0x0
	global_store_b32 v17, v16, s[14:15] scale_offset
	s_branch .LBB115_12
.LBB115_45:
	s_endpgm
	.section	.rodata,"a",@progbits
	.p2align	6, 0x0
	.amdhsa_kernel _ZN9rocsparseL35bsr2csr_block_per_row_33_256_kernelILj1024ELj128ELj32EfiiEEv20rocsparse_direction_T4_S2_21rocsparse_index_base_PKT2_PKT3_PKS2_S2_S3_PS4_PS7_PS2_
		.amdhsa_group_segment_fixed_size 0
		.amdhsa_private_segment_fixed_size 0
		.amdhsa_kernarg_size 72
		.amdhsa_user_sgpr_count 2
		.amdhsa_user_sgpr_dispatch_ptr 0
		.amdhsa_user_sgpr_queue_ptr 0
		.amdhsa_user_sgpr_kernarg_segment_ptr 1
		.amdhsa_user_sgpr_dispatch_id 0
		.amdhsa_user_sgpr_kernarg_preload_length 0
		.amdhsa_user_sgpr_kernarg_preload_offset 0
		.amdhsa_user_sgpr_private_segment_size 0
		.amdhsa_wavefront_size32 1
		.amdhsa_uses_dynamic_stack 0
		.amdhsa_enable_private_segment 0
		.amdhsa_system_sgpr_workgroup_id_x 1
		.amdhsa_system_sgpr_workgroup_id_y 0
		.amdhsa_system_sgpr_workgroup_id_z 0
		.amdhsa_system_sgpr_workgroup_info 0
		.amdhsa_system_vgpr_workitem_id 0
		.amdhsa_next_free_vgpr 26
		.amdhsa_next_free_sgpr 36
		.amdhsa_named_barrier_count 0
		.amdhsa_reserve_vcc 1
		.amdhsa_float_round_mode_32 0
		.amdhsa_float_round_mode_16_64 0
		.amdhsa_float_denorm_mode_32 3
		.amdhsa_float_denorm_mode_16_64 3
		.amdhsa_fp16_overflow 0
		.amdhsa_memory_ordered 1
		.amdhsa_forward_progress 1
		.amdhsa_inst_pref_size 21
		.amdhsa_round_robin_scheduling 0
		.amdhsa_exception_fp_ieee_invalid_op 0
		.amdhsa_exception_fp_denorm_src 0
		.amdhsa_exception_fp_ieee_div_zero 0
		.amdhsa_exception_fp_ieee_overflow 0
		.amdhsa_exception_fp_ieee_underflow 0
		.amdhsa_exception_fp_ieee_inexact 0
		.amdhsa_exception_int_div_zero 0
	.end_amdhsa_kernel
	.section	.text._ZN9rocsparseL35bsr2csr_block_per_row_33_256_kernelILj1024ELj128ELj32EfiiEEv20rocsparse_direction_T4_S2_21rocsparse_index_base_PKT2_PKT3_PKS2_S2_S3_PS4_PS7_PS2_,"axG",@progbits,_ZN9rocsparseL35bsr2csr_block_per_row_33_256_kernelILj1024ELj128ELj32EfiiEEv20rocsparse_direction_T4_S2_21rocsparse_index_base_PKT2_PKT3_PKS2_S2_S3_PS4_PS7_PS2_,comdat
.Lfunc_end115:
	.size	_ZN9rocsparseL35bsr2csr_block_per_row_33_256_kernelILj1024ELj128ELj32EfiiEEv20rocsparse_direction_T4_S2_21rocsparse_index_base_PKT2_PKT3_PKS2_S2_S3_PS4_PS7_PS2_, .Lfunc_end115-_ZN9rocsparseL35bsr2csr_block_per_row_33_256_kernelILj1024ELj128ELj32EfiiEEv20rocsparse_direction_T4_S2_21rocsparse_index_base_PKT2_PKT3_PKS2_S2_S3_PS4_PS7_PS2_
                                        ; -- End function
	.set _ZN9rocsparseL35bsr2csr_block_per_row_33_256_kernelILj1024ELj128ELj32EfiiEEv20rocsparse_direction_T4_S2_21rocsparse_index_base_PKT2_PKT3_PKS2_S2_S3_PS4_PS7_PS2_.num_vgpr, 26
	.set _ZN9rocsparseL35bsr2csr_block_per_row_33_256_kernelILj1024ELj128ELj32EfiiEEv20rocsparse_direction_T4_S2_21rocsparse_index_base_PKT2_PKT3_PKS2_S2_S3_PS4_PS7_PS2_.num_agpr, 0
	.set _ZN9rocsparseL35bsr2csr_block_per_row_33_256_kernelILj1024ELj128ELj32EfiiEEv20rocsparse_direction_T4_S2_21rocsparse_index_base_PKT2_PKT3_PKS2_S2_S3_PS4_PS7_PS2_.numbered_sgpr, 36
	.set _ZN9rocsparseL35bsr2csr_block_per_row_33_256_kernelILj1024ELj128ELj32EfiiEEv20rocsparse_direction_T4_S2_21rocsparse_index_base_PKT2_PKT3_PKS2_S2_S3_PS4_PS7_PS2_.num_named_barrier, 0
	.set _ZN9rocsparseL35bsr2csr_block_per_row_33_256_kernelILj1024ELj128ELj32EfiiEEv20rocsparse_direction_T4_S2_21rocsparse_index_base_PKT2_PKT3_PKS2_S2_S3_PS4_PS7_PS2_.private_seg_size, 0
	.set _ZN9rocsparseL35bsr2csr_block_per_row_33_256_kernelILj1024ELj128ELj32EfiiEEv20rocsparse_direction_T4_S2_21rocsparse_index_base_PKT2_PKT3_PKS2_S2_S3_PS4_PS7_PS2_.uses_vcc, 1
	.set _ZN9rocsparseL35bsr2csr_block_per_row_33_256_kernelILj1024ELj128ELj32EfiiEEv20rocsparse_direction_T4_S2_21rocsparse_index_base_PKT2_PKT3_PKS2_S2_S3_PS4_PS7_PS2_.uses_flat_scratch, 0
	.set _ZN9rocsparseL35bsr2csr_block_per_row_33_256_kernelILj1024ELj128ELj32EfiiEEv20rocsparse_direction_T4_S2_21rocsparse_index_base_PKT2_PKT3_PKS2_S2_S3_PS4_PS7_PS2_.has_dyn_sized_stack, 0
	.set _ZN9rocsparseL35bsr2csr_block_per_row_33_256_kernelILj1024ELj128ELj32EfiiEEv20rocsparse_direction_T4_S2_21rocsparse_index_base_PKT2_PKT3_PKS2_S2_S3_PS4_PS7_PS2_.has_recursion, 0
	.set _ZN9rocsparseL35bsr2csr_block_per_row_33_256_kernelILj1024ELj128ELj32EfiiEEv20rocsparse_direction_T4_S2_21rocsparse_index_base_PKT2_PKT3_PKS2_S2_S3_PS4_PS7_PS2_.has_indirect_call, 0
	.section	.AMDGPU.csdata,"",@progbits
; Kernel info:
; codeLenInByte = 2568
; TotalNumSgprs: 38
; NumVgprs: 26
; ScratchSize: 0
; MemoryBound: 0
; FloatMode: 240
; IeeeMode: 1
; LDSByteSize: 0 bytes/workgroup (compile time only)
; SGPRBlocks: 0
; VGPRBlocks: 1
; NumSGPRsForWavesPerEU: 38
; NumVGPRsForWavesPerEU: 26
; NamedBarCnt: 0
; Occupancy: 16
; WaveLimiterHint : 1
; COMPUTE_PGM_RSRC2:SCRATCH_EN: 0
; COMPUTE_PGM_RSRC2:USER_SGPR: 2
; COMPUTE_PGM_RSRC2:TRAP_HANDLER: 0
; COMPUTE_PGM_RSRC2:TGID_X_EN: 1
; COMPUTE_PGM_RSRC2:TGID_Y_EN: 0
; COMPUTE_PGM_RSRC2:TGID_Z_EN: 0
; COMPUTE_PGM_RSRC2:TIDIG_COMP_CNT: 0
	.section	.text._ZN9rocsparseL35bsr2csr_block_per_row_33_256_kernelILj1024ELj256ELj32EfiiEEv20rocsparse_direction_T4_S2_21rocsparse_index_base_PKT2_PKT3_PKS2_S2_S3_PS4_PS7_PS2_,"axG",@progbits,_ZN9rocsparseL35bsr2csr_block_per_row_33_256_kernelILj1024ELj256ELj32EfiiEEv20rocsparse_direction_T4_S2_21rocsparse_index_base_PKT2_PKT3_PKS2_S2_S3_PS4_PS7_PS2_,comdat
	.globl	_ZN9rocsparseL35bsr2csr_block_per_row_33_256_kernelILj1024ELj256ELj32EfiiEEv20rocsparse_direction_T4_S2_21rocsparse_index_base_PKT2_PKT3_PKS2_S2_S3_PS4_PS7_PS2_ ; -- Begin function _ZN9rocsparseL35bsr2csr_block_per_row_33_256_kernelILj1024ELj256ELj32EfiiEEv20rocsparse_direction_T4_S2_21rocsparse_index_base_PKT2_PKT3_PKS2_S2_S3_PS4_PS7_PS2_
	.p2align	8
	.type	_ZN9rocsparseL35bsr2csr_block_per_row_33_256_kernelILj1024ELj256ELj32EfiiEEv20rocsparse_direction_T4_S2_21rocsparse_index_base_PKT2_PKT3_PKS2_S2_S3_PS4_PS7_PS2_,@function
_ZN9rocsparseL35bsr2csr_block_per_row_33_256_kernelILj1024ELj256ELj32EfiiEEv20rocsparse_direction_T4_S2_21rocsparse_index_base_PKT2_PKT3_PKS2_S2_S3_PS4_PS7_PS2_: ; @_ZN9rocsparseL35bsr2csr_block_per_row_33_256_kernelILj1024ELj256ELj32EfiiEEv20rocsparse_direction_T4_S2_21rocsparse_index_base_PKT2_PKT3_PKS2_S2_S3_PS4_PS7_PS2_
; %bb.0:
	s_load_b64 s[2:3], s[0:1], 0x18
	s_bfe_u32 s4, ttmp6, 0x4000c
	s_and_b32 s5, ttmp6, 15
	s_add_co_i32 s4, s4, 1
	s_getreg_b32 s6, hwreg(HW_REG_IB_STS2, 6, 4)
	s_mul_i32 s4, ttmp9, s4
	s_clause 0x1
	s_load_b64 s[16:17], s[0:1], 0x28
	s_load_b64 s[10:11], s[0:1], 0x38
	s_add_co_i32 s5, s5, s4
	s_cmp_eq_u32 s6, 0
	s_cselect_b32 s4, ttmp9, s5
	s_delay_alu instid0(SALU_CYCLE_1)
	s_ashr_i32 s5, s4, 31
	v_or_b32_e32 v1, s4, v0
	s_lshl_b64 s[6:7], s[4:5], 2
	s_wait_kmcnt 0x0
	s_add_nc_u64 s[2:3], s[2:3], s[6:7]
	s_load_b64 s[26:27], s[2:3], 0x0
	s_wait_xcnt 0x0
	s_mov_b32 s2, exec_lo
	v_cmpx_eq_u32_e32 0, v1
	s_cbranch_execz .LBB116_2
; %bb.1:
	v_dual_mov_b32 v1, 0 :: v_dual_mov_b32 v2, s17
	global_store_b32 v1, v2, s[10:11]
.LBB116_2:
	s_wait_xcnt 0x0
	s_or_b32 exec_lo, exec_lo, s2
	s_load_b32 s30, s[0:1], 0xc
	v_lshrrev_b32_e32 v2, 5, v0
	s_mul_i32 s12, s16, s4
	s_delay_alu instid0(VALU_DEP_1)
	v_cmp_gt_i32_e64 s2, s16, v2
	s_wait_kmcnt 0x0
	s_sub_co_i32 s18, s26, s30
	s_sub_co_i32 s31, s27, s30
	s_mul_i32 s19, s16, s18
	s_sub_co_i32 s86, s31, s18
	s_mul_i32 s3, s19, s16
	s_mul_i32 s14, s86, s16
	s_add_co_i32 s15, s3, s17
	s_delay_alu instid0(SALU_CYCLE_1)
	s_add_co_i32 s15, s15, s14
	s_and_saveexec_b32 s3, s2
	s_cbranch_execz .LBB116_4
; %bb.3:
	v_mad_u32 v1, v2, s14, s15
	v_add_nc_u32_e32 v3, s12, v2
	global_store_b32 v3, v1, s[10:11] offset:4 scale_offset
.LBB116_4:
	s_wait_xcnt 0x0
	s_or_b32 exec_lo, exec_lo, s3
	v_or_b32_e32 v1, 32, v2
	s_delay_alu instid0(VALU_DEP_1)
	v_cmp_gt_i32_e64 s3, s16, v1
	s_and_saveexec_b32 s4, s3
	s_cbranch_execz .LBB116_6
; %bb.5:
	v_mov_b32_e32 v3, 0
	s_ashr_i32 s13, s12, 31
	v_mad_u32 v1, v1, s14, s15
	s_delay_alu instid0(VALU_DEP_2) | instskip(NEXT) | instid1(VALU_DEP_1)
	v_add_nc_u64_e32 v[4:5], s[12:13], v[2:3]
	v_lshl_add_u64 v[4:5], v[4:5], 2, s[10:11]
	global_store_b32 v[4:5], v1, off offset:132
.LBB116_6:
	s_wait_xcnt 0x0
	s_or_b32 exec_lo, exec_lo, s4
	v_or_b32_e32 v1, 64, v2
	s_delay_alu instid0(VALU_DEP_1)
	v_cmp_gt_i32_e64 s5, s16, v1
	s_and_saveexec_b32 s4, s5
	s_cbranch_execz .LBB116_8
; %bb.7:
	v_mov_b32_e32 v3, 0
	s_ashr_i32 s13, s12, 31
	v_mad_u32 v1, v1, s14, s15
	s_delay_alu instid0(VALU_DEP_2) | instskip(NEXT) | instid1(VALU_DEP_1)
	v_add_nc_u64_e32 v[4:5], s[12:13], v[2:3]
	v_lshl_add_u64 v[4:5], v[4:5], 2, s[10:11]
	global_store_b32 v[4:5], v1, off offset:260
.LBB116_8:
	;; [unrolled: 16-line block ×7, first 2 shown]
	s_wait_xcnt 0x0
	s_or_b32 exec_lo, exec_lo, s20
	s_cmp_lt_i32 s26, s27
	s_cbranch_scc0 .LBB116_149
; %bb.19:
	s_clause 0x3
	s_load_b64 s[28:29], s[0:1], 0x20
	s_load_b32 s11, s[0:1], 0x0
	s_load_b64 s[20:21], s[0:1], 0x10
	s_load_b64 s[22:23], s[0:1], 0x30
	v_mad_u32 v31, v2, s86, s19
	v_dual_add_nc_u32 v22, s19, v2 :: v_dual_bitop2_b32 v0, 31, v0 bitop3:0x40
	s_load_b64 s[24:25], s[0:1], 0x40
	s_mul_i32 s33, s16, s16
	s_mov_b32 s34, 0
	s_wait_xcnt 0x0
	v_cmp_gt_i32_e64 s0, s16, v0
	v_add_nc_u32_e32 v26, 0xe0, v22
	v_dual_add_nc_u32 v14, s19, v0 :: v_dual_bitop2_b32 v1, 32, v0 bitop3:0x54
	v_or_b32_e32 v3, 64, v0
	v_mad_u32 v23, 0xe0, s27, v31
	v_mad_u32 v24, 0xc0, s27, v31
	;; [unrolled: 1-line block ×5, first 2 shown]
	v_add_nc_u32_e32 v13, 0xa0, v14
	s_wait_kmcnt 0x0
	s_cmp_eq_u32 s11, 0
	v_add_nc_u32_e32 v15, 0x80, v14
	s_cselect_b32 vcc_lo, -1, 0
	s_and_b32 s35, s2, s0
	s_and_b32 s42, s3, s0
	;; [unrolled: 1-line block ×8, first 2 shown]
	s_mul_i32 s0, s26, 0xe0
	v_add_nc_u32_e32 v11, 0xe0, v14
	v_subrev_nc_u32_e32 v27, s0, v23
	v_mad_u32 v23, s16, v26, v0
	v_mad_u32 v26, 0x60, s27, v31
	v_add_nc_u32_e32 v12, 0xc0, v14
	v_add_nc_u32_e32 v16, 0x60, v14
	v_dual_add_nc_u32 v17, 64, v14 :: v_dual_add_nc_u32 v18, 32, v14
	v_add_nc_u32_e32 v19, 32, v22
	v_add_nc_u32_e32 v25, 0xc0, v22
	v_cmp_gt_i32_e64 s1, s16, v1
	s_mul_i32 s0, s26, 0xc0
	v_mad_u32 v11, s16, v11, v2
	v_mad_u32 v12, s16, v12, v2
	v_mad_u32 v13, s16, v13, v2
	v_mad_u32 v14, s16, v15, v2
	v_mad_u32 v15, s16, v16, v2
	v_mad_u32 v16, s16, v17, v2
	v_mad_u32 v2, s16, v18, v2
	v_add_nc_u32_e32 v18, 64, v22
	v_mad_u32 v17, s16, v19, v0
	v_add_nc_u32_e32 v19, 0x60, v22
	v_add_nc_u32_e32 v20, 0x80, v22
	;; [unrolled: 1-line block ×3, first 2 shown]
	v_mad_u32 v22, s16, v25, v0
	v_subrev_nc_u32_e32 v25, s0, v24
	v_mul_lo_u32 v24, s16, v27
	v_lshl_add_u32 v27, s27, 7, v31
	s_mul_i32 s0, s26, 0xa0
	v_lshl_add_u32 v29, s27, 6, v31
	v_lshl_add_u32 v30, s27, 5, v31
	s_and_b32 s36, s2, s1
	s_and_b32 s43, s3, s1
	;; [unrolled: 1-line block ×8, first 2 shown]
	s_lshl_b32 s1, s26, 7
	v_subrev_nc_u32_e32 v28, s0, v28
	s_mul_i32 s0, s26, 0x60
	v_subrev_nc_u32_e32 v27, s1, v27
	v_subrev_nc_u32_e32 v32, s0, v26
	s_lshl_b32 s0, s26, 6
	s_lshl_b32 s1, s26, 5
	v_subrev_nc_u32_e32 v29, s0, v29
	v_subrev_nc_u32_e32 v30, s1, v30
	v_or_b32_e32 v4, 0x60, v0
	v_or_b32_e32 v5, 0x80, v0
	;; [unrolled: 1-line block ×5, first 2 shown]
	v_mad_u32 v18, s16, v18, v0
	v_mad_u32 v19, s16, v19, v0
	;; [unrolled: 1-line block ×4, first 2 shown]
	v_mul_lo_u32 v25, s16, v25
	v_mul_lo_u32 v26, s16, v28
	;; [unrolled: 1-line block ×7, first 2 shown]
	v_cmp_gt_i32_e64 s10, s16, v3
	v_cmp_gt_i32_e64 s11, s16, v4
	;; [unrolled: 1-line block ×6, first 2 shown]
	s_ashr_i32 s19, s18, 31
	v_dual_cndmask_b32 v32, v9, v8 :: v_dual_cndmask_b32 v33, v2, v17
	s_lshl_b64 s[0:1], s[18:19], 2
	s_and_b32 s37, s2, s10
	s_and_b32 s38, s2, s11
	;; [unrolled: 1-line block ×48, first 2 shown]
	s_add_nc_u64 s[0:1], s[28:29], s[0:1]
	s_branch .LBB116_21
.LBB116_20:                             ;   in Loop: Header=BB116_21 Depth=1
	s_wait_xcnt 0x0
	s_or_b32 exec_lo, exec_lo, s15
	v_dual_add_nc_u32 v24, s16, v24 :: v_dual_add_nc_u32 v25, s16, v25
	v_dual_add_nc_u32 v26, s16, v26 :: v_dual_add_nc_u32 v27, s16, v27
	;; [unrolled: 1-line block ×4, first 2 shown]
	s_add_co_i32 s18, s18, 1
	s_add_co_i32 s34, s34, s33
	s_cmp_ge_i32 s18, s31
	s_add_nc_u64 s[0:1], s[0:1], 4
	s_cbranch_scc1 .LBB116_149
.LBB116_21:                             ; =>This Inner Loop Header: Depth=1
	s_load_b32 s15, s[0:1], 0x0
	s_wait_kmcnt 0x0
	s_sub_co_i32 s15, s15, s30
	s_delay_alu instid0(SALU_CYCLE_1) | instskip(NEXT) | instid1(SALU_CYCLE_1)
	s_mul_i32 s15, s15, s16
	s_add_co_i32 s15, s15, s17
	s_delay_alu instid0(SALU_CYCLE_1)
	v_add_nc_u32_e32 v35, s15, v0
	s_and_saveexec_b32 s19, s35
	s_cbranch_execnz .LBB116_85
; %bb.22:                               ;   in Loop: Header=BB116_21 Depth=1
	s_or_b32 exec_lo, exec_lo, s19
	v_add_nc_u32_e32 v34, s15, v1
	s_and_saveexec_b32 s19, s36
	s_cbranch_execnz .LBB116_86
.LBB116_23:                             ;   in Loop: Header=BB116_21 Depth=1
	s_or_b32 exec_lo, exec_lo, s19
	v_add_nc_u32_e32 v36, s15, v3
	s_and_saveexec_b32 s19, s37
	s_cbranch_execnz .LBB116_87
.LBB116_24:                             ;   in Loop: Header=BB116_21 Depth=1
	s_or_b32 exec_lo, exec_lo, s19
	v_add_nc_u32_e32 v37, s15, v4
	s_and_saveexec_b32 s19, s38
	s_cbranch_execnz .LBB116_88
.LBB116_25:                             ;   in Loop: Header=BB116_21 Depth=1
	s_or_b32 exec_lo, exec_lo, s19
	v_add_nc_u32_e32 v38, s15, v5
	s_and_saveexec_b32 s19, s39
	s_cbranch_execnz .LBB116_89
.LBB116_26:                             ;   in Loop: Header=BB116_21 Depth=1
	s_or_b32 exec_lo, exec_lo, s19
	v_add_nc_u32_e32 v39, s15, v6
	s_and_saveexec_b32 s19, s40
	s_cbranch_execnz .LBB116_90
.LBB116_27:                             ;   in Loop: Header=BB116_21 Depth=1
	s_or_b32 exec_lo, exec_lo, s19
	v_add_nc_u32_e32 v40, s15, v7
	s_and_saveexec_b32 s19, s41
	s_cbranch_execnz .LBB116_91
.LBB116_28:                             ;   in Loop: Header=BB116_21 Depth=1
	s_or_b32 exec_lo, exec_lo, s19
	v_add_nc_u32_e32 v41, s15, v10
	s_and_saveexec_b32 s15, s2
	s_cbranch_execnz .LBB116_92
.LBB116_29:                             ;   in Loop: Header=BB116_21 Depth=1
	s_or_b32 exec_lo, exec_lo, s15
	s_and_saveexec_b32 s15, s42
	s_cbranch_execnz .LBB116_93
.LBB116_30:                             ;   in Loop: Header=BB116_21 Depth=1
	s_or_b32 exec_lo, exec_lo, s15
	s_and_saveexec_b32 s15, s43
	s_cbranch_execnz .LBB116_94
.LBB116_31:                             ;   in Loop: Header=BB116_21 Depth=1
	s_or_b32 exec_lo, exec_lo, s15
	s_and_saveexec_b32 s15, s44
	s_cbranch_execnz .LBB116_95
.LBB116_32:                             ;   in Loop: Header=BB116_21 Depth=1
	s_or_b32 exec_lo, exec_lo, s15
	s_and_saveexec_b32 s15, s45
	s_cbranch_execnz .LBB116_96
.LBB116_33:                             ;   in Loop: Header=BB116_21 Depth=1
	s_or_b32 exec_lo, exec_lo, s15
	s_and_saveexec_b32 s15, s46
	s_cbranch_execnz .LBB116_97
.LBB116_34:                             ;   in Loop: Header=BB116_21 Depth=1
	s_or_b32 exec_lo, exec_lo, s15
	s_and_saveexec_b32 s15, s47
	s_cbranch_execnz .LBB116_98
.LBB116_35:                             ;   in Loop: Header=BB116_21 Depth=1
	s_or_b32 exec_lo, exec_lo, s15
	s_and_saveexec_b32 s15, s48
	s_cbranch_execnz .LBB116_99
.LBB116_36:                             ;   in Loop: Header=BB116_21 Depth=1
	s_or_b32 exec_lo, exec_lo, s15
	s_and_saveexec_b32 s15, s3
	s_cbranch_execnz .LBB116_100
.LBB116_37:                             ;   in Loop: Header=BB116_21 Depth=1
	s_or_b32 exec_lo, exec_lo, s15
	s_and_saveexec_b32 s15, s49
	s_cbranch_execnz .LBB116_101
.LBB116_38:                             ;   in Loop: Header=BB116_21 Depth=1
	s_or_b32 exec_lo, exec_lo, s15
	s_and_saveexec_b32 s15, s50
	s_cbranch_execnz .LBB116_102
.LBB116_39:                             ;   in Loop: Header=BB116_21 Depth=1
	s_or_b32 exec_lo, exec_lo, s15
	s_and_saveexec_b32 s15, s51
	s_cbranch_execnz .LBB116_103
.LBB116_40:                             ;   in Loop: Header=BB116_21 Depth=1
	s_or_b32 exec_lo, exec_lo, s15
	s_and_saveexec_b32 s15, s52
	s_cbranch_execnz .LBB116_104
.LBB116_41:                             ;   in Loop: Header=BB116_21 Depth=1
	s_or_b32 exec_lo, exec_lo, s15
	s_and_saveexec_b32 s15, s53
	s_cbranch_execnz .LBB116_105
.LBB116_42:                             ;   in Loop: Header=BB116_21 Depth=1
	s_or_b32 exec_lo, exec_lo, s15
	s_and_saveexec_b32 s15, s54
	s_cbranch_execnz .LBB116_106
.LBB116_43:                             ;   in Loop: Header=BB116_21 Depth=1
	s_or_b32 exec_lo, exec_lo, s15
	s_and_saveexec_b32 s15, s55
	s_cbranch_execnz .LBB116_107
.LBB116_44:                             ;   in Loop: Header=BB116_21 Depth=1
	s_or_b32 exec_lo, exec_lo, s15
	s_and_saveexec_b32 s15, s5
	s_cbranch_execnz .LBB116_108
.LBB116_45:                             ;   in Loop: Header=BB116_21 Depth=1
	s_or_b32 exec_lo, exec_lo, s15
	s_and_saveexec_b32 s15, s56
	s_cbranch_execnz .LBB116_109
.LBB116_46:                             ;   in Loop: Header=BB116_21 Depth=1
	s_or_b32 exec_lo, exec_lo, s15
	s_and_saveexec_b32 s15, s57
	s_cbranch_execnz .LBB116_110
.LBB116_47:                             ;   in Loop: Header=BB116_21 Depth=1
	s_or_b32 exec_lo, exec_lo, s15
	s_and_saveexec_b32 s15, s58
	s_cbranch_execnz .LBB116_111
.LBB116_48:                             ;   in Loop: Header=BB116_21 Depth=1
	s_or_b32 exec_lo, exec_lo, s15
	s_and_saveexec_b32 s15, s59
	s_cbranch_execnz .LBB116_112
.LBB116_49:                             ;   in Loop: Header=BB116_21 Depth=1
	s_or_b32 exec_lo, exec_lo, s15
	s_and_saveexec_b32 s15, s60
	s_cbranch_execnz .LBB116_113
.LBB116_50:                             ;   in Loop: Header=BB116_21 Depth=1
	s_or_b32 exec_lo, exec_lo, s15
	s_and_saveexec_b32 s15, s61
	s_cbranch_execnz .LBB116_114
.LBB116_51:                             ;   in Loop: Header=BB116_21 Depth=1
	s_or_b32 exec_lo, exec_lo, s15
	s_and_saveexec_b32 s15, s62
	s_cbranch_execnz .LBB116_115
.LBB116_52:                             ;   in Loop: Header=BB116_21 Depth=1
	s_or_b32 exec_lo, exec_lo, s15
	s_and_saveexec_b32 s15, s6
	s_cbranch_execnz .LBB116_116
.LBB116_53:                             ;   in Loop: Header=BB116_21 Depth=1
	s_or_b32 exec_lo, exec_lo, s15
	s_and_saveexec_b32 s15, s63
	s_cbranch_execnz .LBB116_117
.LBB116_54:                             ;   in Loop: Header=BB116_21 Depth=1
	s_or_b32 exec_lo, exec_lo, s15
	s_and_saveexec_b32 s15, s64
	s_cbranch_execnz .LBB116_118
.LBB116_55:                             ;   in Loop: Header=BB116_21 Depth=1
	s_or_b32 exec_lo, exec_lo, s15
	s_and_saveexec_b32 s15, s65
	s_cbranch_execnz .LBB116_119
.LBB116_56:                             ;   in Loop: Header=BB116_21 Depth=1
	s_or_b32 exec_lo, exec_lo, s15
	s_and_saveexec_b32 s15, s66
	s_cbranch_execnz .LBB116_120
.LBB116_57:                             ;   in Loop: Header=BB116_21 Depth=1
	s_or_b32 exec_lo, exec_lo, s15
	s_and_saveexec_b32 s15, s67
	s_cbranch_execnz .LBB116_121
.LBB116_58:                             ;   in Loop: Header=BB116_21 Depth=1
	s_or_b32 exec_lo, exec_lo, s15
	s_and_saveexec_b32 s15, s68
	s_cbranch_execnz .LBB116_122
.LBB116_59:                             ;   in Loop: Header=BB116_21 Depth=1
	s_or_b32 exec_lo, exec_lo, s15
	s_and_saveexec_b32 s15, s69
	s_cbranch_execnz .LBB116_123
.LBB116_60:                             ;   in Loop: Header=BB116_21 Depth=1
	s_or_b32 exec_lo, exec_lo, s15
	s_and_saveexec_b32 s15, s7
	s_cbranch_execnz .LBB116_124
.LBB116_61:                             ;   in Loop: Header=BB116_21 Depth=1
	s_or_b32 exec_lo, exec_lo, s15
	s_and_saveexec_b32 s15, s70
	s_cbranch_execnz .LBB116_125
.LBB116_62:                             ;   in Loop: Header=BB116_21 Depth=1
	s_or_b32 exec_lo, exec_lo, s15
	s_and_saveexec_b32 s15, s71
	s_cbranch_execnz .LBB116_126
.LBB116_63:                             ;   in Loop: Header=BB116_21 Depth=1
	s_or_b32 exec_lo, exec_lo, s15
	s_and_saveexec_b32 s15, s72
	s_cbranch_execnz .LBB116_127
.LBB116_64:                             ;   in Loop: Header=BB116_21 Depth=1
	s_or_b32 exec_lo, exec_lo, s15
	s_and_saveexec_b32 s15, s73
	s_cbranch_execnz .LBB116_128
.LBB116_65:                             ;   in Loop: Header=BB116_21 Depth=1
	s_or_b32 exec_lo, exec_lo, s15
	s_and_saveexec_b32 s15, s74
	s_cbranch_execnz .LBB116_129
.LBB116_66:                             ;   in Loop: Header=BB116_21 Depth=1
	s_or_b32 exec_lo, exec_lo, s15
	s_and_saveexec_b32 s15, s75
	s_cbranch_execnz .LBB116_130
.LBB116_67:                             ;   in Loop: Header=BB116_21 Depth=1
	s_or_b32 exec_lo, exec_lo, s15
	s_and_saveexec_b32 s15, s76
	s_cbranch_execnz .LBB116_131
.LBB116_68:                             ;   in Loop: Header=BB116_21 Depth=1
	s_or_b32 exec_lo, exec_lo, s15
	s_and_saveexec_b32 s15, s8
	s_cbranch_execnz .LBB116_132
.LBB116_69:                             ;   in Loop: Header=BB116_21 Depth=1
	s_or_b32 exec_lo, exec_lo, s15
	s_and_saveexec_b32 s15, s77
	s_cbranch_execnz .LBB116_133
.LBB116_70:                             ;   in Loop: Header=BB116_21 Depth=1
	s_or_b32 exec_lo, exec_lo, s15
	s_and_saveexec_b32 s15, s78
	s_cbranch_execnz .LBB116_134
.LBB116_71:                             ;   in Loop: Header=BB116_21 Depth=1
	s_or_b32 exec_lo, exec_lo, s15
	s_and_saveexec_b32 s15, s79
	s_cbranch_execnz .LBB116_135
.LBB116_72:                             ;   in Loop: Header=BB116_21 Depth=1
	s_or_b32 exec_lo, exec_lo, s15
	s_and_saveexec_b32 s15, s80
	s_cbranch_execnz .LBB116_136
.LBB116_73:                             ;   in Loop: Header=BB116_21 Depth=1
	s_or_b32 exec_lo, exec_lo, s15
	s_and_saveexec_b32 s15, s81
	s_cbranch_execnz .LBB116_137
.LBB116_74:                             ;   in Loop: Header=BB116_21 Depth=1
	s_or_b32 exec_lo, exec_lo, s15
	s_and_saveexec_b32 s15, s82
	s_cbranch_execnz .LBB116_138
.LBB116_75:                             ;   in Loop: Header=BB116_21 Depth=1
	s_or_b32 exec_lo, exec_lo, s15
	s_and_saveexec_b32 s15, s83
	s_cbranch_execnz .LBB116_139
.LBB116_76:                             ;   in Loop: Header=BB116_21 Depth=1
	s_or_b32 exec_lo, exec_lo, s15
	s_and_saveexec_b32 s15, s9
	s_cbranch_execnz .LBB116_140
.LBB116_77:                             ;   in Loop: Header=BB116_21 Depth=1
	s_or_b32 exec_lo, exec_lo, s15
	s_and_saveexec_b32 s15, s84
	s_cbranch_execnz .LBB116_141
.LBB116_78:                             ;   in Loop: Header=BB116_21 Depth=1
	s_or_b32 exec_lo, exec_lo, s15
	s_and_saveexec_b32 s15, s85
	s_cbranch_execnz .LBB116_142
.LBB116_79:                             ;   in Loop: Header=BB116_21 Depth=1
	s_or_b32 exec_lo, exec_lo, s15
	s_and_saveexec_b32 s15, s10
	s_cbranch_execnz .LBB116_143
.LBB116_80:                             ;   in Loop: Header=BB116_21 Depth=1
	s_or_b32 exec_lo, exec_lo, s15
	s_and_saveexec_b32 s15, s11
	s_cbranch_execnz .LBB116_144
.LBB116_81:                             ;   in Loop: Header=BB116_21 Depth=1
	s_or_b32 exec_lo, exec_lo, s15
	s_and_saveexec_b32 s15, s12
	s_cbranch_execnz .LBB116_145
.LBB116_82:                             ;   in Loop: Header=BB116_21 Depth=1
	s_or_b32 exec_lo, exec_lo, s15
	s_and_saveexec_b32 s15, s13
	s_cbranch_execnz .LBB116_146
.LBB116_83:                             ;   in Loop: Header=BB116_21 Depth=1
	s_or_b32 exec_lo, exec_lo, s15
	s_and_saveexec_b32 s15, s14
	s_cbranch_execnz .LBB116_147
.LBB116_84:                             ;   in Loop: Header=BB116_21 Depth=1
	s_or_b32 exec_lo, exec_lo, s15
	s_and_saveexec_b32 s15, s4
	s_cbranch_execz .LBB116_20
	s_branch .LBB116_148
.LBB116_85:                             ;   in Loop: Header=BB116_21 Depth=1
	v_dual_add_nc_u32 v34, s34, v32 :: v_dual_add_nc_u32 v36, v0, v31
	global_load_b32 v34, v34, s[20:21] scale_offset
	global_store_b32 v36, v35, s[24:25] scale_offset
	s_wait_loadcnt 0x0
	global_store_b32 v36, v34, s[22:23] scale_offset
	s_wait_xcnt 0x0
	s_or_b32 exec_lo, exec_lo, s19
	v_add_nc_u32_e32 v34, s15, v1
	s_and_saveexec_b32 s19, s36
	s_cbranch_execz .LBB116_23
.LBB116_86:                             ;   in Loop: Header=BB116_21 Depth=1
	v_add3_u32 v36, v8, s34, 32
	v_add_nc_u32_e32 v37, s34, v2
	s_delay_alu instid0(VALU_DEP_1)
	v_cndmask_b32_e32 v36, v37, v36, vcc_lo
	v_add3_u32 v37, v0, v31, 32
	global_load_b32 v36, v36, s[20:21] scale_offset
	global_store_b32 v37, v34, s[24:25] scale_offset
	s_wait_loadcnt 0x0
	global_store_b32 v37, v36, s[22:23] scale_offset
	s_wait_xcnt 0x0
	s_or_b32 exec_lo, exec_lo, s19
	v_add_nc_u32_e32 v36, s15, v3
	s_and_saveexec_b32 s19, s37
	s_cbranch_execz .LBB116_24
.LBB116_87:                             ;   in Loop: Header=BB116_21 Depth=1
	v_add3_u32 v37, v8, s34, 64
	v_add_nc_u32_e32 v38, s34, v16
	s_delay_alu instid0(VALU_DEP_1)
	v_cndmask_b32_e32 v37, v38, v37, vcc_lo
	v_add3_u32 v38, v0, v31, 64
	global_load_b32 v37, v37, s[20:21] scale_offset
	global_store_b32 v38, v36, s[24:25] scale_offset
	s_wait_loadcnt 0x0
	global_store_b32 v38, v37, s[22:23] scale_offset
	s_wait_xcnt 0x0
	s_or_b32 exec_lo, exec_lo, s19
	v_add_nc_u32_e32 v37, s15, v4
	s_and_saveexec_b32 s19, s38
	s_cbranch_execz .LBB116_25
.LBB116_88:                             ;   in Loop: Header=BB116_21 Depth=1
	v_add3_u32 v38, v8, s34, 0x60
	v_add_nc_u32_e32 v39, s34, v15
	s_delay_alu instid0(VALU_DEP_1)
	v_cndmask_b32_e32 v38, v39, v38, vcc_lo
	v_add3_u32 v39, v0, v31, 0x60
	global_load_b32 v38, v38, s[20:21] scale_offset
	global_store_b32 v39, v37, s[24:25] scale_offset
	s_wait_loadcnt 0x0
	global_store_b32 v39, v38, s[22:23] scale_offset
	s_wait_xcnt 0x0
	s_or_b32 exec_lo, exec_lo, s19
	v_add_nc_u32_e32 v38, s15, v5
	s_and_saveexec_b32 s19, s39
	s_cbranch_execz .LBB116_26
.LBB116_89:                             ;   in Loop: Header=BB116_21 Depth=1
	v_add3_u32 v39, v8, s34, 0x80
	v_add_nc_u32_e32 v40, s34, v14
	s_delay_alu instid0(VALU_DEP_1)
	v_cndmask_b32_e32 v39, v40, v39, vcc_lo
	v_add3_u32 v40, v0, v31, 0x80
	global_load_b32 v39, v39, s[20:21] scale_offset
	global_store_b32 v40, v38, s[24:25] scale_offset
	s_wait_loadcnt 0x0
	global_store_b32 v40, v39, s[22:23] scale_offset
	s_wait_xcnt 0x0
	s_or_b32 exec_lo, exec_lo, s19
	v_add_nc_u32_e32 v39, s15, v6
	s_and_saveexec_b32 s19, s40
	s_cbranch_execz .LBB116_27
.LBB116_90:                             ;   in Loop: Header=BB116_21 Depth=1
	v_add3_u32 v40, v8, s34, 0xa0
	v_add_nc_u32_e32 v41, s34, v13
	s_delay_alu instid0(VALU_DEP_1)
	v_cndmask_b32_e32 v40, v41, v40, vcc_lo
	v_add3_u32 v41, v0, v31, 0xa0
	global_load_b32 v40, v40, s[20:21] scale_offset
	global_store_b32 v41, v39, s[24:25] scale_offset
	s_wait_loadcnt 0x0
	global_store_b32 v41, v40, s[22:23] scale_offset
	s_wait_xcnt 0x0
	s_or_b32 exec_lo, exec_lo, s19
	v_add_nc_u32_e32 v40, s15, v7
	s_and_saveexec_b32 s19, s41
	s_cbranch_execz .LBB116_28
.LBB116_91:                             ;   in Loop: Header=BB116_21 Depth=1
	v_add3_u32 v41, v8, s34, 0xc0
	v_add_nc_u32_e32 v42, s34, v12
	s_delay_alu instid0(VALU_DEP_1)
	v_cndmask_b32_e32 v41, v42, v41, vcc_lo
	v_add3_u32 v42, v0, v31, 0xc0
	global_load_b32 v41, v41, s[20:21] scale_offset
	global_store_b32 v42, v40, s[24:25] scale_offset
	s_wait_loadcnt 0x0
	global_store_b32 v42, v41, s[22:23] scale_offset
	s_wait_xcnt 0x0
	s_or_b32 exec_lo, exec_lo, s19
	v_add_nc_u32_e32 v41, s15, v10
	s_and_saveexec_b32 s15, s2
	s_cbranch_execz .LBB116_29
.LBB116_92:                             ;   in Loop: Header=BB116_21 Depth=1
	v_add3_u32 v42, v8, s34, 0xe0
	v_add_nc_u32_e32 v43, s34, v11
	s_delay_alu instid0(VALU_DEP_1)
	v_cndmask_b32_e32 v42, v43, v42, vcc_lo
	v_add3_u32 v43, v0, v31, 0xe0
	global_load_b32 v42, v42, s[20:21] scale_offset
	global_store_b32 v43, v41, s[24:25] scale_offset
	s_wait_loadcnt 0x0
	global_store_b32 v43, v42, s[22:23] scale_offset
	s_wait_xcnt 0x0
	s_or_b32 exec_lo, exec_lo, s15
	s_and_saveexec_b32 s15, s42
	s_cbranch_execz .LBB116_30
.LBB116_93:                             ;   in Loop: Header=BB116_21 Depth=1
	v_add_nc_u32_e32 v42, s34, v17
	v_add3_u32 v43, v9, s34, 32
	s_delay_alu instid0(VALU_DEP_1)
	v_cndmask_b32_e32 v42, v43, v42, vcc_lo
	v_add_nc_u32_e32 v43, v0, v30
	global_load_b32 v42, v42, s[20:21] scale_offset
	global_store_b32 v43, v35, s[24:25] scale_offset
	s_wait_loadcnt 0x0
	global_store_b32 v43, v42, s[22:23] scale_offset
	s_wait_xcnt 0x0
	s_or_b32 exec_lo, exec_lo, s15
	s_and_saveexec_b32 s15, s43
	s_cbranch_execz .LBB116_31
.LBB116_94:                             ;   in Loop: Header=BB116_21 Depth=1
	v_add3_u32 v42, v33, s34, 32
	v_add3_u32 v43, v0, v30, 32
	global_load_b32 v42, v42, s[20:21] scale_offset
	global_store_b32 v43, v34, s[24:25] scale_offset
	s_wait_loadcnt 0x0
	global_store_b32 v43, v42, s[22:23] scale_offset
	s_wait_xcnt 0x0
	s_or_b32 exec_lo, exec_lo, s15
	s_and_saveexec_b32 s15, s44
	s_cbranch_execz .LBB116_32
.LBB116_95:                             ;   in Loop: Header=BB116_21 Depth=1
	v_add3_u32 v42, v17, s34, 64
	v_add3_u32 v43, v16, s34, 32
	s_delay_alu instid0(VALU_DEP_1)
	v_cndmask_b32_e32 v42, v43, v42, vcc_lo
	v_add3_u32 v43, v0, v30, 64
	global_load_b32 v42, v42, s[20:21] scale_offset
	global_store_b32 v43, v36, s[24:25] scale_offset
	s_wait_loadcnt 0x0
	global_store_b32 v43, v42, s[22:23] scale_offset
	s_wait_xcnt 0x0
	s_or_b32 exec_lo, exec_lo, s15
	s_and_saveexec_b32 s15, s45
	s_cbranch_execz .LBB116_33
.LBB116_96:                             ;   in Loop: Header=BB116_21 Depth=1
	v_add3_u32 v42, v17, s34, 0x60
	v_add3_u32 v43, v15, s34, 32
	s_delay_alu instid0(VALU_DEP_1)
	v_cndmask_b32_e32 v42, v43, v42, vcc_lo
	v_add3_u32 v43, v0, v30, 0x60
	global_load_b32 v42, v42, s[20:21] scale_offset
	global_store_b32 v43, v37, s[24:25] scale_offset
	s_wait_loadcnt 0x0
	global_store_b32 v43, v42, s[22:23] scale_offset
	s_wait_xcnt 0x0
	s_or_b32 exec_lo, exec_lo, s15
	s_and_saveexec_b32 s15, s46
	s_cbranch_execz .LBB116_34
.LBB116_97:                             ;   in Loop: Header=BB116_21 Depth=1
	v_add3_u32 v42, v17, s34, 0x80
	v_add3_u32 v43, v14, s34, 32
	s_delay_alu instid0(VALU_DEP_1)
	v_cndmask_b32_e32 v42, v43, v42, vcc_lo
	v_add3_u32 v43, v0, v30, 0x80
	global_load_b32 v42, v42, s[20:21] scale_offset
	global_store_b32 v43, v38, s[24:25] scale_offset
	s_wait_loadcnt 0x0
	global_store_b32 v43, v42, s[22:23] scale_offset
	s_wait_xcnt 0x0
	s_or_b32 exec_lo, exec_lo, s15
	s_and_saveexec_b32 s15, s47
	s_cbranch_execz .LBB116_35
.LBB116_98:                             ;   in Loop: Header=BB116_21 Depth=1
	v_add3_u32 v42, v17, s34, 0xa0
	v_add3_u32 v43, v13, s34, 32
	s_delay_alu instid0(VALU_DEP_1)
	v_cndmask_b32_e32 v42, v43, v42, vcc_lo
	v_add3_u32 v43, v0, v30, 0xa0
	global_load_b32 v42, v42, s[20:21] scale_offset
	global_store_b32 v43, v39, s[24:25] scale_offset
	s_wait_loadcnt 0x0
	global_store_b32 v43, v42, s[22:23] scale_offset
	s_wait_xcnt 0x0
	s_or_b32 exec_lo, exec_lo, s15
	s_and_saveexec_b32 s15, s48
	s_cbranch_execz .LBB116_36
.LBB116_99:                             ;   in Loop: Header=BB116_21 Depth=1
	v_add3_u32 v42, v17, s34, 0xc0
	v_add3_u32 v43, v12, s34, 32
	s_delay_alu instid0(VALU_DEP_1)
	v_cndmask_b32_e32 v42, v43, v42, vcc_lo
	v_add3_u32 v43, v0, v30, 0xc0
	global_load_b32 v42, v42, s[20:21] scale_offset
	global_store_b32 v43, v40, s[24:25] scale_offset
	s_wait_loadcnt 0x0
	global_store_b32 v43, v42, s[22:23] scale_offset
	s_wait_xcnt 0x0
	s_or_b32 exec_lo, exec_lo, s15
	s_and_saveexec_b32 s15, s3
	s_cbranch_execz .LBB116_37
.LBB116_100:                            ;   in Loop: Header=BB116_21 Depth=1
	v_add3_u32 v42, v17, s34, 0xe0
	v_add3_u32 v43, v11, s34, 32
	s_delay_alu instid0(VALU_DEP_1)
	v_cndmask_b32_e32 v42, v43, v42, vcc_lo
	v_add3_u32 v43, v0, v30, 0xe0
	global_load_b32 v42, v42, s[20:21] scale_offset
	global_store_b32 v43, v41, s[24:25] scale_offset
	s_wait_loadcnt 0x0
	global_store_b32 v43, v42, s[22:23] scale_offset
	s_wait_xcnt 0x0
	s_or_b32 exec_lo, exec_lo, s15
	s_and_saveexec_b32 s15, s49
	s_cbranch_execz .LBB116_38
.LBB116_101:                            ;   in Loop: Header=BB116_21 Depth=1
	v_add_nc_u32_e32 v42, s34, v18
	v_add3_u32 v43, v9, s34, 64
	s_delay_alu instid0(VALU_DEP_1)
	v_dual_cndmask_b32 v42, v43, v42 :: v_dual_add_nc_u32 v43, v0, v29
	global_load_b32 v42, v42, s[20:21] scale_offset
	global_store_b32 v43, v35, s[24:25] scale_offset
	s_wait_loadcnt 0x0
	global_store_b32 v43, v42, s[22:23] scale_offset
	s_wait_xcnt 0x0
	s_or_b32 exec_lo, exec_lo, s15
	s_and_saveexec_b32 s15, s50
	s_cbranch_execz .LBB116_39
.LBB116_102:                            ;   in Loop: Header=BB116_21 Depth=1
	v_add3_u32 v42, v18, s34, 32
	v_add3_u32 v43, v2, s34, 64
	s_delay_alu instid0(VALU_DEP_1)
	v_cndmask_b32_e32 v42, v43, v42, vcc_lo
	v_add3_u32 v43, v0, v29, 32
	global_load_b32 v42, v42, s[20:21] scale_offset
	global_store_b32 v43, v34, s[24:25] scale_offset
	s_wait_loadcnt 0x0
	global_store_b32 v43, v42, s[22:23] scale_offset
	s_wait_xcnt 0x0
	s_or_b32 exec_lo, exec_lo, s15
	s_and_saveexec_b32 s15, s51
	s_cbranch_execz .LBB116_40
.LBB116_103:                            ;   in Loop: Header=BB116_21 Depth=1
	v_cndmask_b32_e32 v42, v16, v18, vcc_lo
	v_add3_u32 v43, v0, v29, 64
	s_delay_alu instid0(VALU_DEP_2)
	v_add3_u32 v42, v42, s34, 64
	global_load_b32 v42, v42, s[20:21] scale_offset
	global_store_b32 v43, v36, s[24:25] scale_offset
	s_wait_loadcnt 0x0
	global_store_b32 v43, v42, s[22:23] scale_offset
	s_wait_xcnt 0x0
	s_or_b32 exec_lo, exec_lo, s15
	s_and_saveexec_b32 s15, s52
	s_cbranch_execz .LBB116_41
.LBB116_104:                            ;   in Loop: Header=BB116_21 Depth=1
	v_add3_u32 v42, v18, s34, 0x60
	v_add3_u32 v43, v15, s34, 64
	s_delay_alu instid0(VALU_DEP_1)
	v_cndmask_b32_e32 v42, v43, v42, vcc_lo
	v_add3_u32 v43, v0, v29, 0x60
	global_load_b32 v42, v42, s[20:21] scale_offset
	global_store_b32 v43, v37, s[24:25] scale_offset
	s_wait_loadcnt 0x0
	global_store_b32 v43, v42, s[22:23] scale_offset
	s_wait_xcnt 0x0
	s_or_b32 exec_lo, exec_lo, s15
	s_and_saveexec_b32 s15, s53
	s_cbranch_execz .LBB116_42
.LBB116_105:                            ;   in Loop: Header=BB116_21 Depth=1
	v_add3_u32 v42, v18, s34, 0x80
	v_add3_u32 v43, v14, s34, 64
	s_delay_alu instid0(VALU_DEP_1)
	v_cndmask_b32_e32 v42, v43, v42, vcc_lo
	v_add3_u32 v43, v0, v29, 0x80
	global_load_b32 v42, v42, s[20:21] scale_offset
	global_store_b32 v43, v38, s[24:25] scale_offset
	s_wait_loadcnt 0x0
	global_store_b32 v43, v42, s[22:23] scale_offset
	s_wait_xcnt 0x0
	s_or_b32 exec_lo, exec_lo, s15
	s_and_saveexec_b32 s15, s54
	s_cbranch_execz .LBB116_43
.LBB116_106:                            ;   in Loop: Header=BB116_21 Depth=1
	v_add3_u32 v42, v18, s34, 0xa0
	v_add3_u32 v43, v13, s34, 64
	s_delay_alu instid0(VALU_DEP_1)
	v_cndmask_b32_e32 v42, v43, v42, vcc_lo
	v_add3_u32 v43, v0, v29, 0xa0
	global_load_b32 v42, v42, s[20:21] scale_offset
	global_store_b32 v43, v39, s[24:25] scale_offset
	s_wait_loadcnt 0x0
	global_store_b32 v43, v42, s[22:23] scale_offset
	s_wait_xcnt 0x0
	s_or_b32 exec_lo, exec_lo, s15
	s_and_saveexec_b32 s15, s55
	s_cbranch_execz .LBB116_44
.LBB116_107:                            ;   in Loop: Header=BB116_21 Depth=1
	v_add3_u32 v42, v18, s34, 0xc0
	v_add3_u32 v43, v12, s34, 64
	s_delay_alu instid0(VALU_DEP_1)
	v_cndmask_b32_e32 v42, v43, v42, vcc_lo
	v_add3_u32 v43, v0, v29, 0xc0
	global_load_b32 v42, v42, s[20:21] scale_offset
	global_store_b32 v43, v40, s[24:25] scale_offset
	s_wait_loadcnt 0x0
	global_store_b32 v43, v42, s[22:23] scale_offset
	s_wait_xcnt 0x0
	s_or_b32 exec_lo, exec_lo, s15
	s_and_saveexec_b32 s15, s5
	s_cbranch_execz .LBB116_45
.LBB116_108:                            ;   in Loop: Header=BB116_21 Depth=1
	v_add3_u32 v42, v18, s34, 0xe0
	v_add3_u32 v43, v11, s34, 64
	s_delay_alu instid0(VALU_DEP_1)
	v_cndmask_b32_e32 v42, v43, v42, vcc_lo
	v_add3_u32 v43, v0, v29, 0xe0
	global_load_b32 v42, v42, s[20:21] scale_offset
	global_store_b32 v43, v41, s[24:25] scale_offset
	s_wait_loadcnt 0x0
	global_store_b32 v43, v42, s[22:23] scale_offset
	s_wait_xcnt 0x0
	s_or_b32 exec_lo, exec_lo, s15
	s_and_saveexec_b32 s15, s56
	s_cbranch_execz .LBB116_46
.LBB116_109:                            ;   in Loop: Header=BB116_21 Depth=1
	v_add_nc_u32_e32 v42, s34, v19
	v_add3_u32 v43, v9, s34, 0x60
	s_delay_alu instid0(VALU_DEP_1)
	v_dual_cndmask_b32 v42, v43, v42 :: v_dual_add_nc_u32 v43, v0, v28
	global_load_b32 v42, v42, s[20:21] scale_offset
	global_store_b32 v43, v35, s[24:25] scale_offset
	s_wait_loadcnt 0x0
	global_store_b32 v43, v42, s[22:23] scale_offset
	s_wait_xcnt 0x0
	s_or_b32 exec_lo, exec_lo, s15
	s_and_saveexec_b32 s15, s57
	s_cbranch_execz .LBB116_47
.LBB116_110:                            ;   in Loop: Header=BB116_21 Depth=1
	v_add3_u32 v42, v19, s34, 32
	v_add3_u32 v43, v2, s34, 0x60
	s_delay_alu instid0(VALU_DEP_1)
	v_cndmask_b32_e32 v42, v43, v42, vcc_lo
	v_add3_u32 v43, v0, v28, 32
	global_load_b32 v42, v42, s[20:21] scale_offset
	global_store_b32 v43, v34, s[24:25] scale_offset
	s_wait_loadcnt 0x0
	global_store_b32 v43, v42, s[22:23] scale_offset
	s_wait_xcnt 0x0
	s_or_b32 exec_lo, exec_lo, s15
	s_and_saveexec_b32 s15, s58
	s_cbranch_execz .LBB116_48
.LBB116_111:                            ;   in Loop: Header=BB116_21 Depth=1
	v_add3_u32 v42, v19, s34, 64
	v_add3_u32 v43, v16, s34, 0x60
	s_delay_alu instid0(VALU_DEP_1)
	v_cndmask_b32_e32 v42, v43, v42, vcc_lo
	v_add3_u32 v43, v0, v28, 64
	global_load_b32 v42, v42, s[20:21] scale_offset
	global_store_b32 v43, v36, s[24:25] scale_offset
	s_wait_loadcnt 0x0
	global_store_b32 v43, v42, s[22:23] scale_offset
	s_wait_xcnt 0x0
	s_or_b32 exec_lo, exec_lo, s15
	s_and_saveexec_b32 s15, s59
	s_cbranch_execz .LBB116_49
.LBB116_112:                            ;   in Loop: Header=BB116_21 Depth=1
	v_cndmask_b32_e32 v42, v15, v19, vcc_lo
	v_add3_u32 v43, v0, v28, 0x60
	s_delay_alu instid0(VALU_DEP_2)
	v_add3_u32 v42, v42, s34, 0x60
	global_load_b32 v42, v42, s[20:21] scale_offset
	global_store_b32 v43, v37, s[24:25] scale_offset
	s_wait_loadcnt 0x0
	global_store_b32 v43, v42, s[22:23] scale_offset
	s_wait_xcnt 0x0
	s_or_b32 exec_lo, exec_lo, s15
	s_and_saveexec_b32 s15, s60
	s_cbranch_execz .LBB116_50
.LBB116_113:                            ;   in Loop: Header=BB116_21 Depth=1
	v_add3_u32 v42, v19, s34, 0x80
	v_add3_u32 v43, v14, s34, 0x60
	s_delay_alu instid0(VALU_DEP_1)
	v_cndmask_b32_e32 v42, v43, v42, vcc_lo
	v_add3_u32 v43, v0, v28, 0x80
	global_load_b32 v42, v42, s[20:21] scale_offset
	global_store_b32 v43, v38, s[24:25] scale_offset
	s_wait_loadcnt 0x0
	global_store_b32 v43, v42, s[22:23] scale_offset
	s_wait_xcnt 0x0
	s_or_b32 exec_lo, exec_lo, s15
	s_and_saveexec_b32 s15, s61
	s_cbranch_execz .LBB116_51
.LBB116_114:                            ;   in Loop: Header=BB116_21 Depth=1
	v_add3_u32 v42, v19, s34, 0xa0
	v_add3_u32 v43, v13, s34, 0x60
	s_delay_alu instid0(VALU_DEP_1)
	v_cndmask_b32_e32 v42, v43, v42, vcc_lo
	v_add3_u32 v43, v0, v28, 0xa0
	global_load_b32 v42, v42, s[20:21] scale_offset
	global_store_b32 v43, v39, s[24:25] scale_offset
	s_wait_loadcnt 0x0
	global_store_b32 v43, v42, s[22:23] scale_offset
	s_wait_xcnt 0x0
	s_or_b32 exec_lo, exec_lo, s15
	s_and_saveexec_b32 s15, s62
	s_cbranch_execz .LBB116_52
.LBB116_115:                            ;   in Loop: Header=BB116_21 Depth=1
	v_add3_u32 v42, v19, s34, 0xc0
	v_add3_u32 v43, v12, s34, 0x60
	s_delay_alu instid0(VALU_DEP_1)
	v_cndmask_b32_e32 v42, v43, v42, vcc_lo
	v_add3_u32 v43, v0, v28, 0xc0
	global_load_b32 v42, v42, s[20:21] scale_offset
	global_store_b32 v43, v40, s[24:25] scale_offset
	s_wait_loadcnt 0x0
	global_store_b32 v43, v42, s[22:23] scale_offset
	s_wait_xcnt 0x0
	s_or_b32 exec_lo, exec_lo, s15
	s_and_saveexec_b32 s15, s6
	s_cbranch_execz .LBB116_53
.LBB116_116:                            ;   in Loop: Header=BB116_21 Depth=1
	v_add3_u32 v42, v19, s34, 0xe0
	v_add3_u32 v43, v11, s34, 0x60
	s_delay_alu instid0(VALU_DEP_1)
	v_cndmask_b32_e32 v42, v43, v42, vcc_lo
	v_add3_u32 v43, v0, v28, 0xe0
	global_load_b32 v42, v42, s[20:21] scale_offset
	global_store_b32 v43, v41, s[24:25] scale_offset
	s_wait_loadcnt 0x0
	global_store_b32 v43, v42, s[22:23] scale_offset
	s_wait_xcnt 0x0
	s_or_b32 exec_lo, exec_lo, s15
	s_and_saveexec_b32 s15, s63
	s_cbranch_execz .LBB116_54
.LBB116_117:                            ;   in Loop: Header=BB116_21 Depth=1
	v_add_nc_u32_e32 v42, s34, v20
	v_add3_u32 v43, v9, s34, 0x80
	s_delay_alu instid0(VALU_DEP_1)
	v_dual_cndmask_b32 v42, v43, v42 :: v_dual_add_nc_u32 v43, v0, v27
	global_load_b32 v42, v42, s[20:21] scale_offset
	global_store_b32 v43, v35, s[24:25] scale_offset
	s_wait_loadcnt 0x0
	global_store_b32 v43, v42, s[22:23] scale_offset
	s_wait_xcnt 0x0
	s_or_b32 exec_lo, exec_lo, s15
	s_and_saveexec_b32 s15, s64
	s_cbranch_execz .LBB116_55
.LBB116_118:                            ;   in Loop: Header=BB116_21 Depth=1
	v_add3_u32 v42, v20, s34, 32
	v_add3_u32 v43, v2, s34, 0x80
	s_delay_alu instid0(VALU_DEP_1)
	v_cndmask_b32_e32 v42, v43, v42, vcc_lo
	v_add3_u32 v43, v0, v27, 32
	global_load_b32 v42, v42, s[20:21] scale_offset
	global_store_b32 v43, v34, s[24:25] scale_offset
	s_wait_loadcnt 0x0
	global_store_b32 v43, v42, s[22:23] scale_offset
	s_wait_xcnt 0x0
	s_or_b32 exec_lo, exec_lo, s15
	s_and_saveexec_b32 s15, s65
	s_cbranch_execz .LBB116_56
.LBB116_119:                            ;   in Loop: Header=BB116_21 Depth=1
	v_add3_u32 v42, v20, s34, 64
	v_add3_u32 v43, v16, s34, 0x80
	s_delay_alu instid0(VALU_DEP_1)
	v_cndmask_b32_e32 v42, v43, v42, vcc_lo
	v_add3_u32 v43, v0, v27, 64
	global_load_b32 v42, v42, s[20:21] scale_offset
	global_store_b32 v43, v36, s[24:25] scale_offset
	s_wait_loadcnt 0x0
	global_store_b32 v43, v42, s[22:23] scale_offset
	s_wait_xcnt 0x0
	s_or_b32 exec_lo, exec_lo, s15
	s_and_saveexec_b32 s15, s66
	s_cbranch_execz .LBB116_57
.LBB116_120:                            ;   in Loop: Header=BB116_21 Depth=1
	v_add3_u32 v42, v20, s34, 0x60
	v_add3_u32 v43, v15, s34, 0x80
	s_delay_alu instid0(VALU_DEP_1)
	v_cndmask_b32_e32 v42, v43, v42, vcc_lo
	v_add3_u32 v43, v0, v27, 0x60
	global_load_b32 v42, v42, s[20:21] scale_offset
	global_store_b32 v43, v37, s[24:25] scale_offset
	s_wait_loadcnt 0x0
	global_store_b32 v43, v42, s[22:23] scale_offset
	s_wait_xcnt 0x0
	s_or_b32 exec_lo, exec_lo, s15
	s_and_saveexec_b32 s15, s67
	s_cbranch_execz .LBB116_58
.LBB116_121:                            ;   in Loop: Header=BB116_21 Depth=1
	v_cndmask_b32_e32 v42, v14, v20, vcc_lo
	v_add3_u32 v43, v0, v27, 0x80
	s_delay_alu instid0(VALU_DEP_2)
	v_add3_u32 v42, v42, s34, 0x80
	global_load_b32 v42, v42, s[20:21] scale_offset
	global_store_b32 v43, v38, s[24:25] scale_offset
	s_wait_loadcnt 0x0
	global_store_b32 v43, v42, s[22:23] scale_offset
	s_wait_xcnt 0x0
	s_or_b32 exec_lo, exec_lo, s15
	s_and_saveexec_b32 s15, s68
	s_cbranch_execz .LBB116_59
.LBB116_122:                            ;   in Loop: Header=BB116_21 Depth=1
	v_add3_u32 v42, v20, s34, 0xa0
	v_add3_u32 v43, v13, s34, 0x80
	s_delay_alu instid0(VALU_DEP_1)
	v_cndmask_b32_e32 v42, v43, v42, vcc_lo
	v_add3_u32 v43, v0, v27, 0xa0
	global_load_b32 v42, v42, s[20:21] scale_offset
	global_store_b32 v43, v39, s[24:25] scale_offset
	s_wait_loadcnt 0x0
	global_store_b32 v43, v42, s[22:23] scale_offset
	s_wait_xcnt 0x0
	s_or_b32 exec_lo, exec_lo, s15
	s_and_saveexec_b32 s15, s69
	s_cbranch_execz .LBB116_60
.LBB116_123:                            ;   in Loop: Header=BB116_21 Depth=1
	v_add3_u32 v42, v20, s34, 0xc0
	v_add3_u32 v43, v12, s34, 0x80
	s_delay_alu instid0(VALU_DEP_1)
	v_cndmask_b32_e32 v42, v43, v42, vcc_lo
	v_add3_u32 v43, v0, v27, 0xc0
	global_load_b32 v42, v42, s[20:21] scale_offset
	global_store_b32 v43, v40, s[24:25] scale_offset
	s_wait_loadcnt 0x0
	global_store_b32 v43, v42, s[22:23] scale_offset
	s_wait_xcnt 0x0
	s_or_b32 exec_lo, exec_lo, s15
	s_and_saveexec_b32 s15, s7
	s_cbranch_execz .LBB116_61
.LBB116_124:                            ;   in Loop: Header=BB116_21 Depth=1
	v_add3_u32 v42, v20, s34, 0xe0
	v_add3_u32 v43, v11, s34, 0x80
	s_delay_alu instid0(VALU_DEP_1)
	v_cndmask_b32_e32 v42, v43, v42, vcc_lo
	v_add3_u32 v43, v0, v27, 0xe0
	global_load_b32 v42, v42, s[20:21] scale_offset
	global_store_b32 v43, v41, s[24:25] scale_offset
	s_wait_loadcnt 0x0
	global_store_b32 v43, v42, s[22:23] scale_offset
	s_wait_xcnt 0x0
	s_or_b32 exec_lo, exec_lo, s15
	s_and_saveexec_b32 s15, s70
	s_cbranch_execz .LBB116_62
.LBB116_125:                            ;   in Loop: Header=BB116_21 Depth=1
	v_add_nc_u32_e32 v42, s34, v21
	v_add3_u32 v43, v9, s34, 0xa0
	s_delay_alu instid0(VALU_DEP_1)
	v_cndmask_b32_e32 v42, v43, v42, vcc_lo
	v_add_nc_u32_e32 v43, v0, v26
	global_load_b32 v42, v42, s[20:21] scale_offset
	global_store_b32 v43, v35, s[24:25] scale_offset
	s_wait_loadcnt 0x0
	global_store_b32 v43, v42, s[22:23] scale_offset
	s_wait_xcnt 0x0
	s_or_b32 exec_lo, exec_lo, s15
	s_and_saveexec_b32 s15, s71
	s_cbranch_execz .LBB116_63
.LBB116_126:                            ;   in Loop: Header=BB116_21 Depth=1
	v_add3_u32 v42, v21, s34, 32
	v_add3_u32 v43, v2, s34, 0xa0
	s_delay_alu instid0(VALU_DEP_1)
	v_cndmask_b32_e32 v42, v43, v42, vcc_lo
	v_add3_u32 v43, v0, v26, 32
	global_load_b32 v42, v42, s[20:21] scale_offset
	global_store_b32 v43, v34, s[24:25] scale_offset
	s_wait_loadcnt 0x0
	global_store_b32 v43, v42, s[22:23] scale_offset
	s_wait_xcnt 0x0
	s_or_b32 exec_lo, exec_lo, s15
	s_and_saveexec_b32 s15, s72
	s_cbranch_execz .LBB116_64
.LBB116_127:                            ;   in Loop: Header=BB116_21 Depth=1
	v_add3_u32 v42, v21, s34, 64
	v_add3_u32 v43, v16, s34, 0xa0
	s_delay_alu instid0(VALU_DEP_1)
	v_cndmask_b32_e32 v42, v43, v42, vcc_lo
	v_add3_u32 v43, v0, v26, 64
	global_load_b32 v42, v42, s[20:21] scale_offset
	global_store_b32 v43, v36, s[24:25] scale_offset
	s_wait_loadcnt 0x0
	global_store_b32 v43, v42, s[22:23] scale_offset
	s_wait_xcnt 0x0
	s_or_b32 exec_lo, exec_lo, s15
	s_and_saveexec_b32 s15, s73
	s_cbranch_execz .LBB116_65
.LBB116_128:                            ;   in Loop: Header=BB116_21 Depth=1
	v_add3_u32 v42, v21, s34, 0x60
	v_add3_u32 v43, v15, s34, 0xa0
	s_delay_alu instid0(VALU_DEP_1)
	v_cndmask_b32_e32 v42, v43, v42, vcc_lo
	v_add3_u32 v43, v0, v26, 0x60
	global_load_b32 v42, v42, s[20:21] scale_offset
	global_store_b32 v43, v37, s[24:25] scale_offset
	s_wait_loadcnt 0x0
	global_store_b32 v43, v42, s[22:23] scale_offset
	s_wait_xcnt 0x0
	s_or_b32 exec_lo, exec_lo, s15
	s_and_saveexec_b32 s15, s74
	s_cbranch_execz .LBB116_66
.LBB116_129:                            ;   in Loop: Header=BB116_21 Depth=1
	v_add3_u32 v42, v21, s34, 0x80
	v_add3_u32 v43, v14, s34, 0xa0
	s_delay_alu instid0(VALU_DEP_1)
	v_cndmask_b32_e32 v42, v43, v42, vcc_lo
	v_add3_u32 v43, v0, v26, 0x80
	global_load_b32 v42, v42, s[20:21] scale_offset
	global_store_b32 v43, v38, s[24:25] scale_offset
	s_wait_loadcnt 0x0
	global_store_b32 v43, v42, s[22:23] scale_offset
	s_wait_xcnt 0x0
	s_or_b32 exec_lo, exec_lo, s15
	s_and_saveexec_b32 s15, s75
	s_cbranch_execz .LBB116_67
.LBB116_130:                            ;   in Loop: Header=BB116_21 Depth=1
	v_cndmask_b32_e32 v42, v13, v21, vcc_lo
	v_add3_u32 v43, v0, v26, 0xa0
	s_delay_alu instid0(VALU_DEP_2)
	v_add3_u32 v42, v42, s34, 0xa0
	global_load_b32 v42, v42, s[20:21] scale_offset
	global_store_b32 v43, v39, s[24:25] scale_offset
	s_wait_loadcnt 0x0
	global_store_b32 v43, v42, s[22:23] scale_offset
	s_wait_xcnt 0x0
	s_or_b32 exec_lo, exec_lo, s15
	s_and_saveexec_b32 s15, s76
	s_cbranch_execz .LBB116_68
.LBB116_131:                            ;   in Loop: Header=BB116_21 Depth=1
	v_add3_u32 v42, v21, s34, 0xc0
	v_add3_u32 v43, v12, s34, 0xa0
	s_delay_alu instid0(VALU_DEP_1)
	v_cndmask_b32_e32 v42, v43, v42, vcc_lo
	v_add3_u32 v43, v0, v26, 0xc0
	global_load_b32 v42, v42, s[20:21] scale_offset
	global_store_b32 v43, v40, s[24:25] scale_offset
	s_wait_loadcnt 0x0
	global_store_b32 v43, v42, s[22:23] scale_offset
	s_wait_xcnt 0x0
	s_or_b32 exec_lo, exec_lo, s15
	s_and_saveexec_b32 s15, s8
	s_cbranch_execz .LBB116_69
.LBB116_132:                            ;   in Loop: Header=BB116_21 Depth=1
	v_add3_u32 v42, v21, s34, 0xe0
	v_add3_u32 v43, v11, s34, 0xa0
	s_delay_alu instid0(VALU_DEP_1)
	v_cndmask_b32_e32 v42, v43, v42, vcc_lo
	v_add3_u32 v43, v0, v26, 0xe0
	global_load_b32 v42, v42, s[20:21] scale_offset
	global_store_b32 v43, v41, s[24:25] scale_offset
	s_wait_loadcnt 0x0
	global_store_b32 v43, v42, s[22:23] scale_offset
	s_wait_xcnt 0x0
	s_or_b32 exec_lo, exec_lo, s15
	s_and_saveexec_b32 s15, s77
	s_cbranch_execz .LBB116_70
.LBB116_133:                            ;   in Loop: Header=BB116_21 Depth=1
	v_add_nc_u32_e32 v42, s34, v22
	v_add3_u32 v43, v9, s34, 0xc0
	s_delay_alu instid0(VALU_DEP_1)
	v_dual_cndmask_b32 v42, v43, v42 :: v_dual_add_nc_u32 v43, v0, v25
	global_load_b32 v42, v42, s[20:21] scale_offset
	global_store_b32 v43, v35, s[24:25] scale_offset
	s_wait_loadcnt 0x0
	global_store_b32 v43, v42, s[22:23] scale_offset
	s_wait_xcnt 0x0
	s_or_b32 exec_lo, exec_lo, s15
	s_and_saveexec_b32 s15, s78
	s_cbranch_execz .LBB116_71
.LBB116_134:                            ;   in Loop: Header=BB116_21 Depth=1
	v_add3_u32 v42, v22, s34, 32
	v_add3_u32 v43, v2, s34, 0xc0
	s_delay_alu instid0(VALU_DEP_1)
	v_cndmask_b32_e32 v42, v43, v42, vcc_lo
	v_add3_u32 v43, v0, v25, 32
	global_load_b32 v42, v42, s[20:21] scale_offset
	global_store_b32 v43, v34, s[24:25] scale_offset
	s_wait_loadcnt 0x0
	global_store_b32 v43, v42, s[22:23] scale_offset
	s_wait_xcnt 0x0
	s_or_b32 exec_lo, exec_lo, s15
	s_and_saveexec_b32 s15, s79
	s_cbranch_execz .LBB116_72
.LBB116_135:                            ;   in Loop: Header=BB116_21 Depth=1
	v_add3_u32 v42, v22, s34, 64
	v_add3_u32 v43, v16, s34, 0xc0
	s_delay_alu instid0(VALU_DEP_1)
	v_cndmask_b32_e32 v42, v43, v42, vcc_lo
	v_add3_u32 v43, v0, v25, 64
	global_load_b32 v42, v42, s[20:21] scale_offset
	global_store_b32 v43, v36, s[24:25] scale_offset
	s_wait_loadcnt 0x0
	global_store_b32 v43, v42, s[22:23] scale_offset
	s_wait_xcnt 0x0
	s_or_b32 exec_lo, exec_lo, s15
	s_and_saveexec_b32 s15, s80
	s_cbranch_execz .LBB116_73
.LBB116_136:                            ;   in Loop: Header=BB116_21 Depth=1
	v_add3_u32 v42, v22, s34, 0x60
	v_add3_u32 v43, v15, s34, 0xc0
	s_delay_alu instid0(VALU_DEP_1)
	v_cndmask_b32_e32 v42, v43, v42, vcc_lo
	v_add3_u32 v43, v0, v25, 0x60
	global_load_b32 v42, v42, s[20:21] scale_offset
	global_store_b32 v43, v37, s[24:25] scale_offset
	s_wait_loadcnt 0x0
	global_store_b32 v43, v42, s[22:23] scale_offset
	s_wait_xcnt 0x0
	s_or_b32 exec_lo, exec_lo, s15
	s_and_saveexec_b32 s15, s81
	s_cbranch_execz .LBB116_74
.LBB116_137:                            ;   in Loop: Header=BB116_21 Depth=1
	v_add3_u32 v42, v22, s34, 0x80
	v_add3_u32 v43, v14, s34, 0xc0
	s_delay_alu instid0(VALU_DEP_1)
	v_cndmask_b32_e32 v42, v43, v42, vcc_lo
	v_add3_u32 v43, v0, v25, 0x80
	global_load_b32 v42, v42, s[20:21] scale_offset
	global_store_b32 v43, v38, s[24:25] scale_offset
	s_wait_loadcnt 0x0
	global_store_b32 v43, v42, s[22:23] scale_offset
	s_wait_xcnt 0x0
	s_or_b32 exec_lo, exec_lo, s15
	s_and_saveexec_b32 s15, s82
	s_cbranch_execz .LBB116_75
.LBB116_138:                            ;   in Loop: Header=BB116_21 Depth=1
	v_add3_u32 v42, v22, s34, 0xa0
	v_add3_u32 v43, v13, s34, 0xc0
	s_delay_alu instid0(VALU_DEP_1)
	v_cndmask_b32_e32 v42, v43, v42, vcc_lo
	v_add3_u32 v43, v0, v25, 0xa0
	global_load_b32 v42, v42, s[20:21] scale_offset
	global_store_b32 v43, v39, s[24:25] scale_offset
	s_wait_loadcnt 0x0
	global_store_b32 v43, v42, s[22:23] scale_offset
	s_wait_xcnt 0x0
	s_or_b32 exec_lo, exec_lo, s15
	s_and_saveexec_b32 s15, s83
	s_cbranch_execz .LBB116_76
.LBB116_139:                            ;   in Loop: Header=BB116_21 Depth=1
	v_cndmask_b32_e32 v42, v12, v22, vcc_lo
	v_add3_u32 v43, v0, v25, 0xc0
	s_delay_alu instid0(VALU_DEP_2)
	v_add3_u32 v42, v42, s34, 0xc0
	global_load_b32 v42, v42, s[20:21] scale_offset
	global_store_b32 v43, v40, s[24:25] scale_offset
	s_wait_loadcnt 0x0
	global_store_b32 v43, v42, s[22:23] scale_offset
	s_wait_xcnt 0x0
	s_or_b32 exec_lo, exec_lo, s15
	s_and_saveexec_b32 s15, s9
	s_cbranch_execz .LBB116_77
.LBB116_140:                            ;   in Loop: Header=BB116_21 Depth=1
	v_add3_u32 v42, v22, s34, 0xe0
	v_add3_u32 v43, v11, s34, 0xc0
	s_delay_alu instid0(VALU_DEP_1)
	v_cndmask_b32_e32 v42, v43, v42, vcc_lo
	v_add3_u32 v43, v0, v25, 0xe0
	global_load_b32 v42, v42, s[20:21] scale_offset
	global_store_b32 v43, v41, s[24:25] scale_offset
	s_wait_loadcnt 0x0
	global_store_b32 v43, v42, s[22:23] scale_offset
	s_wait_xcnt 0x0
	s_or_b32 exec_lo, exec_lo, s15
	s_and_saveexec_b32 s15, s84
	s_cbranch_execz .LBB116_78
.LBB116_141:                            ;   in Loop: Header=BB116_21 Depth=1
	v_add_nc_u32_e32 v42, s34, v23
	v_add3_u32 v43, v9, s34, 0xe0
	s_delay_alu instid0(VALU_DEP_1)
	v_dual_cndmask_b32 v42, v43, v42 :: v_dual_add_nc_u32 v43, v0, v24
	global_load_b32 v42, v42, s[20:21] scale_offset
	global_store_b32 v43, v35, s[24:25] scale_offset
	s_wait_loadcnt 0x0
	global_store_b32 v43, v42, s[22:23] scale_offset
	s_wait_xcnt 0x0
	s_or_b32 exec_lo, exec_lo, s15
	s_and_saveexec_b32 s15, s85
	s_cbranch_execz .LBB116_79
.LBB116_142:                            ;   in Loop: Header=BB116_21 Depth=1
	v_add3_u32 v35, v23, s34, 32
	v_add3_u32 v42, v2, s34, 0xe0
	s_delay_alu instid0(VALU_DEP_1)
	v_cndmask_b32_e32 v35, v42, v35, vcc_lo
	v_add3_u32 v42, v0, v24, 32
	global_load_b32 v35, v35, s[20:21] scale_offset
	global_store_b32 v42, v34, s[24:25] scale_offset
	s_wait_loadcnt 0x0
	global_store_b32 v42, v35, s[22:23] scale_offset
	s_wait_xcnt 0x0
	s_or_b32 exec_lo, exec_lo, s15
	s_and_saveexec_b32 s15, s10
	s_cbranch_execz .LBB116_80
.LBB116_143:                            ;   in Loop: Header=BB116_21 Depth=1
	v_add3_u32 v34, v23, s34, 64
	v_add3_u32 v35, v16, s34, 0xe0
	s_delay_alu instid0(VALU_DEP_1)
	v_cndmask_b32_e32 v34, v35, v34, vcc_lo
	v_add3_u32 v35, v0, v24, 64
	global_load_b32 v34, v34, s[20:21] scale_offset
	global_store_b32 v35, v36, s[24:25] scale_offset
	s_wait_loadcnt 0x0
	global_store_b32 v35, v34, s[22:23] scale_offset
	s_wait_xcnt 0x0
	s_or_b32 exec_lo, exec_lo, s15
	s_and_saveexec_b32 s15, s11
	s_cbranch_execz .LBB116_81
.LBB116_144:                            ;   in Loop: Header=BB116_21 Depth=1
	v_add3_u32 v34, v23, s34, 0x60
	v_add3_u32 v35, v15, s34, 0xe0
	s_delay_alu instid0(VALU_DEP_1)
	v_cndmask_b32_e32 v34, v35, v34, vcc_lo
	v_add3_u32 v35, v0, v24, 0x60
	global_load_b32 v34, v34, s[20:21] scale_offset
	global_store_b32 v35, v37, s[24:25] scale_offset
	s_wait_loadcnt 0x0
	global_store_b32 v35, v34, s[22:23] scale_offset
	s_wait_xcnt 0x0
	s_or_b32 exec_lo, exec_lo, s15
	s_and_saveexec_b32 s15, s12
	s_cbranch_execz .LBB116_82
.LBB116_145:                            ;   in Loop: Header=BB116_21 Depth=1
	v_add3_u32 v34, v23, s34, 0x80
	v_add3_u32 v35, v14, s34, 0xe0
	s_delay_alu instid0(VALU_DEP_1)
	v_cndmask_b32_e32 v34, v35, v34, vcc_lo
	v_add3_u32 v35, v0, v24, 0x80
	global_load_b32 v34, v34, s[20:21] scale_offset
	global_store_b32 v35, v38, s[24:25] scale_offset
	s_wait_loadcnt 0x0
	global_store_b32 v35, v34, s[22:23] scale_offset
	s_wait_xcnt 0x0
	s_or_b32 exec_lo, exec_lo, s15
	s_and_saveexec_b32 s15, s13
	s_cbranch_execz .LBB116_83
.LBB116_146:                            ;   in Loop: Header=BB116_21 Depth=1
	v_add3_u32 v34, v23, s34, 0xa0
	v_add3_u32 v35, v13, s34, 0xe0
	s_delay_alu instid0(VALU_DEP_1)
	v_cndmask_b32_e32 v34, v35, v34, vcc_lo
	v_add3_u32 v35, v0, v24, 0xa0
	global_load_b32 v34, v34, s[20:21] scale_offset
	global_store_b32 v35, v39, s[24:25] scale_offset
	s_wait_loadcnt 0x0
	global_store_b32 v35, v34, s[22:23] scale_offset
	s_wait_xcnt 0x0
	s_or_b32 exec_lo, exec_lo, s15
	s_and_saveexec_b32 s15, s14
	s_cbranch_execz .LBB116_84
.LBB116_147:                            ;   in Loop: Header=BB116_21 Depth=1
	v_add3_u32 v34, v23, s34, 0xc0
	v_add3_u32 v35, v12, s34, 0xe0
	s_delay_alu instid0(VALU_DEP_1)
	v_cndmask_b32_e32 v34, v35, v34, vcc_lo
	v_add3_u32 v35, v0, v24, 0xc0
	global_load_b32 v34, v34, s[20:21] scale_offset
	global_store_b32 v35, v40, s[24:25] scale_offset
	s_wait_loadcnt 0x0
	global_store_b32 v35, v34, s[22:23] scale_offset
	s_wait_xcnt 0x0
	s_or_b32 exec_lo, exec_lo, s15
	s_and_saveexec_b32 s15, s4
	s_cbranch_execz .LBB116_20
.LBB116_148:                            ;   in Loop: Header=BB116_21 Depth=1
	v_cndmask_b32_e32 v34, v11, v23, vcc_lo
	v_add3_u32 v35, v0, v24, 0xe0
	s_delay_alu instid0(VALU_DEP_2)
	v_add3_u32 v34, v34, s34, 0xe0
	global_load_b32 v34, v34, s[20:21] scale_offset
	global_store_b32 v35, v41, s[24:25] scale_offset
	s_wait_loadcnt 0x0
	global_store_b32 v35, v34, s[22:23] scale_offset
	s_branch .LBB116_20
.LBB116_149:
	s_endpgm
	.section	.rodata,"a",@progbits
	.p2align	6, 0x0
	.amdhsa_kernel _ZN9rocsparseL35bsr2csr_block_per_row_33_256_kernelILj1024ELj256ELj32EfiiEEv20rocsparse_direction_T4_S2_21rocsparse_index_base_PKT2_PKT3_PKS2_S2_S3_PS4_PS7_PS2_
		.amdhsa_group_segment_fixed_size 0
		.amdhsa_private_segment_fixed_size 0
		.amdhsa_kernarg_size 72
		.amdhsa_user_sgpr_count 2
		.amdhsa_user_sgpr_dispatch_ptr 0
		.amdhsa_user_sgpr_queue_ptr 0
		.amdhsa_user_sgpr_kernarg_segment_ptr 1
		.amdhsa_user_sgpr_dispatch_id 0
		.amdhsa_user_sgpr_kernarg_preload_length 0
		.amdhsa_user_sgpr_kernarg_preload_offset 0
		.amdhsa_user_sgpr_private_segment_size 0
		.amdhsa_wavefront_size32 1
		.amdhsa_uses_dynamic_stack 0
		.amdhsa_enable_private_segment 0
		.amdhsa_system_sgpr_workgroup_id_x 1
		.amdhsa_system_sgpr_workgroup_id_y 0
		.amdhsa_system_sgpr_workgroup_id_z 0
		.amdhsa_system_sgpr_workgroup_info 0
		.amdhsa_system_vgpr_workitem_id 0
		.amdhsa_next_free_vgpr 44
		.amdhsa_next_free_sgpr 87
		.amdhsa_named_barrier_count 0
		.amdhsa_reserve_vcc 1
		.amdhsa_float_round_mode_32 0
		.amdhsa_float_round_mode_16_64 0
		.amdhsa_float_denorm_mode_32 3
		.amdhsa_float_denorm_mode_16_64 3
		.amdhsa_fp16_overflow 0
		.amdhsa_memory_ordered 1
		.amdhsa_forward_progress 1
		.amdhsa_inst_pref_size 68
		.amdhsa_round_robin_scheduling 0
		.amdhsa_exception_fp_ieee_invalid_op 0
		.amdhsa_exception_fp_denorm_src 0
		.amdhsa_exception_fp_ieee_div_zero 0
		.amdhsa_exception_fp_ieee_overflow 0
		.amdhsa_exception_fp_ieee_underflow 0
		.amdhsa_exception_fp_ieee_inexact 0
		.amdhsa_exception_int_div_zero 0
	.end_amdhsa_kernel
	.section	.text._ZN9rocsparseL35bsr2csr_block_per_row_33_256_kernelILj1024ELj256ELj32EfiiEEv20rocsparse_direction_T4_S2_21rocsparse_index_base_PKT2_PKT3_PKS2_S2_S3_PS4_PS7_PS2_,"axG",@progbits,_ZN9rocsparseL35bsr2csr_block_per_row_33_256_kernelILj1024ELj256ELj32EfiiEEv20rocsparse_direction_T4_S2_21rocsparse_index_base_PKT2_PKT3_PKS2_S2_S3_PS4_PS7_PS2_,comdat
.Lfunc_end116:
	.size	_ZN9rocsparseL35bsr2csr_block_per_row_33_256_kernelILj1024ELj256ELj32EfiiEEv20rocsparse_direction_T4_S2_21rocsparse_index_base_PKT2_PKT3_PKS2_S2_S3_PS4_PS7_PS2_, .Lfunc_end116-_ZN9rocsparseL35bsr2csr_block_per_row_33_256_kernelILj1024ELj256ELj32EfiiEEv20rocsparse_direction_T4_S2_21rocsparse_index_base_PKT2_PKT3_PKS2_S2_S3_PS4_PS7_PS2_
                                        ; -- End function
	.set _ZN9rocsparseL35bsr2csr_block_per_row_33_256_kernelILj1024ELj256ELj32EfiiEEv20rocsparse_direction_T4_S2_21rocsparse_index_base_PKT2_PKT3_PKS2_S2_S3_PS4_PS7_PS2_.num_vgpr, 44
	.set _ZN9rocsparseL35bsr2csr_block_per_row_33_256_kernelILj1024ELj256ELj32EfiiEEv20rocsparse_direction_T4_S2_21rocsparse_index_base_PKT2_PKT3_PKS2_S2_S3_PS4_PS7_PS2_.num_agpr, 0
	.set _ZN9rocsparseL35bsr2csr_block_per_row_33_256_kernelILj1024ELj256ELj32EfiiEEv20rocsparse_direction_T4_S2_21rocsparse_index_base_PKT2_PKT3_PKS2_S2_S3_PS4_PS7_PS2_.numbered_sgpr, 87
	.set _ZN9rocsparseL35bsr2csr_block_per_row_33_256_kernelILj1024ELj256ELj32EfiiEEv20rocsparse_direction_T4_S2_21rocsparse_index_base_PKT2_PKT3_PKS2_S2_S3_PS4_PS7_PS2_.num_named_barrier, 0
	.set _ZN9rocsparseL35bsr2csr_block_per_row_33_256_kernelILj1024ELj256ELj32EfiiEEv20rocsparse_direction_T4_S2_21rocsparse_index_base_PKT2_PKT3_PKS2_S2_S3_PS4_PS7_PS2_.private_seg_size, 0
	.set _ZN9rocsparseL35bsr2csr_block_per_row_33_256_kernelILj1024ELj256ELj32EfiiEEv20rocsparse_direction_T4_S2_21rocsparse_index_base_PKT2_PKT3_PKS2_S2_S3_PS4_PS7_PS2_.uses_vcc, 1
	.set _ZN9rocsparseL35bsr2csr_block_per_row_33_256_kernelILj1024ELj256ELj32EfiiEEv20rocsparse_direction_T4_S2_21rocsparse_index_base_PKT2_PKT3_PKS2_S2_S3_PS4_PS7_PS2_.uses_flat_scratch, 0
	.set _ZN9rocsparseL35bsr2csr_block_per_row_33_256_kernelILj1024ELj256ELj32EfiiEEv20rocsparse_direction_T4_S2_21rocsparse_index_base_PKT2_PKT3_PKS2_S2_S3_PS4_PS7_PS2_.has_dyn_sized_stack, 0
	.set _ZN9rocsparseL35bsr2csr_block_per_row_33_256_kernelILj1024ELj256ELj32EfiiEEv20rocsparse_direction_T4_S2_21rocsparse_index_base_PKT2_PKT3_PKS2_S2_S3_PS4_PS7_PS2_.has_recursion, 0
	.set _ZN9rocsparseL35bsr2csr_block_per_row_33_256_kernelILj1024ELj256ELj32EfiiEEv20rocsparse_direction_T4_S2_21rocsparse_index_base_PKT2_PKT3_PKS2_S2_S3_PS4_PS7_PS2_.has_indirect_call, 0
	.section	.AMDGPU.csdata,"",@progbits
; Kernel info:
; codeLenInByte = 8584
; TotalNumSgprs: 89
; NumVgprs: 44
; ScratchSize: 0
; MemoryBound: 0
; FloatMode: 240
; IeeeMode: 1
; LDSByteSize: 0 bytes/workgroup (compile time only)
; SGPRBlocks: 0
; VGPRBlocks: 2
; NumSGPRsForWavesPerEU: 89
; NumVGPRsForWavesPerEU: 44
; NamedBarCnt: 0
; Occupancy: 16
; WaveLimiterHint : 1
; COMPUTE_PGM_RSRC2:SCRATCH_EN: 0
; COMPUTE_PGM_RSRC2:USER_SGPR: 2
; COMPUTE_PGM_RSRC2:TRAP_HANDLER: 0
; COMPUTE_PGM_RSRC2:TGID_X_EN: 1
; COMPUTE_PGM_RSRC2:TGID_Y_EN: 0
; COMPUTE_PGM_RSRC2:TGID_Z_EN: 0
; COMPUTE_PGM_RSRC2:TIDIG_COMP_CNT: 0
	.section	.text._ZN9rocsparseL35bsr2csr_block_dim_equals_one_kernelILj1024EfliEEvT2_S1_21rocsparse_index_base_PKT0_PKT1_PKS1_S2_PS3_PS6_PS1_,"axG",@progbits,_ZN9rocsparseL35bsr2csr_block_dim_equals_one_kernelILj1024EfliEEvT2_S1_21rocsparse_index_base_PKT0_PKT1_PKS1_S2_PS3_PS6_PS1_,comdat
	.globl	_ZN9rocsparseL35bsr2csr_block_dim_equals_one_kernelILj1024EfliEEvT2_S1_21rocsparse_index_base_PKT0_PKT1_PKS1_S2_PS3_PS6_PS1_ ; -- Begin function _ZN9rocsparseL35bsr2csr_block_dim_equals_one_kernelILj1024EfliEEvT2_S1_21rocsparse_index_base_PKT0_PKT1_PKS1_S2_PS3_PS6_PS1_
	.p2align	8
	.type	_ZN9rocsparseL35bsr2csr_block_dim_equals_one_kernelILj1024EfliEEvT2_S1_21rocsparse_index_base_PKT0_PKT1_PKS1_S2_PS3_PS6_PS1_,@function
_ZN9rocsparseL35bsr2csr_block_dim_equals_one_kernelILj1024EfliEEvT2_S1_21rocsparse_index_base_PKT0_PKT1_PKS1_S2_PS3_PS6_PS1_: ; @_ZN9rocsparseL35bsr2csr_block_dim_equals_one_kernelILj1024EfliEEvT2_S1_21rocsparse_index_base_PKT0_PKT1_PKS1_S2_PS3_PS6_PS1_
; %bb.0:
	s_bfe_u32 s3, ttmp6, 0x4000c
	s_clause 0x1
	s_load_b32 s2, s[0:1], 0x0
	s_load_b64 s[4:5], s[0:1], 0x18
	s_add_co_i32 s3, s3, 1
	s_and_b32 s6, ttmp6, 15
	s_mul_i32 s3, ttmp9, s3
	s_getreg_b32 s7, hwreg(HW_REG_IB_STS2, 6, 4)
	s_add_co_i32 s6, s6, s3
	s_cmp_eq_u32 s7, 0
	s_cselect_b32 s3, ttmp9, s6
	s_delay_alu instid0(SALU_CYCLE_1) | instskip(SKIP_2) | instid1(VALU_DEP_1)
	s_lshl_b32 s18, s3, 10
	s_mov_b32 s3, exec_lo
	v_or_b32_e32 v2, s18, v0
	v_ashrrev_i32_e32 v3, 31, v2
	s_wait_kmcnt 0x0
	v_cmpx_le_i32_e64 s2, v2
	s_xor_b32 s3, exec_lo, s3
	s_delay_alu instid0(SALU_CYCLE_1)
	s_or_saveexec_b32 s3, s3
	s_clause 0x1
	s_load_b32 s6, s[0:1], 0x8
	s_load_b32 s8, s[0:1], 0x28
	s_xor_b32 exec_lo, exec_lo, s3
	s_cbranch_execz .LBB117_6
; %bb.1:
	s_load_b64 s[10:11], s[0:1], 0x38
	s_mov_b32 s7, 0
                                        ; implicit-def: $sgpr12_sgpr13
	s_mov_b32 s9, exec_lo
	v_cmpx_ne_u32_e32 0, v2
	s_xor_b32 s14, exec_lo, s9
	s_cbranch_execz .LBB117_3
; %bb.2:
	s_mov_b32 s9, s7
	s_wait_kmcnt 0x0
	s_sub_nc_u64 s[12:13], s[8:9], s[6:7]
.LBB117_3:
	s_or_saveexec_b32 s14, s14
	v_mov_b64_e32 v[4:5], s[12:13]
	s_xor_b32 exec_lo, exec_lo, s14
	s_cbranch_execz .LBB117_5
; %bb.4:
	s_load_b64 s[12:13], s[4:5], 0x0
	s_mov_b32 s9, 0
	v_mov_b32_e32 v1, 0
	s_mov_b32 s7, s9
	s_wait_kmcnt 0x0
	s_sub_nc_u64 s[16:17], s[8:9], s[6:7]
	s_delay_alu instid0(SALU_CYCLE_1) | instskip(SKIP_1) | instid1(SALU_CYCLE_1)
	v_mov_b64_e32 v[4:5], s[16:17]
	s_add_nc_u64 s[12:13], s[16:17], s[12:13]
	v_mov_b64_e32 v[6:7], s[12:13]
	global_store_b64 v1, v[6:7], s[10:11]
.LBB117_5:
	s_wait_xcnt 0x0
	s_or_b32 exec_lo, exec_lo, s14
	global_load_b64 v[6:7], v2, s[4:5] offset:8 scale_offset
	s_wait_loadcnt 0x0
	v_add_nc_u64_e32 v[4:5], v[4:5], v[6:7]
	s_wait_kmcnt 0x0
	global_store_b64 v2, v[4:5], s[10:11] offset:8 scale_offset
.LBB117_6:
	s_wait_xcnt 0x0
	s_or_b32 exec_lo, exec_lo, s3
	s_ashr_i32 s3, s2, 31
	s_clause 0x3
	s_load_b64 s[10:11], s[0:1], 0x40
	s_load_b64 s[12:13], s[0:1], 0x10
	;; [unrolled: 1-line block ×4, first 2 shown]
	s_lshl_b64 s[2:3], s[2:3], 3
	s_delay_alu instid0(SALU_CYCLE_1)
	s_add_nc_u64 s[2:3], s[4:5], s[2:3]
	s_clause 0x1
	s_load_b64 s[20:21], s[2:3], 0x0
	s_load_b64 s[22:23], s[4:5], 0x0
	s_wait_xcnt 0x0
	s_mov_b32 s4, exec_lo
	s_wait_kmcnt 0x0
	s_sub_nc_u64 s[2:3], s[20:21], s[22:23]
	s_delay_alu instid0(SALU_CYCLE_1)
	v_cmpx_gt_i64_e64 s[2:3], v[2:3]
	s_cbranch_execz .LBB117_9
; %bb.7:
	s_load_b32 s0, s[0:1], 0x48
	s_wait_xcnt 0x0
	s_sub_co_i32 s1, s8, s6
	s_mov_b32 s4, 0
	s_wait_kmcnt 0x0
	s_lshl_b32 s0, s0, 10
	s_delay_alu instid0(SALU_CYCLE_1)
	v_add3_u32 v0, s0, s18, v0
.LBB117_8:                              ; =>This Inner Loop Header: Depth=1
	v_lshlrev_b64_e32 v[2:3], 2, v[2:3]
	s_delay_alu instid0(VALU_DEP_2) | instskip(NEXT) | instid1(VALU_DEP_1)
	v_ashrrev_i32_e32 v1, 31, v0
	v_cmp_le_i64_e32 vcc_lo, s[2:3], v[0:1]
	s_delay_alu instid0(VALU_DEP_3)
	v_add_nc_u64_e32 v[4:5], s[14:15], v[2:3]
	v_add_nc_u64_e32 v[6:7], s[12:13], v[2:3]
	global_load_b32 v8, v[4:5], off
	global_load_b32 v9, v[6:7], off
	s_wait_xcnt 0x1
	v_add_nc_u64_e32 v[4:5], s[16:17], v[2:3]
	s_wait_xcnt 0x0
	v_add_nc_u64_e32 v[6:7], s[10:11], v[2:3]
	v_mov_b64_e32 v[2:3], v[0:1]
	v_add_nc_u32_e32 v0, s0, v0
	s_or_b32 s4, vcc_lo, s4
	s_wait_loadcnt 0x1
	v_add_nc_u32_e32 v1, s1, v8
	s_wait_loadcnt 0x0
	global_store_b32 v[4:5], v9, off
	global_store_b32 v[6:7], v1, off
	s_wait_xcnt 0x0
	s_and_not1_b32 exec_lo, exec_lo, s4
	s_cbranch_execnz .LBB117_8
.LBB117_9:
	s_endpgm
	.section	.rodata,"a",@progbits
	.p2align	6, 0x0
	.amdhsa_kernel _ZN9rocsparseL35bsr2csr_block_dim_equals_one_kernelILj1024EfliEEvT2_S1_21rocsparse_index_base_PKT0_PKT1_PKS1_S2_PS3_PS6_PS1_
		.amdhsa_group_segment_fixed_size 0
		.amdhsa_private_segment_fixed_size 0
		.amdhsa_kernarg_size 328
		.amdhsa_user_sgpr_count 2
		.amdhsa_user_sgpr_dispatch_ptr 0
		.amdhsa_user_sgpr_queue_ptr 0
		.amdhsa_user_sgpr_kernarg_segment_ptr 1
		.amdhsa_user_sgpr_dispatch_id 0
		.amdhsa_user_sgpr_kernarg_preload_length 0
		.amdhsa_user_sgpr_kernarg_preload_offset 0
		.amdhsa_user_sgpr_private_segment_size 0
		.amdhsa_wavefront_size32 1
		.amdhsa_uses_dynamic_stack 0
		.amdhsa_enable_private_segment 0
		.amdhsa_system_sgpr_workgroup_id_x 1
		.amdhsa_system_sgpr_workgroup_id_y 0
		.amdhsa_system_sgpr_workgroup_id_z 0
		.amdhsa_system_sgpr_workgroup_info 0
		.amdhsa_system_vgpr_workitem_id 0
		.amdhsa_next_free_vgpr 10
		.amdhsa_next_free_sgpr 24
		.amdhsa_named_barrier_count 0
		.amdhsa_reserve_vcc 1
		.amdhsa_float_round_mode_32 0
		.amdhsa_float_round_mode_16_64 0
		.amdhsa_float_denorm_mode_32 3
		.amdhsa_float_denorm_mode_16_64 3
		.amdhsa_fp16_overflow 0
		.amdhsa_memory_ordered 1
		.amdhsa_forward_progress 1
		.amdhsa_inst_pref_size 5
		.amdhsa_round_robin_scheduling 0
		.amdhsa_exception_fp_ieee_invalid_op 0
		.amdhsa_exception_fp_denorm_src 0
		.amdhsa_exception_fp_ieee_div_zero 0
		.amdhsa_exception_fp_ieee_overflow 0
		.amdhsa_exception_fp_ieee_underflow 0
		.amdhsa_exception_fp_ieee_inexact 0
		.amdhsa_exception_int_div_zero 0
	.end_amdhsa_kernel
	.section	.text._ZN9rocsparseL35bsr2csr_block_dim_equals_one_kernelILj1024EfliEEvT2_S1_21rocsparse_index_base_PKT0_PKT1_PKS1_S2_PS3_PS6_PS1_,"axG",@progbits,_ZN9rocsparseL35bsr2csr_block_dim_equals_one_kernelILj1024EfliEEvT2_S1_21rocsparse_index_base_PKT0_PKT1_PKS1_S2_PS3_PS6_PS1_,comdat
.Lfunc_end117:
	.size	_ZN9rocsparseL35bsr2csr_block_dim_equals_one_kernelILj1024EfliEEvT2_S1_21rocsparse_index_base_PKT0_PKT1_PKS1_S2_PS3_PS6_PS1_, .Lfunc_end117-_ZN9rocsparseL35bsr2csr_block_dim_equals_one_kernelILj1024EfliEEvT2_S1_21rocsparse_index_base_PKT0_PKT1_PKS1_S2_PS3_PS6_PS1_
                                        ; -- End function
	.set _ZN9rocsparseL35bsr2csr_block_dim_equals_one_kernelILj1024EfliEEvT2_S1_21rocsparse_index_base_PKT0_PKT1_PKS1_S2_PS3_PS6_PS1_.num_vgpr, 10
	.set _ZN9rocsparseL35bsr2csr_block_dim_equals_one_kernelILj1024EfliEEvT2_S1_21rocsparse_index_base_PKT0_PKT1_PKS1_S2_PS3_PS6_PS1_.num_agpr, 0
	.set _ZN9rocsparseL35bsr2csr_block_dim_equals_one_kernelILj1024EfliEEvT2_S1_21rocsparse_index_base_PKT0_PKT1_PKS1_S2_PS3_PS6_PS1_.numbered_sgpr, 24
	.set _ZN9rocsparseL35bsr2csr_block_dim_equals_one_kernelILj1024EfliEEvT2_S1_21rocsparse_index_base_PKT0_PKT1_PKS1_S2_PS3_PS6_PS1_.num_named_barrier, 0
	.set _ZN9rocsparseL35bsr2csr_block_dim_equals_one_kernelILj1024EfliEEvT2_S1_21rocsparse_index_base_PKT0_PKT1_PKS1_S2_PS3_PS6_PS1_.private_seg_size, 0
	.set _ZN9rocsparseL35bsr2csr_block_dim_equals_one_kernelILj1024EfliEEvT2_S1_21rocsparse_index_base_PKT0_PKT1_PKS1_S2_PS3_PS6_PS1_.uses_vcc, 1
	.set _ZN9rocsparseL35bsr2csr_block_dim_equals_one_kernelILj1024EfliEEvT2_S1_21rocsparse_index_base_PKT0_PKT1_PKS1_S2_PS3_PS6_PS1_.uses_flat_scratch, 0
	.set _ZN9rocsparseL35bsr2csr_block_dim_equals_one_kernelILj1024EfliEEvT2_S1_21rocsparse_index_base_PKT0_PKT1_PKS1_S2_PS3_PS6_PS1_.has_dyn_sized_stack, 0
	.set _ZN9rocsparseL35bsr2csr_block_dim_equals_one_kernelILj1024EfliEEvT2_S1_21rocsparse_index_base_PKT0_PKT1_PKS1_S2_PS3_PS6_PS1_.has_recursion, 0
	.set _ZN9rocsparseL35bsr2csr_block_dim_equals_one_kernelILj1024EfliEEvT2_S1_21rocsparse_index_base_PKT0_PKT1_PKS1_S2_PS3_PS6_PS1_.has_indirect_call, 0
	.section	.AMDGPU.csdata,"",@progbits
; Kernel info:
; codeLenInByte = 568
; TotalNumSgprs: 26
; NumVgprs: 10
; ScratchSize: 0
; MemoryBound: 0
; FloatMode: 240
; IeeeMode: 1
; LDSByteSize: 0 bytes/workgroup (compile time only)
; SGPRBlocks: 0
; VGPRBlocks: 0
; NumSGPRsForWavesPerEU: 26
; NumVGPRsForWavesPerEU: 10
; NamedBarCnt: 0
; Occupancy: 16
; WaveLimiterHint : 0
; COMPUTE_PGM_RSRC2:SCRATCH_EN: 0
; COMPUTE_PGM_RSRC2:USER_SGPR: 2
; COMPUTE_PGM_RSRC2:TRAP_HANDLER: 0
; COMPUTE_PGM_RSRC2:TGID_X_EN: 1
; COMPUTE_PGM_RSRC2:TGID_Y_EN: 0
; COMPUTE_PGM_RSRC2:TGID_Z_EN: 0
; COMPUTE_PGM_RSRC2:TIDIG_COMP_CNT: 0
	.section	.text._ZN9rocsparseL32bsr2csr_block_per_row_2_7_kernelILj256ELj2EfliEEv20rocsparse_direction_T3_S2_21rocsparse_index_base_PKT1_PKT2_PKS2_S2_S3_PS4_PS7_PS2_,"axG",@progbits,_ZN9rocsparseL32bsr2csr_block_per_row_2_7_kernelILj256ELj2EfliEEv20rocsparse_direction_T3_S2_21rocsparse_index_base_PKT1_PKT2_PKS2_S2_S3_PS4_PS7_PS2_,comdat
	.globl	_ZN9rocsparseL32bsr2csr_block_per_row_2_7_kernelILj256ELj2EfliEEv20rocsparse_direction_T3_S2_21rocsparse_index_base_PKT1_PKT2_PKS2_S2_S3_PS4_PS7_PS2_ ; -- Begin function _ZN9rocsparseL32bsr2csr_block_per_row_2_7_kernelILj256ELj2EfliEEv20rocsparse_direction_T3_S2_21rocsparse_index_base_PKT1_PKT2_PKS2_S2_S3_PS4_PS7_PS2_
	.p2align	8
	.type	_ZN9rocsparseL32bsr2csr_block_per_row_2_7_kernelILj256ELj2EfliEEv20rocsparse_direction_T3_S2_21rocsparse_index_base_PKT1_PKT2_PKS2_S2_S3_PS4_PS7_PS2_,@function
_ZN9rocsparseL32bsr2csr_block_per_row_2_7_kernelILj256ELj2EfliEEv20rocsparse_direction_T3_S2_21rocsparse_index_base_PKT1_PKT2_PKS2_S2_S3_PS4_PS7_PS2_: ; @_ZN9rocsparseL32bsr2csr_block_per_row_2_7_kernelILj256ELj2EfliEEv20rocsparse_direction_T3_S2_21rocsparse_index_base_PKT1_PKT2_PKS2_S2_S3_PS4_PS7_PS2_
; %bb.0:
	s_load_b64 s[4:5], s[0:1], 0x18
	s_bfe_u32 s2, ttmp6, 0x4000c
	s_and_b32 s3, ttmp6, 15
	s_add_co_i32 s2, s2, 1
	s_getreg_b32 s6, hwreg(HW_REG_IB_STS2, 6, 4)
	s_mul_i32 s2, ttmp9, s2
	s_delay_alu instid0(SALU_CYCLE_1)
	s_add_co_i32 s3, s3, s2
	s_cmp_eq_u32 s6, 0
	s_clause 0x1
	s_load_b32 s2, s[0:1], 0x2c
	s_load_b64 s[14:15], s[0:1], 0x38
	s_cselect_b32 s12, ttmp9, s3
	s_delay_alu instid0(SALU_CYCLE_1)
	s_ashr_i32 s13, s12, 31
	v_or_b32_e32 v1, s12, v0
	s_lshl_b64 s[6:7], s[12:13], 3
	s_wait_kmcnt 0x0
	s_add_nc_u64 s[8:9], s[4:5], s[6:7]
	s_load_b128 s[4:7], s[8:9], 0x0
	s_wait_xcnt 0x0
	s_mov_b32 s9, 0
	s_mov_b32 s8, exec_lo
	s_mov_b32 s3, s9
	v_cmpx_eq_u32_e32 0, v1
	s_cbranch_execz .LBB118_2
; %bb.1:
	v_mov_b64_e32 v[2:3], s[2:3]
	v_mov_b32_e32 v1, 0
	global_store_b64 v1, v[2:3], s[14:15]
.LBB118_2:
	s_wait_xcnt 0x0
	s_or_b32 exec_lo, exec_lo, s8
	s_load_b32 s8, s[0:1], 0xc
	v_dual_mov_b32 v3, 0 :: v_dual_bitop2_b32 v2, 1, v0 bitop3:0x40
	s_delay_alu instid0(VALU_DEP_1) | instskip(SKIP_3) | instid1(VALU_DEP_1)
	v_dual_mov_b32 v5, v3 :: v_dual_lshrrev_b32 v4, 1, v0
	s_wait_kmcnt 0x0
	s_sub_nc_u64 s[10:11], s[4:5], s[8:9]
	s_sub_nc_u64 s[6:7], s[6:7], s[8:9]
	v_add_nc_u64_e32 v[0:1], s[10:11], v[4:5]
	s_sub_nc_u64 s[16:17], s[6:7], s[10:11]
	s_delay_alu instid0(SALU_CYCLE_1) | instskip(NEXT) | instid1(SALU_CYCLE_1)
	s_lshl_b64 s[16:17], s[16:17], 1
	v_mul_u64_e32 v[10:11], s[16:17], v[2:3]
	v_lshl_or_b32 v3, s12, 1, v2
	s_add_nc_u64 s[12:13], s[16:17], s[2:3]
	s_mov_b32 s3, exec_lo
	s_delay_alu instid0(VALU_DEP_1) | instskip(NEXT) | instid1(VALU_DEP_3)
	v_add_nc_u32_e32 v3, 1, v3
	v_lshl_add_u64 v[12:13], s[10:11], 2, v[10:11]
	s_delay_alu instid0(VALU_DEP_1)
	v_add_nc_u64_e32 v[6:7], s[12:13], v[12:13]
	global_store_b64 v3, v[6:7], s[14:15] scale_offset
	s_wait_xcnt 0x0
	v_cmpx_gt_i64_e64 s[6:7], v[0:1]
	s_cbranch_execz .LBB118_10
; %bb.3:
	v_add_nc_u64_e32 v[6:7], s[4:5], v[4:5]
	s_clause 0x2
	s_load_b64 s[12:13], s[0:1], 0x20
	s_load_b64 s[14:15], s[0:1], 0x30
	s_load_b32 s3, s[0:1], 0x0
	s_mov_b32 s20, -1
	v_lshlrev_b32_e32 v8, 2, v2
	v_sub_nc_u64_e64 v[6:7], v[6:7], s[8:9]
	s_delay_alu instid0(VALU_DEP_1) | instskip(NEXT) | instid1(VALU_DEP_1)
	v_add_nc_u64_e32 v[6:7], 0x80, v[6:7]
	v_max_i64 v[6:7], v[6:7], s[6:7]
	s_wait_kmcnt 0x0
	s_cmp_eq_u32 s3, 0
	s_mov_b32 s3, 0
	s_cselect_b32 vcc_lo, -1, 0
	s_not_b64 s[16:17], s[4:5]
	s_delay_alu instid0(SALU_CYCLE_1) | instskip(SKIP_1) | instid1(VALU_DEP_1)
	s_add_nc_u64 s[18:19], s[16:17], s[8:9]
	s_load_b64 s[16:17], s[0:1], 0x10
	v_add_nc_u64_e32 v[6:7], s[18:19], v[6:7]
	s_load_b64 s[18:19], s[0:1], 0x40
	s_wait_xcnt 0x0
	s_mov_b32 s1, exec_lo
	s_delay_alu instid0(VALU_DEP_1) | instskip(SKIP_1) | instid1(VALU_DEP_2)
	v_sub_nc_u64_e32 v[4:5], v[6:7], v[4:5]
	v_lshlrev_b32_e32 v6, 3, v2
	v_cmpx_lt_u64_e32 0x7f, v[4:5]
	s_cbranch_execz .LBB118_7
; %bb.4:
	v_lshrrev_b64 v[2:3], 7, v[4:5]
	v_dual_mov_b32 v7, 0 :: v_dual_mov_b32 v16, v12
	v_lshl_add_u64 v[4:5], v[0:1], 2, s[12:13]
	s_mov_b32 s22, s8
	s_mov_b32 s23, s8
	s_wait_kmcnt 0x0
	v_add_nc_u64_e32 v[20:21], s[16:17], v[6:7]
	v_add_nc_u64_e32 v[14:15], 1, v[2:3]
	;; [unrolled: 1-line block ×3, first 2 shown]
	v_mov_b32_e32 v9, v7
	v_add_nc_u64_e32 v[22:23], 0x200, v[4:5]
	s_mov_b32 s20, s10
	s_mov_b32 s21, s11
	;; [unrolled: 1-line block ×3, first 2 shown]
	v_dual_mov_b32 v19, v15 :: v_dual_bitop2_b32 v18, -2, v14 bitop3:0x40
	v_mov_b32_e32 v17, v13
	v_mov_b64_e32 v[4:5], v[2:3]
	v_add_nc_u64_e32 v[24:25], s[16:17], v[8:9]
	v_mov_b64_e32 v[2:3], v[0:1]
	v_mov_b64_e32 v[26:27], v[18:19]
.LBB118_5:                              ; =>This Inner Loop Header: Depth=1
	s_delay_alu instid0(VALU_DEP_2)
	v_lshlrev_b64_e32 v[28:29], 4, v[2:3]
	v_lshlrev_b64_e32 v[30:31], 4, v[4:5]
	s_clause 0x1
	global_load_b32 v7, v[22:23], off offset:-512
	global_load_b32 v9, v[22:23], off
	v_add_nc_u64_e32 v[26:27], -2, v[26:27]
	s_wait_xcnt 0x0
	v_add_nc_u64_e32 v[22:23], 0x400, v[22:23]
	v_add_nc_u64_e32 v[32:33], v[20:21], v[28:29]
	;; [unrolled: 1-line block ×5, first 2 shown]
	v_cmp_eq_u64_e64 s0, 0, v[26:27]
	v_add_nc_u64_e32 v[36:37], 4, v[32:33]
	v_add_nc_u64_e32 v[38:39], 4, v[34:35]
	;; [unrolled: 1-line block ×4, first 2 shown]
	v_dual_cndmask_b32 v29, v29, v33 :: v_dual_cndmask_b32 v28, v28, v32
	v_dual_cndmask_b32 v31, v31, v35 :: v_dual_cndmask_b32 v30, v30, v34
	s_or_b32 s3, s0, s3
	s_delay_alu instid0(VALU_DEP_3) | instskip(NEXT) | instid1(VALU_DEP_4)
	v_dual_cndmask_b32 v33, v41, v39, vcc_lo :: v_dual_cndmask_b32 v35, v43, v37, vcc_lo
	v_dual_cndmask_b32 v34, v42, v36, vcc_lo :: v_dual_cndmask_b32 v32, v40, v38, vcc_lo
	global_load_b32 v44, v[28:29], off
	global_load_b32 v45, v[30:31], off
	;; [unrolled: 1-line block ×4, first 2 shown]
	s_wait_xcnt 0x3
	v_sub_nc_u64_e64 v[28:29], v[2:3], s[10:11]
	s_wait_xcnt 0x2
	v_sub_nc_u64_e64 v[30:31], v[4:5], s[20:21]
	v_add_nc_u64_e32 v[4:5], 0x100, v[4:5]
	v_add_nc_u64_e32 v[2:3], 0x100, v[2:3]
	s_delay_alu instid0(VALU_DEP_4) | instskip(NEXT) | instid1(VALU_DEP_4)
	v_lshl_add_u64 v[28:29], v[28:29], 1, v[12:13]
	v_lshl_add_u64 v[30:31], v[30:31], 1, v[16:17]
	s_wait_xcnt 0x0
	s_delay_alu instid0(VALU_DEP_2) | instskip(NEXT) | instid1(VALU_DEP_2)
	v_lshlrev_b64_e32 v[32:33], 2, v[28:29]
	v_lshlrev_b64_e32 v[34:35], 2, v[30:31]
	s_delay_alu instid0(VALU_DEP_2) | instskip(NEXT) | instid1(VALU_DEP_2)
	v_add_nc_u64_e32 v[36:37], s[18:19], v[32:33]
	v_add_nc_u64_e32 v[38:39], s[18:19], v[34:35]
	;; [unrolled: 1-line block ×4, first 2 shown]
	s_wait_loadcnt 0x5
	v_subrev_nc_u32_e32 v7, s22, v7
	s_wait_loadcnt 0x4
	v_subrev_nc_u32_e32 v9, s23, v9
	s_delay_alu instid0(VALU_DEP_2) | instskip(SKIP_1) | instid1(VALU_DEP_3)
	v_lshl_add_u32 v7, v7, 1, s2
	v_or_b32_e32 v28, 1, v28
	v_lshl_add_u32 v9, v9, 1, s24
	s_delay_alu instid0(VALU_DEP_3) | instskip(NEXT) | instid1(VALU_DEP_3)
	v_dual_add_nc_u32 v48, 1, v7 :: v_dual_bitop2_b32 v30, 1, v30 bitop3:0x54
	v_lshlrev_b64_e32 v[28:29], 2, v[28:29]
	s_delay_alu instid0(VALU_DEP_3) | instskip(NEXT) | instid1(VALU_DEP_3)
	v_add_nc_u32_e32 v49, 1, v9
	v_lshlrev_b64_e32 v[30:31], 2, v[30:31]
	s_delay_alu instid0(VALU_DEP_3) | instskip(SKIP_1) | instid1(VALU_DEP_3)
	v_add_nc_u64_e32 v[40:41], s[18:19], v[28:29]
	v_add_nc_u64_e32 v[28:29], s[14:15], v[28:29]
	;; [unrolled: 1-line block ×4, first 2 shown]
	s_clause 0x3
	global_store_b32 v[36:37], v7, off
	global_store_b32 v[38:39], v9, off
	;; [unrolled: 1-line block ×4, first 2 shown]
	s_wait_loadcnt 0x3
	global_store_b32 v[32:33], v44, off
	s_wait_loadcnt 0x2
	global_store_b32 v[34:35], v45, off
	;; [unrolled: 2-line block ×4, first 2 shown]
	s_wait_xcnt 0x0
	s_and_not1_b32 exec_lo, exec_lo, s3
	s_cbranch_execnz .LBB118_5
; %bb.6:
	s_or_b32 exec_lo, exec_lo, s3
	v_lshlrev_b64_e32 v[2:3], 7, v[18:19]
	v_cmp_ne_u64_e64 s0, v[14:15], v[18:19]
	s_delay_alu instid0(VALU_DEP_2)
	v_add_nc_u64_e32 v[0:1], v[0:1], v[2:3]
	s_or_not1_b32 s20, s0, exec_lo
.LBB118_7:
	s_or_b32 exec_lo, exec_lo, s1
	s_delay_alu instid0(SALU_CYCLE_1)
	s_and_b32 exec_lo, exec_lo, s20
	s_cbranch_execz .LBB118_10
; %bb.8:
	s_delay_alu instid0(VALU_DEP_1) | instskip(SKIP_4) | instid1(VALU_DEP_2)
	v_add_nc_u64_e32 v[2:3], s[4:5], v[0:1]
	s_lshl_b64 s[0:1], s[8:9], 1
	v_mov_b32_e32 v9, 0
	s_wait_kmcnt 0x0
	v_lshl_add_u64 v[12:13], v[0:1], 4, s[16:17]
	v_mov_b32_e32 v7, v9
	s_delay_alu instid0(VALU_DEP_4) | instskip(NEXT) | instid1(VALU_DEP_1)
	v_lshl_add_u64 v[2:3], v[2:3], 1, v[10:11]
	v_sub_nc_u64_e64 v[2:3], v[2:3], s[0:1]
	s_mov_b32 s1, 0
	s_delay_alu instid0(VALU_DEP_1) | instskip(SKIP_1) | instid1(VALU_DEP_2)
	v_lshl_add_u64 v[10:11], v[2:3], 2, 4
	v_lshl_add_u64 v[2:3], v[0:1], 2, s[12:13]
	v_add_nc_u64_e32 v[4:5], s[14:15], v[10:11]
	v_add_nc_u64_e32 v[10:11], s[18:19], v[10:11]
.LBB118_9:                              ; =>This Inner Loop Header: Depth=1
	v_add_nc_u64_e32 v[14:15], v[12:13], v[6:7]
	v_add_nc_u64_e32 v[16:17], v[12:13], v[8:9]
	global_load_b32 v22, v[2:3], off
	v_add_nc_u64_e32 v[0:1], 0x80, v[0:1]
	s_wait_xcnt 0x0
	v_add_nc_u64_e32 v[2:3], 0x200, v[2:3]
	v_add_nc_u64_e32 v[12:13], 0x800, v[12:13]
	;; [unrolled: 1-line block ×4, first 2 shown]
	v_dual_cndmask_b32 v15, v17, v15 :: v_dual_cndmask_b32 v14, v16, v14
	v_cmp_le_i64_e64 s0, s[6:7], v[0:1]
	s_delay_alu instid0(VALU_DEP_3)
	v_dual_cndmask_b32 v17, v21, v19 :: v_dual_cndmask_b32 v16, v20, v18
	global_load_b32 v18, v[14:15], off
	global_load_b32 v19, v[16:17], off
	s_or_b32 s1, s0, s1
	s_wait_loadcnt 0x2
	s_wait_xcnt 0x1
	v_subrev_nc_u32_e32 v14, s8, v22
	s_delay_alu instid0(VALU_DEP_1) | instskip(NEXT) | instid1(VALU_DEP_1)
	v_lshl_add_u32 v14, v14, 1, s2
	v_add_nc_u32_e32 v15, 1, v14
	global_store_b64 v[10:11], v[14:15], off offset:-4
	s_wait_xcnt 0x0
	v_add_nc_u64_e32 v[10:11], 0x400, v[10:11]
	s_wait_loadcnt 0x0
	global_store_b64 v[4:5], v[18:19], off offset:-4
	s_wait_xcnt 0x0
	v_add_nc_u64_e32 v[4:5], 0x400, v[4:5]
	s_and_not1_b32 exec_lo, exec_lo, s1
	s_cbranch_execnz .LBB118_9
.LBB118_10:
	s_endpgm
	.section	.rodata,"a",@progbits
	.p2align	6, 0x0
	.amdhsa_kernel _ZN9rocsparseL32bsr2csr_block_per_row_2_7_kernelILj256ELj2EfliEEv20rocsparse_direction_T3_S2_21rocsparse_index_base_PKT1_PKT2_PKS2_S2_S3_PS4_PS7_PS2_
		.amdhsa_group_segment_fixed_size 0
		.amdhsa_private_segment_fixed_size 0
		.amdhsa_kernarg_size 72
		.amdhsa_user_sgpr_count 2
		.amdhsa_user_sgpr_dispatch_ptr 0
		.amdhsa_user_sgpr_queue_ptr 0
		.amdhsa_user_sgpr_kernarg_segment_ptr 1
		.amdhsa_user_sgpr_dispatch_id 0
		.amdhsa_user_sgpr_kernarg_preload_length 0
		.amdhsa_user_sgpr_kernarg_preload_offset 0
		.amdhsa_user_sgpr_private_segment_size 0
		.amdhsa_wavefront_size32 1
		.amdhsa_uses_dynamic_stack 0
		.amdhsa_enable_private_segment 0
		.amdhsa_system_sgpr_workgroup_id_x 1
		.amdhsa_system_sgpr_workgroup_id_y 0
		.amdhsa_system_sgpr_workgroup_id_z 0
		.amdhsa_system_sgpr_workgroup_info 0
		.amdhsa_system_vgpr_workitem_id 0
		.amdhsa_next_free_vgpr 50
		.amdhsa_next_free_sgpr 25
		.amdhsa_named_barrier_count 0
		.amdhsa_reserve_vcc 1
		.amdhsa_float_round_mode_32 0
		.amdhsa_float_round_mode_16_64 0
		.amdhsa_float_denorm_mode_32 3
		.amdhsa_float_denorm_mode_16_64 3
		.amdhsa_fp16_overflow 0
		.amdhsa_memory_ordered 1
		.amdhsa_forward_progress 1
		.amdhsa_inst_pref_size 11
		.amdhsa_round_robin_scheduling 0
		.amdhsa_exception_fp_ieee_invalid_op 0
		.amdhsa_exception_fp_denorm_src 0
		.amdhsa_exception_fp_ieee_div_zero 0
		.amdhsa_exception_fp_ieee_overflow 0
		.amdhsa_exception_fp_ieee_underflow 0
		.amdhsa_exception_fp_ieee_inexact 0
		.amdhsa_exception_int_div_zero 0
	.end_amdhsa_kernel
	.section	.text._ZN9rocsparseL32bsr2csr_block_per_row_2_7_kernelILj256ELj2EfliEEv20rocsparse_direction_T3_S2_21rocsparse_index_base_PKT1_PKT2_PKS2_S2_S3_PS4_PS7_PS2_,"axG",@progbits,_ZN9rocsparseL32bsr2csr_block_per_row_2_7_kernelILj256ELj2EfliEEv20rocsparse_direction_T3_S2_21rocsparse_index_base_PKT1_PKT2_PKS2_S2_S3_PS4_PS7_PS2_,comdat
.Lfunc_end118:
	.size	_ZN9rocsparseL32bsr2csr_block_per_row_2_7_kernelILj256ELj2EfliEEv20rocsparse_direction_T3_S2_21rocsparse_index_base_PKT1_PKT2_PKS2_S2_S3_PS4_PS7_PS2_, .Lfunc_end118-_ZN9rocsparseL32bsr2csr_block_per_row_2_7_kernelILj256ELj2EfliEEv20rocsparse_direction_T3_S2_21rocsparse_index_base_PKT1_PKT2_PKS2_S2_S3_PS4_PS7_PS2_
                                        ; -- End function
	.set _ZN9rocsparseL32bsr2csr_block_per_row_2_7_kernelILj256ELj2EfliEEv20rocsparse_direction_T3_S2_21rocsparse_index_base_PKT1_PKT2_PKS2_S2_S3_PS4_PS7_PS2_.num_vgpr, 50
	.set _ZN9rocsparseL32bsr2csr_block_per_row_2_7_kernelILj256ELj2EfliEEv20rocsparse_direction_T3_S2_21rocsparse_index_base_PKT1_PKT2_PKS2_S2_S3_PS4_PS7_PS2_.num_agpr, 0
	.set _ZN9rocsparseL32bsr2csr_block_per_row_2_7_kernelILj256ELj2EfliEEv20rocsparse_direction_T3_S2_21rocsparse_index_base_PKT1_PKT2_PKS2_S2_S3_PS4_PS7_PS2_.numbered_sgpr, 25
	.set _ZN9rocsparseL32bsr2csr_block_per_row_2_7_kernelILj256ELj2EfliEEv20rocsparse_direction_T3_S2_21rocsparse_index_base_PKT1_PKT2_PKS2_S2_S3_PS4_PS7_PS2_.num_named_barrier, 0
	.set _ZN9rocsparseL32bsr2csr_block_per_row_2_7_kernelILj256ELj2EfliEEv20rocsparse_direction_T3_S2_21rocsparse_index_base_PKT1_PKT2_PKS2_S2_S3_PS4_PS7_PS2_.private_seg_size, 0
	.set _ZN9rocsparseL32bsr2csr_block_per_row_2_7_kernelILj256ELj2EfliEEv20rocsparse_direction_T3_S2_21rocsparse_index_base_PKT1_PKT2_PKS2_S2_S3_PS4_PS7_PS2_.uses_vcc, 1
	.set _ZN9rocsparseL32bsr2csr_block_per_row_2_7_kernelILj256ELj2EfliEEv20rocsparse_direction_T3_S2_21rocsparse_index_base_PKT1_PKT2_PKS2_S2_S3_PS4_PS7_PS2_.uses_flat_scratch, 0
	.set _ZN9rocsparseL32bsr2csr_block_per_row_2_7_kernelILj256ELj2EfliEEv20rocsparse_direction_T3_S2_21rocsparse_index_base_PKT1_PKT2_PKS2_S2_S3_PS4_PS7_PS2_.has_dyn_sized_stack, 0
	.set _ZN9rocsparseL32bsr2csr_block_per_row_2_7_kernelILj256ELj2EfliEEv20rocsparse_direction_T3_S2_21rocsparse_index_base_PKT1_PKT2_PKS2_S2_S3_PS4_PS7_PS2_.has_recursion, 0
	.set _ZN9rocsparseL32bsr2csr_block_per_row_2_7_kernelILj256ELj2EfliEEv20rocsparse_direction_T3_S2_21rocsparse_index_base_PKT1_PKT2_PKS2_S2_S3_PS4_PS7_PS2_.has_indirect_call, 0
	.section	.AMDGPU.csdata,"",@progbits
; Kernel info:
; codeLenInByte = 1380
; TotalNumSgprs: 27
; NumVgprs: 50
; ScratchSize: 0
; MemoryBound: 0
; FloatMode: 240
; IeeeMode: 1
; LDSByteSize: 0 bytes/workgroup (compile time only)
; SGPRBlocks: 0
; VGPRBlocks: 3
; NumSGPRsForWavesPerEU: 27
; NumVGPRsForWavesPerEU: 50
; NamedBarCnt: 0
; Occupancy: 16
; WaveLimiterHint : 1
; COMPUTE_PGM_RSRC2:SCRATCH_EN: 0
; COMPUTE_PGM_RSRC2:USER_SGPR: 2
; COMPUTE_PGM_RSRC2:TRAP_HANDLER: 0
; COMPUTE_PGM_RSRC2:TGID_X_EN: 1
; COMPUTE_PGM_RSRC2:TGID_Y_EN: 0
; COMPUTE_PGM_RSRC2:TGID_Z_EN: 0
; COMPUTE_PGM_RSRC2:TIDIG_COMP_CNT: 0
	.section	.text._ZN9rocsparseL32bsr2csr_block_per_row_2_7_kernelILj256ELj3EfliEEv20rocsparse_direction_T3_S2_21rocsparse_index_base_PKT1_PKT2_PKS2_S2_S3_PS4_PS7_PS2_,"axG",@progbits,_ZN9rocsparseL32bsr2csr_block_per_row_2_7_kernelILj256ELj3EfliEEv20rocsparse_direction_T3_S2_21rocsparse_index_base_PKT1_PKT2_PKS2_S2_S3_PS4_PS7_PS2_,comdat
	.globl	_ZN9rocsparseL32bsr2csr_block_per_row_2_7_kernelILj256ELj3EfliEEv20rocsparse_direction_T3_S2_21rocsparse_index_base_PKT1_PKT2_PKS2_S2_S3_PS4_PS7_PS2_ ; -- Begin function _ZN9rocsparseL32bsr2csr_block_per_row_2_7_kernelILj256ELj3EfliEEv20rocsparse_direction_T3_S2_21rocsparse_index_base_PKT1_PKT2_PKS2_S2_S3_PS4_PS7_PS2_
	.p2align	8
	.type	_ZN9rocsparseL32bsr2csr_block_per_row_2_7_kernelILj256ELj3EfliEEv20rocsparse_direction_T3_S2_21rocsparse_index_base_PKT1_PKT2_PKS2_S2_S3_PS4_PS7_PS2_,@function
_ZN9rocsparseL32bsr2csr_block_per_row_2_7_kernelILj256ELj3EfliEEv20rocsparse_direction_T3_S2_21rocsparse_index_base_PKT1_PKT2_PKS2_S2_S3_PS4_PS7_PS2_: ; @_ZN9rocsparseL32bsr2csr_block_per_row_2_7_kernelILj256ELj3EfliEEv20rocsparse_direction_T3_S2_21rocsparse_index_base_PKT1_PKT2_PKS2_S2_S3_PS4_PS7_PS2_
; %bb.0:
	s_clause 0x1
	s_load_b32 s2, s[0:1], 0x2c
	s_load_b64 s[12:13], s[0:1], 0x38
	s_bfe_u32 s3, ttmp6, 0x4000c
	s_and_b32 s4, ttmp6, 15
	s_add_co_i32 s3, s3, 1
	s_getreg_b32 s5, hwreg(HW_REG_IB_STS2, 6, 4)
	s_mul_i32 s3, ttmp9, s3
	s_delay_alu instid0(SALU_CYCLE_1) | instskip(SKIP_3) | instid1(SALU_CYCLE_1)
	s_add_co_i32 s4, s4, s3
	s_cmp_eq_u32 s5, 0
	s_mov_b32 s3, exec_lo
	s_cselect_b32 s14, ttmp9, s4
	v_or_b32_e32 v1, s14, v0
	s_delay_alu instid0(VALU_DEP_1)
	v_cmpx_eq_u32_e32 0, v1
	s_cbranch_execz .LBB119_2
; %bb.1:
	s_wait_kmcnt 0x0
	v_dual_mov_b32 v2, s2 :: v_dual_mov_b32 v3, 0
	global_store_b64 v3, v[2:3], s[12:13]
.LBB119_2:
	s_wait_xcnt 0x0
	s_or_b32 exec_lo, exec_lo, s3
	v_and_b32_e32 v2, 3, v0
	s_mov_b32 s3, exec_lo
	s_delay_alu instid0(VALU_DEP_1)
	v_cmpx_ne_u32_e32 3, v2
	s_cbranch_execz .LBB119_11
; %bb.3:
	s_clause 0x1
	s_load_b64 s[4:5], s[0:1], 0x18
	s_load_b32 s8, s[0:1], 0xc
	s_ashr_i32 s15, s14, 31
	s_mov_b32 s9, 0
	s_lshl_b64 s[6:7], s[14:15], 3
	v_dual_mov_b32 v3, 0 :: v_dual_lshrrev_b32 v4, 2, v0
	s_mov_b32 s3, s9
	s_delay_alu instid0(VALU_DEP_1)
	v_mov_b32_e32 v5, v3
	s_wait_kmcnt 0x0
	s_add_nc_u64 s[10:11], s[4:5], s[6:7]
	s_load_b128 s[4:7], s[10:11], 0x0
	s_wait_kmcnt 0x0
	s_sub_nc_u64 s[10:11], s[4:5], s[8:9]
	s_sub_nc_u64 s[6:7], s[6:7], s[8:9]
	s_mul_u64 s[18:19], s[10:11], 9
	s_sub_nc_u64 s[16:17], s[6:7], s[10:11]
	v_add_nc_u64_e32 v[0:1], s[10:11], v[4:5]
	s_mul_u64 s[16:17], s[16:17], 3
	s_delay_alu instid0(SALU_CYCLE_1) | instskip(SKIP_2) | instid1(VALU_DEP_2)
	v_mul_u64_e32 v[10:11], s[16:17], v[2:3]
	s_add_nc_u64 s[16:17], s[16:17], s[2:3]
	s_mul_i32 s3, s14, 3
	v_cmp_gt_i64_e32 vcc_lo, s[6:7], v[0:1]
	v_add3_u32 v3, v2, s3, 1
	s_delay_alu instid0(VALU_DEP_3) | instskip(NEXT) | instid1(VALU_DEP_1)
	v_add_nc_u64_e32 v[12:13], s[18:19], v[10:11]
	v_add_nc_u64_e32 v[6:7], s[16:17], v[12:13]
	global_store_b64 v3, v[6:7], s[12:13] scale_offset
	s_wait_xcnt 0x0
	s_and_b32 exec_lo, exec_lo, vcc_lo
	s_cbranch_execz .LBB119_11
; %bb.4:
	v_add_nc_u64_e32 v[6:7], s[4:5], v[4:5]
	s_clause 0x3
	s_load_b64 s[12:13], s[0:1], 0x20
	s_load_b64 s[14:15], s[0:1], 0x30
	s_load_b32 s3, s[0:1], 0x0
	s_load_b64 s[18:19], s[0:1], 0x10
	v_mul_u32_u24_e32 v3, 3, v2
	v_sub_nc_u64_e64 v[6:7], v[6:7], s[8:9]
	s_delay_alu instid0(VALU_DEP_2) | instskip(NEXT) | instid1(VALU_DEP_2)
	v_lshlrev_b32_e32 v8, 2, v3
	v_add_nc_u64_e32 v[6:7], 64, v[6:7]
	s_delay_alu instid0(VALU_DEP_1)
	v_max_i64 v[6:7], v[6:7], s[6:7]
	s_wait_kmcnt 0x0
	s_cmp_eq_u32 s3, 0
	s_mov_b32 s3, -1
	s_cselect_b32 vcc_lo, -1, 0
	s_not_b64 s[16:17], s[4:5]
	s_delay_alu instid0(SALU_CYCLE_1)
	s_add_nc_u64 s[16:17], s[16:17], s[8:9]
	s_delay_alu instid0(VALU_DEP_1) | instid1(SALU_CYCLE_1)
	v_add_nc_u64_e32 v[6:7], s[16:17], v[6:7]
	s_load_b64 s[16:17], s[0:1], 0x40
	s_wait_xcnt 0x0
	s_mov_b32 s1, exec_lo
	s_delay_alu instid0(VALU_DEP_1) | instskip(SKIP_1) | instid1(VALU_DEP_2)
	v_sub_nc_u64_e32 v[4:5], v[6:7], v[4:5]
	v_lshlrev_b32_e32 v6, 2, v2
	v_cmpx_lt_u64_e32 63, v[4:5]
	s_cbranch_execz .LBB119_8
; %bb.5:
	v_lshrrev_b64 v[2:3], 6, v[4:5]
	v_dual_mov_b32 v7, 0 :: v_dual_mov_b32 v16, v12
	v_lshl_add_u64 v[4:5], v[0:1], 2, s[12:13]
	s_mov_b32 s3, s8
	s_mov_b32 s22, s8
	s_delay_alu instid0(VALU_DEP_2) | instskip(NEXT) | instid1(VALU_DEP_4)
	v_add_nc_u64_e32 v[20:21], s[18:19], v[6:7]
	v_add_nc_u64_e32 v[14:15], 1, v[2:3]
	;; [unrolled: 1-line block ×3, first 2 shown]
	v_mov_b32_e32 v9, v7
	v_add_nc_u64_e32 v[22:23], 0x100, v[4:5]
	s_mov_b32 s20, s10
	s_mov_b32 s21, s11
	;; [unrolled: 1-line block ×3, first 2 shown]
	v_dual_mov_b32 v19, v15 :: v_dual_bitop2_b32 v18, -2, v14 bitop3:0x40
	v_mov_b32_e32 v17, v13
	v_mov_b64_e32 v[4:5], v[2:3]
	v_add_nc_u64_e32 v[24:25], s[18:19], v[8:9]
	v_mov_b64_e32 v[2:3], v[0:1]
	v_mov_b64_e32 v[26:27], v[18:19]
	s_mov_b32 s23, 0
.LBB119_6:                              ; =>This Inner Loop Header: Depth=1
	s_delay_alu instid0(VALU_DEP_4) | instskip(SKIP_1) | instid1(VALU_DEP_4)
	v_mad_nc_u64_u32 v[28:29], v4, 36, v[20:21]
	v_mul_lo_u32 v7, v5, 36
	v_mad_nc_u64_u32 v[30:31], v2, 36, v[20:21]
	v_mul_lo_u32 v9, v3, 36
	v_mad_nc_u64_u32 v[32:33], v4, 36, v[24:25]
	v_mad_nc_u64_u32 v[34:35], v2, 36, v[24:25]
	s_clause 0x1
	global_load_b32 v52, v[22:23], off offset:-256
	global_load_b32 v53, v[22:23], off
	v_add_nc_u64_e32 v[26:27], -2, v[26:27]
	s_wait_xcnt 0x0
	v_add_nc_u64_e32 v[22:23], 0x200, v[22:23]
	v_dual_add_nc_u32 v29, v7, v29 :: v_dual_add_nc_u32 v31, v9, v31
	v_dual_add_nc_u32 v33, v7, v33 :: v_dual_add_nc_u32 v35, v9, v35
	s_delay_alu instid0(VALU_DEP_2) | instskip(SKIP_1) | instid1(VALU_DEP_4)
	v_add_nc_u64_e32 v[44:45], 12, v[28:29]
	v_dual_cndmask_b32 v36, v28, v32, vcc_lo :: v_dual_cndmask_b32 v38, v30, v34, vcc_lo
	v_add_nc_u64_e32 v[46:47], 12, v[30:31]
	s_delay_alu instid0(VALU_DEP_4)
	v_add_nc_u64_e32 v[40:41], 4, v[34:35]
	v_add_nc_u64_e32 v[42:43], 4, v[32:33]
	v_dual_cndmask_b32 v37, v29, v33, vcc_lo :: v_dual_cndmask_b32 v39, v31, v35, vcc_lo
	v_add_nc_u64_e32 v[34:35], 8, v[34:35]
	v_add_nc_u64_e32 v[30:31], 24, v[30:31]
	;; [unrolled: 1-line block ×4, first 2 shown]
	v_dual_cndmask_b32 v41, v47, v41 :: v_dual_cndmask_b32 v40, v46, v40
	global_load_b32 v7, v[38:39], off
	s_wait_xcnt 0x0
	v_dual_cndmask_b32 v39, v45, v43 :: v_dual_cndmask_b32 v38, v44, v42
	v_dual_cndmask_b32 v31, v31, v35 :: v_dual_cndmask_b32 v30, v30, v34
	;; [unrolled: 1-line block ×3, first 2 shown]
	global_load_b32 v9, v[36:37], off
	global_load_b32 v54, v[40:41], off
	;; [unrolled: 1-line block ×5, first 2 shown]
	s_wait_xcnt 0x0
	v_sub_nc_u64_e64 v[28:29], v[2:3], s[10:11]
	v_sub_nc_u64_e64 v[30:31], v[4:5], s[20:21]
	v_cmp_eq_u64_e64 s0, 0, v[26:27]
	v_add_nc_u64_e32 v[4:5], 0x80, v[4:5]
	v_add_nc_u64_e32 v[2:3], 0x80, v[2:3]
	v_mad_nc_u64_u32 v[32:33], v28, 3, v[12:13]
	v_mad_nc_u64_u32 v[34:35], v30, 3, v[16:17]
	s_or_b32 s23, s0, s23
	s_delay_alu instid0(VALU_DEP_2) | instskip(NEXT) | instid1(VALU_DEP_2)
	v_mad_u32 v33, v29, 3, v33
	v_mad_u32 v35, v31, 3, v35
	s_delay_alu instid0(VALU_DEP_2) | instskip(NEXT) | instid1(VALU_DEP_2)
	v_lshlrev_b64_e32 v[28:29], 2, v[32:33]
	v_lshlrev_b64_e32 v[30:31], 2, v[34:35]
	s_delay_alu instid0(VALU_DEP_2) | instskip(NEXT) | instid1(VALU_DEP_2)
	v_add_nc_u64_e32 v[34:35], 4, v[28:29]
	v_add_nc_u64_e32 v[36:37], 4, v[30:31]
	s_wait_kmcnt 0x0
	v_add_nc_u64_e32 v[32:33], s[16:17], v[28:29]
	v_add_nc_u64_e32 v[40:41], s[14:15], v[28:29]
	;; [unrolled: 1-line block ×14, first 2 shown]
	s_wait_loadcnt 0x7
	v_subrev_nc_u32_e32 v52, s3, v52
	s_wait_loadcnt 0x6
	v_subrev_nc_u32_e32 v53, s22, v53
	s_delay_alu instid0(VALU_DEP_2) | instskip(NEXT) | instid1(VALU_DEP_2)
	v_mad_u32 v52, v52, 3, s2
	v_mad_u32 v53, v53, 3, s24
	s_clause 0x1
	global_store_b32 v[32:33], v52, off
	global_store_b32 v[38:39], v53, off
	s_wait_xcnt 0x1
	v_dual_add_nc_u32 v32, 1, v53 :: v_dual_add_nc_u32 v33, 1, v52
	s_wait_xcnt 0x0
	v_dual_add_nc_u32 v38, 2, v53 :: v_dual_add_nc_u32 v39, 2, v52
	s_wait_loadcnt 0x5
	global_store_b32 v[40:41], v7, off
	s_wait_loadcnt 0x4
	global_store_b32 v[30:31], v9, off
	s_clause 0x3
	global_store_b32 v[44:45], v33, off
	global_store_b32 v[46:47], v32, off
	;; [unrolled: 1-line block ×4, first 2 shown]
	s_wait_loadcnt 0x3
	global_store_b32 v[34:35], v54, off
	s_wait_loadcnt 0x2
	global_store_b32 v[36:37], v55, off
	;; [unrolled: 2-line block ×4, first 2 shown]
	s_wait_xcnt 0x0
	s_and_not1_b32 exec_lo, exec_lo, s23
	s_cbranch_execnz .LBB119_6
; %bb.7:
	s_or_b32 exec_lo, exec_lo, s23
	v_lshlrev_b64_e32 v[2:3], 6, v[18:19]
	v_cmp_ne_u64_e64 s0, v[14:15], v[18:19]
	s_delay_alu instid0(VALU_DEP_2)
	v_add_nc_u64_e32 v[0:1], v[0:1], v[2:3]
	s_or_not1_b32 s3, s0, exec_lo
.LBB119_8:
	s_or_b32 exec_lo, exec_lo, s1
	s_delay_alu instid0(SALU_CYCLE_1)
	s_and_b32 exec_lo, exec_lo, s3
	s_cbranch_execz .LBB119_11
; %bb.9:
	v_mad_nc_u64_u32 v[2:3], s4, 6, v[10:11]
	s_mul_u64 s[0:1], s[8:9], 6
	v_mov_b32_e32 v9, 0
	v_lshl_add_u64 v[12:13], v[0:1], 2, s[12:13]
	s_delay_alu instid0(VALU_DEP_2) | instskip(NEXT) | instid1(VALU_DEP_4)
	v_mov_b32_e32 v7, v9
	v_mad_u32 v3, s5, 6, v3
	s_delay_alu instid0(VALU_DEP_1) | instskip(SKIP_1) | instid1(VALU_DEP_2)
	v_mad_nc_u64_u32 v[4:5], v0, 3, v[2:3]
	v_mad_nc_u64_u32 v[2:3], v0, 36, s[18:19]
	v_mad_u32 v5, v1, 3, v5
	s_delay_alu instid0(VALU_DEP_2) | instskip(NEXT) | instid1(VALU_DEP_2)
	v_mad_u32 v3, v1, 36, v3
	v_sub_nc_u64_e64 v[4:5], v[4:5], s[0:1]
	s_mov_b32 s1, 0
	s_delay_alu instid0(VALU_DEP_1) | instskip(NEXT) | instid1(VALU_DEP_1)
	v_lshl_add_u64 v[10:11], v[4:5], 2, 4
	v_add_nc_u64_e32 v[4:5], s[14:15], v[10:11]
	s_wait_kmcnt 0x0
	v_add_nc_u64_e32 v[10:11], s[16:17], v[10:11]
.LBB119_10:                             ; =>This Inner Loop Header: Depth=1
	global_load_b32 v26, v[12:13], off
	v_add_nc_u64_e32 v[14:15], v[2:3], v[6:7]
	v_add_nc_u64_e32 v[16:17], v[2:3], v[8:9]
	;; [unrolled: 1-line block ×4, first 2 shown]
	s_wait_xcnt 0x0
	v_add_nc_u64_e32 v[12:13], 0x100, v[12:13]
	v_add_nc_u64_e32 v[22:23], 12, v[14:15]
	;; [unrolled: 1-line block ×3, first 2 shown]
	v_dual_cndmask_b32 v19, v15, v17 :: v_dual_cndmask_b32 v18, v14, v16
	v_add_nc_u64_e32 v[16:17], 8, v[16:17]
	v_add_nc_u64_e32 v[24:25], 24, v[14:15]
	v_cmp_le_i64_e64 s0, s[6:7], v[0:1]
	global_load_b32 v14, v[18:19], off
	s_wait_xcnt 0x0
	v_dual_cndmask_b32 v19, v23, v21 :: v_dual_cndmask_b32 v18, v22, v20
	v_dual_cndmask_b32 v21, v25, v17 :: v_dual_cndmask_b32 v20, v24, v16
	global_load_b32 v15, v[18:19], off
	global_load_b32 v16, v[20:21], off
	s_or_b32 s1, s0, s1
	s_wait_loadcnt 0x3
	v_subrev_nc_u32_e32 v17, s8, v26
	s_wait_xcnt 0x1
	s_delay_alu instid0(VALU_DEP_1) | instskip(SKIP_1) | instid1(VALU_DEP_1)
	v_mad_u32 v18, v17, 3, s2
	s_wait_xcnt 0x0
	v_dual_add_nc_u32 v20, 2, v18 :: v_dual_add_nc_u32 v19, 1, v18
	global_store_b96 v[10:11], v[18:20], off offset:-4
	s_wait_xcnt 0x0
	v_add_nc_u64_e32 v[10:11], 0x300, v[10:11]
	s_wait_loadcnt 0x0
	global_store_b96 v[4:5], v[14:16], off offset:-4
	s_wait_xcnt 0x0
	v_add_nc_u64_e32 v[4:5], 0x300, v[4:5]
	s_and_not1_b32 exec_lo, exec_lo, s1
	s_cbranch_execnz .LBB119_10
.LBB119_11:
	s_endpgm
	.section	.rodata,"a",@progbits
	.p2align	6, 0x0
	.amdhsa_kernel _ZN9rocsparseL32bsr2csr_block_per_row_2_7_kernelILj256ELj3EfliEEv20rocsparse_direction_T3_S2_21rocsparse_index_base_PKT1_PKT2_PKS2_S2_S3_PS4_PS7_PS2_
		.amdhsa_group_segment_fixed_size 0
		.amdhsa_private_segment_fixed_size 0
		.amdhsa_kernarg_size 72
		.amdhsa_user_sgpr_count 2
		.amdhsa_user_sgpr_dispatch_ptr 0
		.amdhsa_user_sgpr_queue_ptr 0
		.amdhsa_user_sgpr_kernarg_segment_ptr 1
		.amdhsa_user_sgpr_dispatch_id 0
		.amdhsa_user_sgpr_kernarg_preload_length 0
		.amdhsa_user_sgpr_kernarg_preload_offset 0
		.amdhsa_user_sgpr_private_segment_size 0
		.amdhsa_wavefront_size32 1
		.amdhsa_uses_dynamic_stack 0
		.amdhsa_enable_private_segment 0
		.amdhsa_system_sgpr_workgroup_id_x 1
		.amdhsa_system_sgpr_workgroup_id_y 0
		.amdhsa_system_sgpr_workgroup_id_z 0
		.amdhsa_system_sgpr_workgroup_info 0
		.amdhsa_system_vgpr_workitem_id 0
		.amdhsa_next_free_vgpr 58
		.amdhsa_next_free_sgpr 25
		.amdhsa_named_barrier_count 0
		.amdhsa_reserve_vcc 1
		.amdhsa_float_round_mode_32 0
		.amdhsa_float_round_mode_16_64 0
		.amdhsa_float_denorm_mode_32 3
		.amdhsa_float_denorm_mode_16_64 3
		.amdhsa_fp16_overflow 0
		.amdhsa_memory_ordered 1
		.amdhsa_forward_progress 1
		.amdhsa_inst_pref_size 13
		.amdhsa_round_robin_scheduling 0
		.amdhsa_exception_fp_ieee_invalid_op 0
		.amdhsa_exception_fp_denorm_src 0
		.amdhsa_exception_fp_ieee_div_zero 0
		.amdhsa_exception_fp_ieee_overflow 0
		.amdhsa_exception_fp_ieee_underflow 0
		.amdhsa_exception_fp_ieee_inexact 0
		.amdhsa_exception_int_div_zero 0
	.end_amdhsa_kernel
	.section	.text._ZN9rocsparseL32bsr2csr_block_per_row_2_7_kernelILj256ELj3EfliEEv20rocsparse_direction_T3_S2_21rocsparse_index_base_PKT1_PKT2_PKS2_S2_S3_PS4_PS7_PS2_,"axG",@progbits,_ZN9rocsparseL32bsr2csr_block_per_row_2_7_kernelILj256ELj3EfliEEv20rocsparse_direction_T3_S2_21rocsparse_index_base_PKT1_PKT2_PKS2_S2_S3_PS4_PS7_PS2_,comdat
.Lfunc_end119:
	.size	_ZN9rocsparseL32bsr2csr_block_per_row_2_7_kernelILj256ELj3EfliEEv20rocsparse_direction_T3_S2_21rocsparse_index_base_PKT1_PKT2_PKS2_S2_S3_PS4_PS7_PS2_, .Lfunc_end119-_ZN9rocsparseL32bsr2csr_block_per_row_2_7_kernelILj256ELj3EfliEEv20rocsparse_direction_T3_S2_21rocsparse_index_base_PKT1_PKT2_PKS2_S2_S3_PS4_PS7_PS2_
                                        ; -- End function
	.set _ZN9rocsparseL32bsr2csr_block_per_row_2_7_kernelILj256ELj3EfliEEv20rocsparse_direction_T3_S2_21rocsparse_index_base_PKT1_PKT2_PKS2_S2_S3_PS4_PS7_PS2_.num_vgpr, 58
	.set _ZN9rocsparseL32bsr2csr_block_per_row_2_7_kernelILj256ELj3EfliEEv20rocsparse_direction_T3_S2_21rocsparse_index_base_PKT1_PKT2_PKS2_S2_S3_PS4_PS7_PS2_.num_agpr, 0
	.set _ZN9rocsparseL32bsr2csr_block_per_row_2_7_kernelILj256ELj3EfliEEv20rocsparse_direction_T3_S2_21rocsparse_index_base_PKT1_PKT2_PKS2_S2_S3_PS4_PS7_PS2_.numbered_sgpr, 25
	.set _ZN9rocsparseL32bsr2csr_block_per_row_2_7_kernelILj256ELj3EfliEEv20rocsparse_direction_T3_S2_21rocsparse_index_base_PKT1_PKT2_PKS2_S2_S3_PS4_PS7_PS2_.num_named_barrier, 0
	.set _ZN9rocsparseL32bsr2csr_block_per_row_2_7_kernelILj256ELj3EfliEEv20rocsparse_direction_T3_S2_21rocsparse_index_base_PKT1_PKT2_PKS2_S2_S3_PS4_PS7_PS2_.private_seg_size, 0
	.set _ZN9rocsparseL32bsr2csr_block_per_row_2_7_kernelILj256ELj3EfliEEv20rocsparse_direction_T3_S2_21rocsparse_index_base_PKT1_PKT2_PKS2_S2_S3_PS4_PS7_PS2_.uses_vcc, 1
	.set _ZN9rocsparseL32bsr2csr_block_per_row_2_7_kernelILj256ELj3EfliEEv20rocsparse_direction_T3_S2_21rocsparse_index_base_PKT1_PKT2_PKS2_S2_S3_PS4_PS7_PS2_.uses_flat_scratch, 0
	.set _ZN9rocsparseL32bsr2csr_block_per_row_2_7_kernelILj256ELj3EfliEEv20rocsparse_direction_T3_S2_21rocsparse_index_base_PKT1_PKT2_PKS2_S2_S3_PS4_PS7_PS2_.has_dyn_sized_stack, 0
	.set _ZN9rocsparseL32bsr2csr_block_per_row_2_7_kernelILj256ELj3EfliEEv20rocsparse_direction_T3_S2_21rocsparse_index_base_PKT1_PKT2_PKS2_S2_S3_PS4_PS7_PS2_.has_recursion, 0
	.set _ZN9rocsparseL32bsr2csr_block_per_row_2_7_kernelILj256ELj3EfliEEv20rocsparse_direction_T3_S2_21rocsparse_index_base_PKT1_PKT2_PKS2_S2_S3_PS4_PS7_PS2_.has_indirect_call, 0
	.section	.AMDGPU.csdata,"",@progbits
; Kernel info:
; codeLenInByte = 1664
; TotalNumSgprs: 27
; NumVgprs: 58
; ScratchSize: 0
; MemoryBound: 0
; FloatMode: 240
; IeeeMode: 1
; LDSByteSize: 0 bytes/workgroup (compile time only)
; SGPRBlocks: 0
; VGPRBlocks: 3
; NumSGPRsForWavesPerEU: 27
; NumVGPRsForWavesPerEU: 58
; NamedBarCnt: 0
; Occupancy: 16
; WaveLimiterHint : 1
; COMPUTE_PGM_RSRC2:SCRATCH_EN: 0
; COMPUTE_PGM_RSRC2:USER_SGPR: 2
; COMPUTE_PGM_RSRC2:TRAP_HANDLER: 0
; COMPUTE_PGM_RSRC2:TGID_X_EN: 1
; COMPUTE_PGM_RSRC2:TGID_Y_EN: 0
; COMPUTE_PGM_RSRC2:TGID_Z_EN: 0
; COMPUTE_PGM_RSRC2:TIDIG_COMP_CNT: 0
	.section	.text._ZN9rocsparseL32bsr2csr_block_per_row_2_7_kernelILj256ELj4EfliEEv20rocsparse_direction_T3_S2_21rocsparse_index_base_PKT1_PKT2_PKS2_S2_S3_PS4_PS7_PS2_,"axG",@progbits,_ZN9rocsparseL32bsr2csr_block_per_row_2_7_kernelILj256ELj4EfliEEv20rocsparse_direction_T3_S2_21rocsparse_index_base_PKT1_PKT2_PKS2_S2_S3_PS4_PS7_PS2_,comdat
	.globl	_ZN9rocsparseL32bsr2csr_block_per_row_2_7_kernelILj256ELj4EfliEEv20rocsparse_direction_T3_S2_21rocsparse_index_base_PKT1_PKT2_PKS2_S2_S3_PS4_PS7_PS2_ ; -- Begin function _ZN9rocsparseL32bsr2csr_block_per_row_2_7_kernelILj256ELj4EfliEEv20rocsparse_direction_T3_S2_21rocsparse_index_base_PKT1_PKT2_PKS2_S2_S3_PS4_PS7_PS2_
	.p2align	8
	.type	_ZN9rocsparseL32bsr2csr_block_per_row_2_7_kernelILj256ELj4EfliEEv20rocsparse_direction_T3_S2_21rocsparse_index_base_PKT1_PKT2_PKS2_S2_S3_PS4_PS7_PS2_,@function
_ZN9rocsparseL32bsr2csr_block_per_row_2_7_kernelILj256ELj4EfliEEv20rocsparse_direction_T3_S2_21rocsparse_index_base_PKT1_PKT2_PKS2_S2_S3_PS4_PS7_PS2_: ; @_ZN9rocsparseL32bsr2csr_block_per_row_2_7_kernelILj256ELj4EfliEEv20rocsparse_direction_T3_S2_21rocsparse_index_base_PKT1_PKT2_PKS2_S2_S3_PS4_PS7_PS2_
; %bb.0:
	s_load_b64 s[4:5], s[0:1], 0x18
	s_bfe_u32 s2, ttmp6, 0x4000c
	s_and_b32 s3, ttmp6, 15
	s_add_co_i32 s2, s2, 1
	s_getreg_b32 s6, hwreg(HW_REG_IB_STS2, 6, 4)
	s_mul_i32 s2, ttmp9, s2
	s_delay_alu instid0(SALU_CYCLE_1)
	s_add_co_i32 s3, s3, s2
	s_cmp_eq_u32 s6, 0
	s_clause 0x1
	s_load_b32 s2, s[0:1], 0x2c
	s_load_b64 s[14:15], s[0:1], 0x38
	s_cselect_b32 s12, ttmp9, s3
	s_delay_alu instid0(SALU_CYCLE_1)
	s_ashr_i32 s13, s12, 31
	v_or_b32_e32 v1, s12, v0
	s_lshl_b64 s[6:7], s[12:13], 3
	s_wait_kmcnt 0x0
	s_add_nc_u64 s[8:9], s[4:5], s[6:7]
	s_load_b128 s[4:7], s[8:9], 0x0
	s_wait_xcnt 0x0
	s_mov_b32 s9, 0
	s_mov_b32 s8, exec_lo
	s_mov_b32 s3, s9
	v_cmpx_eq_u32_e32 0, v1
	s_cbranch_execz .LBB120_2
; %bb.1:
	v_mov_b64_e32 v[2:3], s[2:3]
	v_mov_b32_e32 v1, 0
	global_store_b64 v1, v[2:3], s[14:15]
.LBB120_2:
	s_wait_xcnt 0x0
	s_or_b32 exec_lo, exec_lo, s8
	s_load_b32 s8, s[0:1], 0xc
	v_dual_mov_b32 v9, 0 :: v_dual_bitop2_b32 v8, 3, v0 bitop3:0x40
	v_lshrrev_b32_e32 v2, 2, v0
	s_delay_alu instid0(VALU_DEP_2) | instskip(NEXT) | instid1(VALU_DEP_1)
	v_lshl_or_b32 v6, s12, 2, v8
	v_dual_mov_b32 v3, v9 :: v_dual_add_nc_u32 v6, 1, v6
	s_wait_kmcnt 0x0
	s_sub_nc_u64 s[10:11], s[4:5], s[8:9]
	s_sub_nc_u64 s[6:7], s[6:7], s[8:9]
	s_delay_alu instid0(VALU_DEP_1) | instskip(SKIP_1) | instid1(SALU_CYCLE_1)
	v_add_nc_u64_e32 v[0:1], s[10:11], v[2:3]
	s_sub_nc_u64 s[16:17], s[6:7], s[10:11]
	s_lshl_b64 s[16:17], s[16:17], 2
	s_delay_alu instid0(SALU_CYCLE_1) | instskip(SKIP_2) | instid1(VALU_DEP_1)
	v_mul_u64_e32 v[10:11], s[16:17], v[8:9]
	s_add_nc_u64 s[12:13], s[16:17], s[2:3]
	s_mov_b32 s3, exec_lo
	v_lshl_add_u64 v[12:13], s[10:11], 4, v[10:11]
	s_delay_alu instid0(VALU_DEP_1)
	v_add_nc_u64_e32 v[4:5], s[12:13], v[12:13]
	global_store_b64 v6, v[4:5], s[14:15] scale_offset
	s_wait_xcnt 0x0
	v_cmpx_gt_i64_e64 s[6:7], v[0:1]
	s_cbranch_execz .LBB120_10
; %bb.3:
	v_add_nc_u64_e32 v[4:5], s[4:5], v[2:3]
	s_clause 0x2
	s_load_b64 s[14:15], s[0:1], 0x20
	s_load_b64 s[12:13], s[0:1], 0x30
	s_load_b32 s3, s[0:1], 0x0
	v_dual_mov_b32 v7, v9 :: v_dual_lshlrev_b32 v6, 2, v8
	s_mov_b32 s20, -1
	v_sub_nc_u64_e64 v[4:5], v[4:5], s[8:9]
	s_delay_alu instid0(VALU_DEP_1) | instskip(SKIP_2) | instid1(VALU_DEP_1)
	v_add_nc_u64_e32 v[4:5], 64, v[4:5]
	s_wait_kmcnt 0x0
	s_cmp_eq_u32 s3, 0
	v_max_i64 v[4:5], v[4:5], s[6:7]
	s_cselect_b32 vcc_lo, -1, 0
	s_not_b64 s[16:17], s[4:5]
	s_mov_b32 s3, 0
	s_add_nc_u64 s[18:19], s[16:17], s[8:9]
	s_load_b64 s[16:17], s[0:1], 0x10
	s_delay_alu instid0(VALU_DEP_1) | instskip(SKIP_3) | instid1(VALU_DEP_1)
	v_add_nc_u64_e32 v[4:5], s[18:19], v[4:5]
	s_load_b64 s[18:19], s[0:1], 0x40
	s_wait_xcnt 0x0
	s_mov_b32 s1, exec_lo
	v_sub_nc_u64_e32 v[2:3], v[4:5], v[2:3]
	s_delay_alu instid0(VALU_DEP_1)
	v_cmpx_lt_u64_e32 63, v[2:3]
	s_cbranch_execz .LBB120_7
; %bb.4:
	v_lshrrev_b64 v[2:3], 6, v[2:3]
	v_dual_mov_b32 v5, 0 :: v_dual_lshlrev_b32 v4, 2, v6
	v_lshl_add_u64 v[22:23], v[0:1], 2, s[14:15]
	v_mov_b32_e32 v21, v13
	s_mov_b32 s22, s8
	s_mov_b32 s23, s8
	s_delay_alu instid0(VALU_DEP_4)
	v_add_nc_u64_e32 v[14:15], 1, v[2:3]
	v_add_nc_u64_e32 v[2:3], 64, v[0:1]
	s_wait_kmcnt 0x0
	v_add_nc_u64_e32 v[18:19], s[16:17], v[4:5]
	v_mov_b32_e32 v4, v6
	v_add_nc_u64_e32 v[22:23], 0x100, v[22:23]
	s_mov_b32 s20, s10
	s_mov_b32 s21, s11
	v_dual_mov_b32 v17, v15 :: v_dual_bitop2_b32 v16, -2, v14 bitop3:0x40
	v_mov_b32_e32 v20, v12
	v_add_nc_u64_e32 v[24:25], s[16:17], v[4:5]
	v_mov_b64_e32 v[4:5], v[2:3]
	v_mov_b64_e32 v[2:3], v[0:1]
	;; [unrolled: 1-line block ×3, first 2 shown]
	s_mov_b32 s24, s2
.LBB120_5:                              ; =>This Inner Loop Header: Depth=1
	s_delay_alu instid0(VALU_DEP_2) | instskip(NEXT) | instid1(VALU_DEP_4)
	v_lshlrev_b64_e32 v[30:31], 6, v[2:3]
	v_lshlrev_b64_e32 v[28:29], 6, v[4:5]
	s_clause 0x1
	global_load_b32 v9, v[22:23], off offset:-256
	global_load_b32 v60, v[22:23], off
	v_add_nc_u64_e32 v[26:27], -2, v[26:27]
	s_wait_xcnt 0x0
	v_add_nc_u64_e32 v[22:23], 0x200, v[22:23]
	v_add_nc_u64_e32 v[34:35], v[24:25], v[30:31]
	;; [unrolled: 1-line block ×5, first 2 shown]
	v_cmp_eq_u64_e64 s0, 0, v[26:27]
	v_add_nc_u64_e32 v[44:45], 16, v[34:35]
	v_add_nc_u64_e32 v[40:41], 4, v[30:31]
	;; [unrolled: 1-line block ×4, first 2 shown]
	v_dual_cndmask_b32 v39, v35, v31 :: v_dual_cndmask_b32 v38, v34, v30
	v_add_nc_u64_e32 v[48:49], 8, v[30:31]
	v_add_nc_u64_e32 v[52:53], 32, v[34:35]
	v_dual_cndmask_b32 v37, v33, v29 :: v_dual_cndmask_b32 v36, v32, v28
	v_add_nc_u64_e32 v[50:51], 8, v[28:29]
	v_add_nc_u64_e32 v[54:55], 32, v[32:33]
	;; [unrolled: 1-line block ×6, first 2 shown]
	global_load_b32 v61, v[38:39], off
	global_load_b32 v62, v[36:37], off
	s_wait_xcnt 0x1
	v_dual_cndmask_b32 v39, v45, v41 :: v_dual_cndmask_b32 v38, v44, v40
	s_wait_xcnt 0x0
	v_dual_cndmask_b32 v37, v47, v43 :: v_dual_cndmask_b32 v36, v46, v42
	v_dual_cndmask_b32 v43, v53, v49 :: v_dual_cndmask_b32 v42, v52, v48
	;; [unrolled: 1-line block ×5, first 2 shown]
	global_load_b32 v63, v[38:39], off
	global_load_b32 v64, v[36:37], off
	global_load_b32 v65, v[42:43], off
	global_load_b32 v66, v[40:41], off
	global_load_b32 v67, v[30:31], off
	global_load_b32 v68, v[28:29], off
	s_wait_xcnt 0x0
	v_sub_nc_u64_e64 v[28:29], v[2:3], s[10:11]
	v_sub_nc_u64_e64 v[30:31], v[4:5], s[20:21]
	v_add_nc_u64_e32 v[4:5], 0x80, v[4:5]
	v_add_nc_u64_e32 v[2:3], 0x80, v[2:3]
	s_or_b32 s3, s0, s3
	s_delay_alu instid0(VALU_DEP_4) | instskip(NEXT) | instid1(VALU_DEP_4)
	v_lshl_add_u64 v[28:29], v[28:29], 2, v[12:13]
	v_lshl_add_u64 v[30:31], v[30:31], 2, v[20:21]
	s_delay_alu instid0(VALU_DEP_2) | instskip(NEXT) | instid1(VALU_DEP_2)
	v_lshlrev_b64_e32 v[32:33], 2, v[28:29]
	v_lshlrev_b64_e32 v[34:35], 2, v[30:31]
	v_dual_mov_b32 v39, v29 :: v_dual_bitop2_b32 v38, 1, v28 bitop3:0x54
	v_dual_mov_b32 v37, v31 :: v_dual_bitop2_b32 v36, 1, v30 bitop3:0x54
	;; [unrolled: 1-line block ×3, first 2 shown]
	v_add_nc_u64_e32 v[44:45], s[18:19], v[32:33]
	v_dual_mov_b32 v41, v31 :: v_dual_bitop2_b32 v40, 2, v30 bitop3:0x54
	v_add_nc_u64_e32 v[46:47], s[18:19], v[34:35]
	v_lshlrev_b64_e32 v[38:39], 2, v[38:39]
	v_lshlrev_b64_e32 v[36:37], 2, v[36:37]
	;; [unrolled: 1-line block ×4, first 2 shown]
	v_add_nc_u64_e32 v[32:33], s[12:13], v[32:33]
	v_add_nc_u64_e32 v[34:35], s[12:13], v[34:35]
	;; [unrolled: 1-line block ×10, first 2 shown]
	s_wait_loadcnt 0x9
	v_subrev_nc_u32_e32 v9, s22, v9
	s_wait_loadcnt 0x8
	v_subrev_nc_u32_e32 v60, s23, v60
	s_delay_alu instid0(VALU_DEP_2) | instskip(SKIP_2) | instid1(VALU_DEP_4)
	v_lshl_add_u32 v9, v9, 2, s2
	v_or_b32_e32 v28, 3, v28
	v_or_b32_e32 v30, 3, v30
	v_lshl_add_u32 v60, v60, 2, s24
	s_clause 0x1
	global_store_b32 v[44:45], v9, off
	global_store_b32 v[46:47], v60, off
	s_wait_xcnt 0x0
	v_add_nc_u32_e32 v46, 2, v9
	v_lshlrev_b64_e32 v[28:29], 2, v[28:29]
	v_add_nc_u32_e32 v44, 1, v9
	v_lshlrev_b64_e32 v[30:31], 2, v[30:31]
	v_dual_add_nc_u32 v45, 1, v60 :: v_dual_add_nc_u32 v47, 2, v60
	v_dual_add_nc_u32 v9, 3, v9 :: v_dual_add_nc_u32 v60, 3, v60
	v_add_nc_u64_e32 v[56:57], s[18:19], v[28:29]
	v_add_nc_u64_e32 v[28:29], s[12:13], v[28:29]
	;; [unrolled: 1-line block ×4, first 2 shown]
	s_clause 0x5
	global_store_b32 v[48:49], v44, off
	global_store_b32 v[50:51], v45, off
	;; [unrolled: 1-line block ×6, first 2 shown]
	s_wait_loadcnt 0x7
	global_store_b32 v[32:33], v61, off
	s_wait_loadcnt 0x6
	global_store_b32 v[34:35], v62, off
	;; [unrolled: 2-line block ×8, first 2 shown]
	s_wait_xcnt 0x0
	s_and_not1_b32 exec_lo, exec_lo, s3
	s_cbranch_execnz .LBB120_5
; %bb.6:
	s_or_b32 exec_lo, exec_lo, s3
	v_lshlrev_b64_e32 v[2:3], 6, v[16:17]
	v_cmp_ne_u64_e64 s0, v[14:15], v[16:17]
	s_delay_alu instid0(VALU_DEP_2)
	v_add_nc_u64_e32 v[0:1], v[0:1], v[2:3]
	s_or_not1_b32 s20, s0, exec_lo
.LBB120_7:
	s_or_b32 exec_lo, exec_lo, s1
	s_delay_alu instid0(SALU_CYCLE_1)
	s_and_b32 exec_lo, exec_lo, s20
	s_cbranch_execz .LBB120_10
; %bb.8:
	v_mad_nc_u64_u32 v[2:3], s4, 12, v[10:11]
	s_delay_alu instid0(VALU_DEP_2) | instskip(SKIP_3) | instid1(VALU_DEP_4)
	v_lshlrev_b64_e32 v[4:5], 2, v[0:1]
	s_mul_u64 s[0:1], s[8:9], 12
	v_lshlrev_b64_e32 v[10:11], 6, v[0:1]
	v_dual_mov_b32 v9, 0 :: v_dual_lshlrev_b32 v8, 4, v8
	v_mad_u32 v3, s5, 12, v3
	s_delay_alu instid0(VALU_DEP_1) | instskip(NEXT) | instid1(VALU_DEP_1)
	v_add_nc_u64_e32 v[2:3], v[2:3], v[4:5]
	v_sub_nc_u64_e64 v[2:3], v[2:3], s[0:1]
	s_mov_b32 s1, 0
	s_delay_alu instid0(VALU_DEP_1) | instskip(SKIP_3) | instid1(VALU_DEP_3)
	v_lshlrev_b64_e32 v[12:13], 2, v[2:3]
	v_add_nc_u64_e32 v[2:3], s[14:15], v[4:5]
	s_wait_kmcnt 0x0
	v_add_nc_u64_e32 v[4:5], s[16:17], v[10:11]
	v_add_nc_u64_e32 v[10:11], s[12:13], v[12:13]
	;; [unrolled: 1-line block ×3, first 2 shown]
.LBB120_9:                              ; =>This Inner Loop Header: Depth=1
	s_delay_alu instid0(VALU_DEP_3)
	v_add_nc_u64_e32 v[14:15], v[4:5], v[8:9]
	v_add_nc_u64_e32 v[16:17], v[4:5], v[6:7]
	global_load_b32 v32, v[2:3], off
	v_add_nc_u64_e32 v[0:1], 64, v[0:1]
	s_wait_xcnt 0x0
	v_add_nc_u64_e32 v[2:3], 0x100, v[2:3]
	v_add_nc_u64_e32 v[4:5], 0x1000, v[4:5]
	;; [unrolled: 1-line block ×8, first 2 shown]
	v_dual_cndmask_b32 v31, v17, v15 :: v_dual_cndmask_b32 v30, v16, v14
	v_dual_cndmask_b32 v19, v21, v19 :: v_dual_cndmask_b32 v18, v20, v18
	;; [unrolled: 1-line block ×3, first 2 shown]
	s_delay_alu instid0(VALU_DEP_4)
	v_dual_cndmask_b32 v23, v29, v27 :: v_dual_cndmask_b32 v22, v28, v26
	global_load_b32 v14, v[30:31], off
	global_load_b32 v15, v[18:19], off
	;; [unrolled: 1-line block ×4, first 2 shown]
	v_cmp_le_i64_e64 s0, s[6:7], v[0:1]
	s_or_b32 s1, s0, s1
	s_wait_loadcnt 0x4
	s_wait_xcnt 0x2
	v_subrev_nc_u32_e32 v18, s8, v32
	s_delay_alu instid0(VALU_DEP_1) | instskip(SKIP_1) | instid1(VALU_DEP_1)
	v_lshl_add_u32 v18, v18, 2, s2
	s_wait_xcnt 0x1
	v_dual_add_nc_u32 v20, 2, v18 :: v_dual_add_nc_u32 v19, 1, v18
	v_add_nc_u32_e32 v21, 3, v18
	global_store_b128 v[12:13], v[18:21], off
	s_wait_xcnt 0x0
	v_add_nc_u64_e32 v[12:13], 0x400, v[12:13]
	s_wait_loadcnt 0x0
	global_store_b128 v[10:11], v[14:17], off
	s_wait_xcnt 0x0
	v_add_nc_u64_e32 v[10:11], 0x400, v[10:11]
	s_and_not1_b32 exec_lo, exec_lo, s1
	s_cbranch_execnz .LBB120_9
.LBB120_10:
	s_sendmsg sendmsg(MSG_DEALLOC_VGPRS)
	s_endpgm
	.section	.rodata,"a",@progbits
	.p2align	6, 0x0
	.amdhsa_kernel _ZN9rocsparseL32bsr2csr_block_per_row_2_7_kernelILj256ELj4EfliEEv20rocsparse_direction_T3_S2_21rocsparse_index_base_PKT1_PKT2_PKS2_S2_S3_PS4_PS7_PS2_
		.amdhsa_group_segment_fixed_size 0
		.amdhsa_private_segment_fixed_size 0
		.amdhsa_kernarg_size 72
		.amdhsa_user_sgpr_count 2
		.amdhsa_user_sgpr_dispatch_ptr 0
		.amdhsa_user_sgpr_queue_ptr 0
		.amdhsa_user_sgpr_kernarg_segment_ptr 1
		.amdhsa_user_sgpr_dispatch_id 0
		.amdhsa_user_sgpr_kernarg_preload_length 0
		.amdhsa_user_sgpr_kernarg_preload_offset 0
		.amdhsa_user_sgpr_private_segment_size 0
		.amdhsa_wavefront_size32 1
		.amdhsa_uses_dynamic_stack 0
		.amdhsa_enable_private_segment 0
		.amdhsa_system_sgpr_workgroup_id_x 1
		.amdhsa_system_sgpr_workgroup_id_y 0
		.amdhsa_system_sgpr_workgroup_id_z 0
		.amdhsa_system_sgpr_workgroup_info 0
		.amdhsa_system_vgpr_workitem_id 0
		.amdhsa_next_free_vgpr 69
		.amdhsa_next_free_sgpr 25
		.amdhsa_named_barrier_count 0
		.amdhsa_reserve_vcc 1
		.amdhsa_float_round_mode_32 0
		.amdhsa_float_round_mode_16_64 0
		.amdhsa_float_denorm_mode_32 3
		.amdhsa_float_denorm_mode_16_64 3
		.amdhsa_fp16_overflow 0
		.amdhsa_memory_ordered 1
		.amdhsa_forward_progress 1
		.amdhsa_inst_pref_size 14
		.amdhsa_round_robin_scheduling 0
		.amdhsa_exception_fp_ieee_invalid_op 0
		.amdhsa_exception_fp_denorm_src 0
		.amdhsa_exception_fp_ieee_div_zero 0
		.amdhsa_exception_fp_ieee_overflow 0
		.amdhsa_exception_fp_ieee_underflow 0
		.amdhsa_exception_fp_ieee_inexact 0
		.amdhsa_exception_int_div_zero 0
	.end_amdhsa_kernel
	.section	.text._ZN9rocsparseL32bsr2csr_block_per_row_2_7_kernelILj256ELj4EfliEEv20rocsparse_direction_T3_S2_21rocsparse_index_base_PKT1_PKT2_PKS2_S2_S3_PS4_PS7_PS2_,"axG",@progbits,_ZN9rocsparseL32bsr2csr_block_per_row_2_7_kernelILj256ELj4EfliEEv20rocsparse_direction_T3_S2_21rocsparse_index_base_PKT1_PKT2_PKS2_S2_S3_PS4_PS7_PS2_,comdat
.Lfunc_end120:
	.size	_ZN9rocsparseL32bsr2csr_block_per_row_2_7_kernelILj256ELj4EfliEEv20rocsparse_direction_T3_S2_21rocsparse_index_base_PKT1_PKT2_PKS2_S2_S3_PS4_PS7_PS2_, .Lfunc_end120-_ZN9rocsparseL32bsr2csr_block_per_row_2_7_kernelILj256ELj4EfliEEv20rocsparse_direction_T3_S2_21rocsparse_index_base_PKT1_PKT2_PKS2_S2_S3_PS4_PS7_PS2_
                                        ; -- End function
	.set _ZN9rocsparseL32bsr2csr_block_per_row_2_7_kernelILj256ELj4EfliEEv20rocsparse_direction_T3_S2_21rocsparse_index_base_PKT1_PKT2_PKS2_S2_S3_PS4_PS7_PS2_.num_vgpr, 69
	.set _ZN9rocsparseL32bsr2csr_block_per_row_2_7_kernelILj256ELj4EfliEEv20rocsparse_direction_T3_S2_21rocsparse_index_base_PKT1_PKT2_PKS2_S2_S3_PS4_PS7_PS2_.num_agpr, 0
	.set _ZN9rocsparseL32bsr2csr_block_per_row_2_7_kernelILj256ELj4EfliEEv20rocsparse_direction_T3_S2_21rocsparse_index_base_PKT1_PKT2_PKS2_S2_S3_PS4_PS7_PS2_.numbered_sgpr, 25
	.set _ZN9rocsparseL32bsr2csr_block_per_row_2_7_kernelILj256ELj4EfliEEv20rocsparse_direction_T3_S2_21rocsparse_index_base_PKT1_PKT2_PKS2_S2_S3_PS4_PS7_PS2_.num_named_barrier, 0
	.set _ZN9rocsparseL32bsr2csr_block_per_row_2_7_kernelILj256ELj4EfliEEv20rocsparse_direction_T3_S2_21rocsparse_index_base_PKT1_PKT2_PKS2_S2_S3_PS4_PS7_PS2_.private_seg_size, 0
	.set _ZN9rocsparseL32bsr2csr_block_per_row_2_7_kernelILj256ELj4EfliEEv20rocsparse_direction_T3_S2_21rocsparse_index_base_PKT1_PKT2_PKS2_S2_S3_PS4_PS7_PS2_.uses_vcc, 1
	.set _ZN9rocsparseL32bsr2csr_block_per_row_2_7_kernelILj256ELj4EfliEEv20rocsparse_direction_T3_S2_21rocsparse_index_base_PKT1_PKT2_PKS2_S2_S3_PS4_PS7_PS2_.uses_flat_scratch, 0
	.set _ZN9rocsparseL32bsr2csr_block_per_row_2_7_kernelILj256ELj4EfliEEv20rocsparse_direction_T3_S2_21rocsparse_index_base_PKT1_PKT2_PKS2_S2_S3_PS4_PS7_PS2_.has_dyn_sized_stack, 0
	.set _ZN9rocsparseL32bsr2csr_block_per_row_2_7_kernelILj256ELj4EfliEEv20rocsparse_direction_T3_S2_21rocsparse_index_base_PKT1_PKT2_PKS2_S2_S3_PS4_PS7_PS2_.has_recursion, 0
	.set _ZN9rocsparseL32bsr2csr_block_per_row_2_7_kernelILj256ELj4EfliEEv20rocsparse_direction_T3_S2_21rocsparse_index_base_PKT1_PKT2_PKS2_S2_S3_PS4_PS7_PS2_.has_indirect_call, 0
	.section	.AMDGPU.csdata,"",@progbits
; Kernel info:
; codeLenInByte = 1776
; TotalNumSgprs: 27
; NumVgprs: 69
; ScratchSize: 0
; MemoryBound: 0
; FloatMode: 240
; IeeeMode: 1
; LDSByteSize: 0 bytes/workgroup (compile time only)
; SGPRBlocks: 0
; VGPRBlocks: 4
; NumSGPRsForWavesPerEU: 27
; NumVGPRsForWavesPerEU: 69
; NamedBarCnt: 0
; Occupancy: 12
; WaveLimiterHint : 1
; COMPUTE_PGM_RSRC2:SCRATCH_EN: 0
; COMPUTE_PGM_RSRC2:USER_SGPR: 2
; COMPUTE_PGM_RSRC2:TRAP_HANDLER: 0
; COMPUTE_PGM_RSRC2:TGID_X_EN: 1
; COMPUTE_PGM_RSRC2:TGID_Y_EN: 0
; COMPUTE_PGM_RSRC2:TGID_Z_EN: 0
; COMPUTE_PGM_RSRC2:TIDIG_COMP_CNT: 0
	.section	.text._ZN9rocsparseL32bsr2csr_block_per_row_2_7_kernelILj256ELj5EfliEEv20rocsparse_direction_T3_S2_21rocsparse_index_base_PKT1_PKT2_PKS2_S2_S3_PS4_PS7_PS2_,"axG",@progbits,_ZN9rocsparseL32bsr2csr_block_per_row_2_7_kernelILj256ELj5EfliEEv20rocsparse_direction_T3_S2_21rocsparse_index_base_PKT1_PKT2_PKS2_S2_S3_PS4_PS7_PS2_,comdat
	.globl	_ZN9rocsparseL32bsr2csr_block_per_row_2_7_kernelILj256ELj5EfliEEv20rocsparse_direction_T3_S2_21rocsparse_index_base_PKT1_PKT2_PKS2_S2_S3_PS4_PS7_PS2_ ; -- Begin function _ZN9rocsparseL32bsr2csr_block_per_row_2_7_kernelILj256ELj5EfliEEv20rocsparse_direction_T3_S2_21rocsparse_index_base_PKT1_PKT2_PKS2_S2_S3_PS4_PS7_PS2_
	.p2align	8
	.type	_ZN9rocsparseL32bsr2csr_block_per_row_2_7_kernelILj256ELj5EfliEEv20rocsparse_direction_T3_S2_21rocsparse_index_base_PKT1_PKT2_PKS2_S2_S3_PS4_PS7_PS2_,@function
_ZN9rocsparseL32bsr2csr_block_per_row_2_7_kernelILj256ELj5EfliEEv20rocsparse_direction_T3_S2_21rocsparse_index_base_PKT1_PKT2_PKS2_S2_S3_PS4_PS7_PS2_: ; @_ZN9rocsparseL32bsr2csr_block_per_row_2_7_kernelILj256ELj5EfliEEv20rocsparse_direction_T3_S2_21rocsparse_index_base_PKT1_PKT2_PKS2_S2_S3_PS4_PS7_PS2_
; %bb.0:
	s_clause 0x1
	s_load_b32 s2, s[0:1], 0x2c
	s_load_b64 s[14:15], s[0:1], 0x38
	s_bfe_u32 s3, ttmp6, 0x4000c
	s_and_b32 s4, ttmp6, 15
	s_add_co_i32 s3, s3, 1
	s_getreg_b32 s5, hwreg(HW_REG_IB_STS2, 6, 4)
	s_mul_i32 s3, ttmp9, s3
	s_delay_alu instid0(SALU_CYCLE_1) | instskip(SKIP_3) | instid1(SALU_CYCLE_1)
	s_add_co_i32 s4, s4, s3
	s_cmp_eq_u32 s5, 0
	s_mov_b32 s3, exec_lo
	s_cselect_b32 s16, ttmp9, s4
	v_or_b32_e32 v1, s16, v0
	s_delay_alu instid0(VALU_DEP_1)
	v_cmpx_eq_u32_e32 0, v1
	s_cbranch_execz .LBB121_2
; %bb.1:
	s_wait_kmcnt 0x0
	v_dual_mov_b32 v2, s2 :: v_dual_mov_b32 v3, 0
	global_store_b64 v3, v[2:3], s[14:15]
.LBB121_2:
	s_wait_xcnt 0x0
	s_or_b32 exec_lo, exec_lo, s3
	v_and_b32_e32 v10, 7, v0
	s_mov_b32 s3, exec_lo
	s_delay_alu instid0(VALU_DEP_1)
	v_cmpx_gt_u32_e32 5, v10
	s_cbranch_execz .LBB121_11
; %bb.3:
	s_clause 0x1
	s_load_b64 s[4:5], s[0:1], 0x18
	s_load_b32 s8, s[0:1], 0xc
	s_ashr_i32 s17, s16, 31
	s_mov_b32 s9, 0
	s_lshl_b64 s[6:7], s[16:17], 3
	v_dual_mov_b32 v3, 0 :: v_dual_lshrrev_b32 v2, 3, v0
	s_mov_b32 s3, s9
	s_wait_kmcnt 0x0
	s_add_nc_u64 s[10:11], s[4:5], s[6:7]
	s_load_b128 s[4:7], s[10:11], 0x0
	s_wait_kmcnt 0x0
	s_sub_nc_u64 s[12:13], s[4:5], s[8:9]
	s_sub_nc_u64 s[6:7], s[6:7], s[8:9]
	s_mul_u64 s[18:19], s[12:13], 25
	s_sub_nc_u64 s[10:11], s[6:7], s[12:13]
	v_add_nc_u64_e32 v[0:1], s[12:13], v[2:3]
	s_mul_u64 s[20:21], s[10:11], 5
	s_delay_alu instid0(SALU_CYCLE_1) | instskip(SKIP_2) | instid1(VALU_DEP_2)
	v_mad_nc_u64_u32 v[12:13], s20, v10, s[18:19]
	s_add_nc_u64 s[18:19], s[20:21], s[2:3]
	s_mul_i32 s3, s16, 5
	v_cmp_gt_i64_e32 vcc_lo, s[6:7], v[0:1]
	v_add3_u32 v6, v10, s3, 1
	s_delay_alu instid0(VALU_DEP_3) | instskip(NEXT) | instid1(VALU_DEP_1)
	v_mad_u32 v13, s21, v10, v13
	v_add_nc_u64_e32 v[4:5], s[18:19], v[12:13]
	global_store_b64 v6, v[4:5], s[14:15] scale_offset
	s_wait_xcnt 0x0
	s_and_b32 exec_lo, exec_lo, vcc_lo
	s_cbranch_execz .LBB121_11
; %bb.4:
	v_add_nc_u64_e32 v[4:5], s[4:5], v[2:3]
	s_clause 0x3
	s_load_b64 s[14:15], s[0:1], 0x20
	s_load_b64 s[16:17], s[0:1], 0x30
	s_load_b32 s3, s[0:1], 0x0
	s_load_b64 s[20:21], s[0:1], 0x10
	v_dual_mov_b32 v11, v3 :: v_dual_lshlrev_b32 v6, 2, v10
	v_sub_nc_u64_e64 v[4:5], v[4:5], s[8:9]
	s_delay_alu instid0(VALU_DEP_1) | instskip(SKIP_2) | instid1(VALU_DEP_1)
	v_add_nc_u64_e32 v[4:5], 32, v[4:5]
	s_wait_kmcnt 0x0
	s_cmp_eq_u32 s3, 0
	v_max_i64 v[4:5], v[4:5], s[6:7]
	s_cselect_b32 vcc_lo, -1, 0
	s_not_b64 s[18:19], s[4:5]
	s_mov_b32 s3, -1
	s_add_nc_u64 s[18:19], s[18:19], s[8:9]
	s_delay_alu instid0(VALU_DEP_1) | instid1(SALU_CYCLE_1)
	v_add_nc_u64_e32 v[4:5], s[18:19], v[4:5]
	s_load_b64 s[18:19], s[0:1], 0x40
	s_wait_xcnt 0x0
	s_mov_b32 s1, exec_lo
	s_delay_alu instid0(VALU_DEP_1) | instskip(SKIP_1) | instid1(VALU_DEP_1)
	v_sub_nc_u64_e32 v[4:5], v[4:5], v[2:3]
	v_mul_u32_u24_e32 v2, 5, v10
	v_lshlrev_b32_e32 v8, 2, v2
	s_delay_alu instid0(VALU_DEP_3)
	v_cmpx_lt_u64_e32 31, v[4:5]
	s_cbranch_execz .LBB121_8
; %bb.5:
	v_lshrrev_b64 v[2:3], 5, v[4:5]
	v_dual_mov_b32 v7, 0 :: v_dual_mov_b32 v16, v12
	v_lshl_add_u64 v[4:5], v[0:1], 2, s[14:15]
	s_mov_b32 s3, s8
	s_mov_b32 s24, s8
	s_delay_alu instid0(VALU_DEP_2) | instskip(NEXT) | instid1(VALU_DEP_4)
	v_add_nc_u64_e32 v[20:21], s[20:21], v[6:7]
	v_add_nc_u64_e32 v[14:15], 1, v[2:3]
	;; [unrolled: 1-line block ×3, first 2 shown]
	v_mov_b32_e32 v9, v7
	v_add_nc_u64_e32 v[22:23], 0x80, v[4:5]
	s_mov_b32 s22, s12
	s_mov_b32 s23, s13
	;; [unrolled: 1-line block ×3, first 2 shown]
	v_dual_mov_b32 v19, v15 :: v_dual_bitop2_b32 v18, -2, v14 bitop3:0x40
	v_mov_b32_e32 v17, v13
	v_mov_b64_e32 v[4:5], v[2:3]
	v_add_nc_u64_e32 v[24:25], s[20:21], v[8:9]
	v_mov_b64_e32 v[2:3], v[0:1]
	v_mov_b64_e32 v[26:27], v[18:19]
	s_mov_b32 s25, 0
.LBB121_6:                              ; =>This Inner Loop Header: Depth=1
	s_delay_alu instid0(VALU_DEP_4) | instskip(SKIP_1) | instid1(VALU_DEP_4)
	v_mad_nc_u64_u32 v[28:29], 0x64, v4, v[20:21]
	v_mul_lo_u32 v7, 0x64, v5
	v_mad_nc_u64_u32 v[30:31], 0x64, v2, v[20:21]
	v_mul_lo_u32 v9, 0x64, v3
	v_mad_nc_u64_u32 v[32:33], 0x64, v4, v[24:25]
	v_mad_nc_u64_u32 v[34:35], 0x64, v2, v[24:25]
	s_clause 0x1
	global_load_b32 v68, v[22:23], off offset:-128
	global_load_b32 v69, v[22:23], off
	v_add_nc_u64_e32 v[26:27], -2, v[26:27]
	s_wait_xcnt 0x0
	v_add_nc_u64_e32 v[22:23], 0x100, v[22:23]
	v_dual_add_nc_u32 v29, v7, v29 :: v_dual_add_nc_u32 v31, v9, v31
	v_dual_add_nc_u32 v33, v7, v33 :: v_dual_add_nc_u32 v35, v9, v35
	s_delay_alu instid0(VALU_DEP_2) | instskip(SKIP_1) | instid1(VALU_DEP_4)
	v_add_nc_u64_e32 v[46:47], 20, v[28:29]
	v_dual_cndmask_b32 v36, v28, v32, vcc_lo :: v_dual_cndmask_b32 v38, v30, v34, vcc_lo
	v_add_nc_u64_e32 v[44:45], 20, v[30:31]
	s_delay_alu instid0(VALU_DEP_4)
	v_add_nc_u64_e32 v[40:41], 4, v[34:35]
	v_add_nc_u64_e32 v[42:43], 4, v[32:33]
	v_dual_cndmask_b32 v37, v29, v33, vcc_lo :: v_dual_cndmask_b32 v39, v31, v35, vcc_lo
	v_add_nc_u64_e32 v[48:49], 8, v[34:35]
	v_add_nc_u64_e32 v[52:53], 40, v[30:31]
	;; [unrolled: 1-line block ×12, first 2 shown]
	global_load_b32 v7, v[38:39], off
	global_load_b32 v9, v[36:37], off
	s_wait_xcnt 0x1
	v_dual_cndmask_b32 v39, v45, v41 :: v_dual_cndmask_b32 v38, v44, v40
	s_wait_xcnt 0x0
	v_dual_cndmask_b32 v37, v47, v43 :: v_dual_cndmask_b32 v36, v46, v42
	v_dual_cndmask_b32 v43, v53, v49 :: v_dual_cndmask_b32 v42, v52, v48
	;; [unrolled: 1-line block ×7, first 2 shown]
	global_load_b32 v70, v[38:39], off
	global_load_b32 v71, v[36:37], off
	;; [unrolled: 1-line block ×8, first 2 shown]
	s_wait_xcnt 0x0
	v_sub_nc_u64_e64 v[28:29], v[2:3], s[12:13]
	v_sub_nc_u64_e64 v[30:31], v[4:5], s[22:23]
	v_cmp_eq_u64_e64 s0, 0, v[26:27]
	v_add_nc_u64_e32 v[4:5], 64, v[4:5]
	v_add_nc_u64_e32 v[2:3], 64, v[2:3]
	v_mad_nc_u64_u32 v[32:33], v28, 5, v[12:13]
	v_mad_nc_u64_u32 v[34:35], v30, 5, v[16:17]
	s_or_b32 s25, s0, s25
	s_delay_alu instid0(VALU_DEP_2) | instskip(NEXT) | instid1(VALU_DEP_2)
	v_mad_u32 v33, v29, 5, v33
	v_mad_u32 v35, v31, 5, v35
	s_delay_alu instid0(VALU_DEP_2) | instskip(NEXT) | instid1(VALU_DEP_2)
	v_lshlrev_b64_e32 v[28:29], 2, v[32:33]
	v_lshlrev_b64_e32 v[30:31], 2, v[34:35]
	s_delay_alu instid0(VALU_DEP_2) | instskip(NEXT) | instid1(VALU_DEP_2)
	v_add_nc_u64_e32 v[40:41], 4, v[28:29]
	v_add_nc_u64_e32 v[42:43], 4, v[30:31]
	s_wait_kmcnt 0x0
	v_add_nc_u64_e32 v[32:33], s[18:19], v[28:29]
	v_add_nc_u64_e32 v[44:45], 8, v[28:29]
	v_add_nc_u64_e32 v[34:35], s[18:19], v[30:31]
	v_add_nc_u64_e32 v[46:47], 8, v[30:31]
	v_add_nc_u64_e32 v[48:49], 12, v[28:29]
	v_add_nc_u64_e32 v[36:37], s[16:17], v[28:29]
	v_add_nc_u64_e32 v[38:39], s[16:17], v[30:31]
	v_add_nc_u64_e32 v[50:51], 12, v[30:31]
	v_add_nc_u64_e32 v[28:29], 16, v[28:29]
	v_add_nc_u64_e32 v[30:31], 16, v[30:31]
	v_add_nc_u64_e32 v[52:53], s[18:19], v[40:41]
	v_add_nc_u64_e32 v[54:55], s[18:19], v[42:43]
	v_add_nc_u64_e32 v[56:57], s[18:19], v[44:45]
	v_add_nc_u64_e32 v[58:59], s[18:19], v[46:47]
	v_add_nc_u64_e32 v[60:61], s[18:19], v[48:49]
	v_add_nc_u64_e32 v[40:41], s[16:17], v[40:41]
	v_add_nc_u64_e32 v[42:43], s[16:17], v[42:43]
	v_add_nc_u64_e32 v[44:45], s[16:17], v[44:45]
	v_add_nc_u64_e32 v[46:47], s[16:17], v[46:47]
	v_add_nc_u64_e32 v[62:63], s[18:19], v[50:51]
	v_add_nc_u64_e32 v[48:49], s[16:17], v[48:49]
	v_add_nc_u64_e32 v[50:51], s[16:17], v[50:51]
	v_add_nc_u64_e32 v[64:65], s[18:19], v[28:29]
	v_add_nc_u64_e32 v[66:67], s[18:19], v[30:31]
	v_add_nc_u64_e32 v[28:29], s[16:17], v[28:29]
	v_add_nc_u64_e32 v[30:31], s[16:17], v[30:31]
	s_wait_loadcnt 0xb
	v_subrev_nc_u32_e32 v68, s3, v68
	s_wait_loadcnt 0xa
	v_subrev_nc_u32_e32 v69, s24, v69
	s_delay_alu instid0(VALU_DEP_2) | instskip(NEXT) | instid1(VALU_DEP_2)
	v_mad_u32 v68, v68, 5, s2
	v_mad_u32 v69, v69, 5, s26
	s_clause 0x1
	global_store_b32 v[32:33], v68, off
	global_store_b32 v[34:35], v69, off
	s_wait_xcnt 0x1
	v_dual_add_nc_u32 v32, 1, v68 :: v_dual_add_nc_u32 v33, 1, v69
	s_wait_xcnt 0x0
	v_dual_add_nc_u32 v34, 2, v68 :: v_dual_add_nc_u32 v35, 2, v69
	v_dual_add_nc_u32 v78, 3, v68 :: v_dual_add_nc_u32 v79, 3, v69
	;; [unrolled: 1-line block ×3, first 2 shown]
	s_wait_loadcnt 0x9
	global_store_b32 v[36:37], v7, off
	s_wait_loadcnt 0x8
	global_store_b32 v[38:39], v9, off
	s_clause 0x7
	global_store_b32 v[52:53], v32, off
	global_store_b32 v[54:55], v33, off
	;; [unrolled: 1-line block ×8, first 2 shown]
	s_wait_loadcnt 0x7
	global_store_b32 v[40:41], v70, off
	s_wait_loadcnt 0x6
	global_store_b32 v[42:43], v71, off
	;; [unrolled: 2-line block ×8, first 2 shown]
	s_wait_xcnt 0x0
	s_and_not1_b32 exec_lo, exec_lo, s25
	s_cbranch_execnz .LBB121_6
; %bb.7:
	s_or_b32 exec_lo, exec_lo, s25
	v_lshlrev_b64_e32 v[2:3], 5, v[18:19]
	v_cmp_ne_u64_e64 s0, v[14:15], v[18:19]
	s_delay_alu instid0(VALU_DEP_2)
	v_add_nc_u64_e32 v[0:1], v[0:1], v[2:3]
	s_or_not1_b32 s3, s0, exec_lo
.LBB121_8:
	s_or_b32 exec_lo, exec_lo, s1
	s_delay_alu instid0(SALU_CYCLE_1)
	s_and_b32 exec_lo, exec_lo, s3
	s_cbranch_execz .LBB121_11
; %bb.9:
	v_mul_u64_e32 v[2:3], s[10:11], v[10:11]
	s_mul_u64 s[0:1], s[4:5], 0x50
	v_mov_b32_e32 v9, 0
	v_lshl_add_u64 v[12:13], v[0:1], 2, s[14:15]
	s_mov_b64 s[4:5], 0
	s_delay_alu instid0(VALU_DEP_2) | instskip(NEXT) | instid1(VALU_DEP_4)
	v_mov_b32_e32 v7, v9
	v_mad_nc_u64_u32 v[4:5], v2, 20, s[0:1]
	s_mul_u64 s[0:1], s[8:9], 0x50
	s_delay_alu instid0(VALU_DEP_1) | instskip(SKIP_1) | instid1(VALU_DEP_2)
	v_mad_u32 v5, v3, 20, v5
	v_mad_nc_u64_u32 v[2:3], 0x64, v0, s[20:21]
	v_mad_nc_u64_u32 v[4:5], v0, 20, v[4:5]
	s_delay_alu instid0(VALU_DEP_2) | instskip(NEXT) | instid1(VALU_DEP_2)
	v_mad_u32 v3, 0x64, v1, v3
	v_mad_u32 v5, v1, 20, v5
	s_delay_alu instid0(VALU_DEP_1) | instskip(SKIP_1) | instid1(VALU_DEP_1)
	v_sub_nc_u64_e64 v[10:11], v[4:5], s[0:1]
	s_mov_b32 s1, 0
	v_add_nc_u64_e32 v[4:5], s[16:17], v[10:11]
	s_wait_kmcnt 0x0
	v_add_nc_u64_e32 v[10:11], s[18:19], v[10:11]
.LBB121_10:                             ; =>This Inner Loop Header: Depth=1
	v_add_nc_u64_e32 v[14:15], v[2:3], v[6:7]
	v_add_nc_u64_e32 v[16:17], v[2:3], v[8:9]
	global_load_b32 v34, v[12:13], off
	v_add_nc_u64_e32 v[0:1], 32, v[0:1]
	v_add_nc_u64_e32 v[2:3], 0xc80, v[2:3]
	s_wait_xcnt 0x0
	v_add_nc_u64_e32 v[12:13], 0x80, v[12:13]
	v_add_nc_u64_e32 v[22:23], 20, v[14:15]
	;; [unrolled: 1-line block ×5, first 2 shown]
	v_dual_cndmask_b32 v19, v15, v17 :: v_dual_cndmask_b32 v18, v14, v16
	v_add_nc_u64_e32 v[28:29], 12, v[16:17]
	v_add_nc_u64_e32 v[30:31], 60, v[14:15]
	;; [unrolled: 1-line block ×4, first 2 shown]
	global_load_b32 v14, v[18:19], off
	s_wait_xcnt 0x0
	v_dual_cndmask_b32 v19, v23, v21 :: v_dual_cndmask_b32 v18, v22, v20
	v_dual_cndmask_b32 v21, v27, v25 :: v_dual_cndmask_b32 v20, v26, v24
	v_dual_cndmask_b32 v23, v31, v29 :: v_dual_cndmask_b32 v22, v30, v28
	v_dual_cndmask_b32 v25, v33, v17 :: v_dual_cndmask_b32 v24, v32, v16
	global_load_b32 v15, v[18:19], off
	global_load_b32 v16, v[20:21], off
	;; [unrolled: 1-line block ×4, first 2 shown]
	v_cmp_le_i64_e64 s0, s[6:7], v[0:1]
	s_wait_xcnt 0x0
	v_add_nc_u64_e32 v[24:25], s[4:5], v[4:5]
	v_add_nc_u64_e32 v[22:23], s[4:5], v[10:11]
	s_add_nc_u64 s[4:5], s[4:5], 0x280
	s_or_b32 s1, s0, s1
	s_wait_loadcnt 0x5
	v_subrev_nc_u32_e32 v17, s8, v34
	s_delay_alu instid0(VALU_DEP_1) | instskip(NEXT) | instid1(VALU_DEP_1)
	v_mad_u32 v18, v17, 5, s2
	v_dual_add_nc_u32 v20, 2, v18 :: v_dual_add_nc_u32 v19, 1, v18
	v_dual_add_nc_u32 v29, 4, v18 :: v_dual_add_nc_u32 v28, 3, v18
	s_wait_loadcnt 0x2
	global_store_b96 v[24:25], v[14:16], off
	s_wait_loadcnt 0x0
	global_store_b64 v[24:25], v[26:27], off offset:12
	s_clause 0x1
	global_store_b96 v[22:23], v[18:20], off
	global_store_b64 v[22:23], v[28:29], off offset:12
	s_wait_xcnt 0x0
	s_and_not1_b32 exec_lo, exec_lo, s1
	s_cbranch_execnz .LBB121_10
.LBB121_11:
	s_sendmsg sendmsg(MSG_DEALLOC_VGPRS)
	s_endpgm
	.section	.rodata,"a",@progbits
	.p2align	6, 0x0
	.amdhsa_kernel _ZN9rocsparseL32bsr2csr_block_per_row_2_7_kernelILj256ELj5EfliEEv20rocsparse_direction_T3_S2_21rocsparse_index_base_PKT1_PKT2_PKS2_S2_S3_PS4_PS7_PS2_
		.amdhsa_group_segment_fixed_size 0
		.amdhsa_private_segment_fixed_size 0
		.amdhsa_kernarg_size 72
		.amdhsa_user_sgpr_count 2
		.amdhsa_user_sgpr_dispatch_ptr 0
		.amdhsa_user_sgpr_queue_ptr 0
		.amdhsa_user_sgpr_kernarg_segment_ptr 1
		.amdhsa_user_sgpr_dispatch_id 0
		.amdhsa_user_sgpr_kernarg_preload_length 0
		.amdhsa_user_sgpr_kernarg_preload_offset 0
		.amdhsa_user_sgpr_private_segment_size 0
		.amdhsa_wavefront_size32 1
		.amdhsa_uses_dynamic_stack 0
		.amdhsa_enable_private_segment 0
		.amdhsa_system_sgpr_workgroup_id_x 1
		.amdhsa_system_sgpr_workgroup_id_y 0
		.amdhsa_system_sgpr_workgroup_id_z 0
		.amdhsa_system_sgpr_workgroup_info 0
		.amdhsa_system_vgpr_workitem_id 0
		.amdhsa_next_free_vgpr 80
		.amdhsa_next_free_sgpr 27
		.amdhsa_named_barrier_count 0
		.amdhsa_reserve_vcc 1
		.amdhsa_float_round_mode_32 0
		.amdhsa_float_round_mode_16_64 0
		.amdhsa_float_denorm_mode_32 3
		.amdhsa_float_denorm_mode_16_64 3
		.amdhsa_fp16_overflow 0
		.amdhsa_memory_ordered 1
		.amdhsa_forward_progress 1
		.amdhsa_inst_pref_size 17
		.amdhsa_round_robin_scheduling 0
		.amdhsa_exception_fp_ieee_invalid_op 0
		.amdhsa_exception_fp_denorm_src 0
		.amdhsa_exception_fp_ieee_div_zero 0
		.amdhsa_exception_fp_ieee_overflow 0
		.amdhsa_exception_fp_ieee_underflow 0
		.amdhsa_exception_fp_ieee_inexact 0
		.amdhsa_exception_int_div_zero 0
	.end_amdhsa_kernel
	.section	.text._ZN9rocsparseL32bsr2csr_block_per_row_2_7_kernelILj256ELj5EfliEEv20rocsparse_direction_T3_S2_21rocsparse_index_base_PKT1_PKT2_PKS2_S2_S3_PS4_PS7_PS2_,"axG",@progbits,_ZN9rocsparseL32bsr2csr_block_per_row_2_7_kernelILj256ELj5EfliEEv20rocsparse_direction_T3_S2_21rocsparse_index_base_PKT1_PKT2_PKS2_S2_S3_PS4_PS7_PS2_,comdat
.Lfunc_end121:
	.size	_ZN9rocsparseL32bsr2csr_block_per_row_2_7_kernelILj256ELj5EfliEEv20rocsparse_direction_T3_S2_21rocsparse_index_base_PKT1_PKT2_PKS2_S2_S3_PS4_PS7_PS2_, .Lfunc_end121-_ZN9rocsparseL32bsr2csr_block_per_row_2_7_kernelILj256ELj5EfliEEv20rocsparse_direction_T3_S2_21rocsparse_index_base_PKT1_PKT2_PKS2_S2_S3_PS4_PS7_PS2_
                                        ; -- End function
	.set _ZN9rocsparseL32bsr2csr_block_per_row_2_7_kernelILj256ELj5EfliEEv20rocsparse_direction_T3_S2_21rocsparse_index_base_PKT1_PKT2_PKS2_S2_S3_PS4_PS7_PS2_.num_vgpr, 80
	.set _ZN9rocsparseL32bsr2csr_block_per_row_2_7_kernelILj256ELj5EfliEEv20rocsparse_direction_T3_S2_21rocsparse_index_base_PKT1_PKT2_PKS2_S2_S3_PS4_PS7_PS2_.num_agpr, 0
	.set _ZN9rocsparseL32bsr2csr_block_per_row_2_7_kernelILj256ELj5EfliEEv20rocsparse_direction_T3_S2_21rocsparse_index_base_PKT1_PKT2_PKS2_S2_S3_PS4_PS7_PS2_.numbered_sgpr, 27
	.set _ZN9rocsparseL32bsr2csr_block_per_row_2_7_kernelILj256ELj5EfliEEv20rocsparse_direction_T3_S2_21rocsparse_index_base_PKT1_PKT2_PKS2_S2_S3_PS4_PS7_PS2_.num_named_barrier, 0
	.set _ZN9rocsparseL32bsr2csr_block_per_row_2_7_kernelILj256ELj5EfliEEv20rocsparse_direction_T3_S2_21rocsparse_index_base_PKT1_PKT2_PKS2_S2_S3_PS4_PS7_PS2_.private_seg_size, 0
	.set _ZN9rocsparseL32bsr2csr_block_per_row_2_7_kernelILj256ELj5EfliEEv20rocsparse_direction_T3_S2_21rocsparse_index_base_PKT1_PKT2_PKS2_S2_S3_PS4_PS7_PS2_.uses_vcc, 1
	.set _ZN9rocsparseL32bsr2csr_block_per_row_2_7_kernelILj256ELj5EfliEEv20rocsparse_direction_T3_S2_21rocsparse_index_base_PKT1_PKT2_PKS2_S2_S3_PS4_PS7_PS2_.uses_flat_scratch, 0
	.set _ZN9rocsparseL32bsr2csr_block_per_row_2_7_kernelILj256ELj5EfliEEv20rocsparse_direction_T3_S2_21rocsparse_index_base_PKT1_PKT2_PKS2_S2_S3_PS4_PS7_PS2_.has_dyn_sized_stack, 0
	.set _ZN9rocsparseL32bsr2csr_block_per_row_2_7_kernelILj256ELj5EfliEEv20rocsparse_direction_T3_S2_21rocsparse_index_base_PKT1_PKT2_PKS2_S2_S3_PS4_PS7_PS2_.has_recursion, 0
	.set _ZN9rocsparseL32bsr2csr_block_per_row_2_7_kernelILj256ELj5EfliEEv20rocsparse_direction_T3_S2_21rocsparse_index_base_PKT1_PKT2_PKS2_S2_S3_PS4_PS7_PS2_.has_indirect_call, 0
	.section	.AMDGPU.csdata,"",@progbits
; Kernel info:
; codeLenInByte = 2108
; TotalNumSgprs: 29
; NumVgprs: 80
; ScratchSize: 0
; MemoryBound: 0
; FloatMode: 240
; IeeeMode: 1
; LDSByteSize: 0 bytes/workgroup (compile time only)
; SGPRBlocks: 0
; VGPRBlocks: 4
; NumSGPRsForWavesPerEU: 29
; NumVGPRsForWavesPerEU: 80
; NamedBarCnt: 0
; Occupancy: 12
; WaveLimiterHint : 1
; COMPUTE_PGM_RSRC2:SCRATCH_EN: 0
; COMPUTE_PGM_RSRC2:USER_SGPR: 2
; COMPUTE_PGM_RSRC2:TRAP_HANDLER: 0
; COMPUTE_PGM_RSRC2:TGID_X_EN: 1
; COMPUTE_PGM_RSRC2:TGID_Y_EN: 0
; COMPUTE_PGM_RSRC2:TGID_Z_EN: 0
; COMPUTE_PGM_RSRC2:TIDIG_COMP_CNT: 0
	.section	.text._ZN9rocsparseL32bsr2csr_block_per_row_2_7_kernelILj256ELj6EfliEEv20rocsparse_direction_T3_S2_21rocsparse_index_base_PKT1_PKT2_PKS2_S2_S3_PS4_PS7_PS2_,"axG",@progbits,_ZN9rocsparseL32bsr2csr_block_per_row_2_7_kernelILj256ELj6EfliEEv20rocsparse_direction_T3_S2_21rocsparse_index_base_PKT1_PKT2_PKS2_S2_S3_PS4_PS7_PS2_,comdat
	.globl	_ZN9rocsparseL32bsr2csr_block_per_row_2_7_kernelILj256ELj6EfliEEv20rocsparse_direction_T3_S2_21rocsparse_index_base_PKT1_PKT2_PKS2_S2_S3_PS4_PS7_PS2_ ; -- Begin function _ZN9rocsparseL32bsr2csr_block_per_row_2_7_kernelILj256ELj6EfliEEv20rocsparse_direction_T3_S2_21rocsparse_index_base_PKT1_PKT2_PKS2_S2_S3_PS4_PS7_PS2_
	.p2align	8
	.type	_ZN9rocsparseL32bsr2csr_block_per_row_2_7_kernelILj256ELj6EfliEEv20rocsparse_direction_T3_S2_21rocsparse_index_base_PKT1_PKT2_PKS2_S2_S3_PS4_PS7_PS2_,@function
_ZN9rocsparseL32bsr2csr_block_per_row_2_7_kernelILj256ELj6EfliEEv20rocsparse_direction_T3_S2_21rocsparse_index_base_PKT1_PKT2_PKS2_S2_S3_PS4_PS7_PS2_: ; @_ZN9rocsparseL32bsr2csr_block_per_row_2_7_kernelILj256ELj6EfliEEv20rocsparse_direction_T3_S2_21rocsparse_index_base_PKT1_PKT2_PKS2_S2_S3_PS4_PS7_PS2_
; %bb.0:
	s_clause 0x1
	s_load_b32 s2, s[0:1], 0x2c
	s_load_b64 s[14:15], s[0:1], 0x38
	s_bfe_u32 s3, ttmp6, 0x4000c
	s_and_b32 s4, ttmp6, 15
	s_add_co_i32 s3, s3, 1
	s_getreg_b32 s5, hwreg(HW_REG_IB_STS2, 6, 4)
	s_mul_i32 s3, ttmp9, s3
	s_delay_alu instid0(SALU_CYCLE_1) | instskip(SKIP_3) | instid1(SALU_CYCLE_1)
	s_add_co_i32 s4, s4, s3
	s_cmp_eq_u32 s5, 0
	s_mov_b32 s3, exec_lo
	s_cselect_b32 s16, ttmp9, s4
	v_or_b32_e32 v1, s16, v0
	s_delay_alu instid0(VALU_DEP_1)
	v_cmpx_eq_u32_e32 0, v1
	s_cbranch_execz .LBB122_2
; %bb.1:
	s_wait_kmcnt 0x0
	v_dual_mov_b32 v2, s2 :: v_dual_mov_b32 v3, 0
	global_store_b64 v3, v[2:3], s[14:15]
.LBB122_2:
	s_wait_xcnt 0x0
	s_or_b32 exec_lo, exec_lo, s3
	v_and_b32_e32 v10, 7, v0
	s_mov_b32 s3, exec_lo
	s_delay_alu instid0(VALU_DEP_1)
	v_cmpx_gt_u32_e32 6, v10
	s_cbranch_execz .LBB122_11
; %bb.3:
	s_clause 0x1
	s_load_b64 s[4:5], s[0:1], 0x18
	s_load_b32 s8, s[0:1], 0xc
	s_ashr_i32 s17, s16, 31
	s_mov_b32 s9, 0
	s_lshl_b64 s[6:7], s[16:17], 3
	v_dual_mov_b32 v3, 0 :: v_dual_lshrrev_b32 v2, 3, v0
	s_mov_b32 s3, s9
	s_wait_kmcnt 0x0
	s_add_nc_u64 s[10:11], s[4:5], s[6:7]
	s_load_b128 s[4:7], s[10:11], 0x0
	s_wait_kmcnt 0x0
	s_sub_nc_u64 s[12:13], s[4:5], s[8:9]
	s_sub_nc_u64 s[6:7], s[6:7], s[8:9]
	s_mul_u64 s[18:19], s[12:13], 36
	s_sub_nc_u64 s[10:11], s[6:7], s[12:13]
	v_add_nc_u64_e32 v[0:1], s[12:13], v[2:3]
	s_mul_u64 s[20:21], s[10:11], 6
	s_delay_alu instid0(SALU_CYCLE_1) | instskip(SKIP_2) | instid1(VALU_DEP_2)
	v_mad_nc_u64_u32 v[12:13], s20, v10, s[18:19]
	s_add_nc_u64 s[18:19], s[20:21], s[2:3]
	s_mul_i32 s3, s16, 6
	v_cmp_gt_i64_e32 vcc_lo, s[6:7], v[0:1]
	v_add3_u32 v6, v10, s3, 1
	s_delay_alu instid0(VALU_DEP_3) | instskip(NEXT) | instid1(VALU_DEP_1)
	v_mad_u32 v13, s21, v10, v13
	v_add_nc_u64_e32 v[4:5], s[18:19], v[12:13]
	global_store_b64 v6, v[4:5], s[14:15] scale_offset
	s_wait_xcnt 0x0
	s_and_b32 exec_lo, exec_lo, vcc_lo
	s_cbranch_execz .LBB122_11
; %bb.4:
	v_add_nc_u64_e32 v[4:5], s[4:5], v[2:3]
	s_clause 0x3
	s_load_b64 s[14:15], s[0:1], 0x20
	s_load_b64 s[16:17], s[0:1], 0x30
	s_load_b32 s3, s[0:1], 0x0
	s_load_b64 s[20:21], s[0:1], 0x10
	v_dual_mov_b32 v11, v3 :: v_dual_lshlrev_b32 v6, 2, v10
	v_sub_nc_u64_e64 v[4:5], v[4:5], s[8:9]
	s_delay_alu instid0(VALU_DEP_1) | instskip(SKIP_2) | instid1(VALU_DEP_1)
	v_add_nc_u64_e32 v[4:5], 32, v[4:5]
	s_wait_kmcnt 0x0
	s_cmp_eq_u32 s3, 0
	v_max_i64 v[4:5], v[4:5], s[6:7]
	s_cselect_b32 vcc_lo, -1, 0
	s_not_b64 s[18:19], s[4:5]
	s_mov_b32 s3, -1
	s_add_nc_u64 s[18:19], s[18:19], s[8:9]
	s_delay_alu instid0(VALU_DEP_1) | instid1(SALU_CYCLE_1)
	v_add_nc_u64_e32 v[4:5], s[18:19], v[4:5]
	s_load_b64 s[18:19], s[0:1], 0x40
	s_wait_xcnt 0x0
	s_mov_b32 s1, exec_lo
	s_delay_alu instid0(VALU_DEP_1) | instskip(SKIP_1) | instid1(VALU_DEP_1)
	v_sub_nc_u64_e32 v[4:5], v[4:5], v[2:3]
	v_mul_u32_u24_e32 v2, 6, v10
	v_lshlrev_b32_e32 v8, 2, v2
	s_delay_alu instid0(VALU_DEP_3)
	v_cmpx_lt_u64_e32 31, v[4:5]
	s_cbranch_execz .LBB122_8
; %bb.5:
	v_lshrrev_b64 v[2:3], 5, v[4:5]
	v_dual_mov_b32 v7, 0 :: v_dual_mov_b32 v16, v12
	v_lshl_add_u64 v[4:5], v[0:1], 2, s[14:15]
	s_mov_b32 s3, s8
	s_mov_b32 s24, s8
	s_delay_alu instid0(VALU_DEP_2) | instskip(NEXT) | instid1(VALU_DEP_4)
	v_add_nc_u64_e32 v[20:21], s[20:21], v[6:7]
	v_add_nc_u64_e32 v[14:15], 1, v[2:3]
	;; [unrolled: 1-line block ×3, first 2 shown]
	v_mov_b32_e32 v9, v7
	v_add_nc_u64_e32 v[22:23], 0x80, v[4:5]
	s_mov_b32 s22, s12
	s_mov_b32 s23, s13
	;; [unrolled: 1-line block ×3, first 2 shown]
	v_dual_mov_b32 v19, v15 :: v_dual_bitop2_b32 v18, -2, v14 bitop3:0x40
	v_mov_b32_e32 v17, v13
	v_mov_b64_e32 v[4:5], v[2:3]
	v_add_nc_u64_e32 v[24:25], s[20:21], v[8:9]
	v_mov_b64_e32 v[2:3], v[0:1]
	v_mov_b64_e32 v[26:27], v[18:19]
	s_mov_b32 s25, 0
.LBB122_6:                              ; =>This Inner Loop Header: Depth=1
	s_clause 0x1
	global_load_b32 v74, v[22:23], off offset:-128
	global_load_b32 v75, v[22:23], off
	v_mad_nc_u64_u32 v[28:29], 0x90, v4, v[20:21]
	v_mul_lo_u32 v7, 0x90, v5
	v_mad_nc_u64_u32 v[30:31], 0x90, v2, v[20:21]
	v_mul_lo_u32 v9, 0x90, v3
	v_mad_nc_u64_u32 v[32:33], 0x90, v4, v[24:25]
	v_mad_nc_u64_u32 v[34:35], 0x90, v2, v[24:25]
	v_add_nc_u64_e32 v[26:27], -2, v[26:27]
	s_wait_xcnt 0x0
	v_add_nc_u64_e32 v[22:23], 0x100, v[22:23]
	v_add_nc_u32_e32 v29, v7, v29
	s_delay_alu instid0(VALU_DEP_3) | instskip(SKIP_2) | instid1(VALU_DEP_4)
	v_cmp_eq_u64_e64 s0, 0, v[26:27]
	v_dual_add_nc_u32 v31, v9, v31 :: v_dual_add_nc_u32 v33, v7, v33
	v_add_nc_u32_e32 v35, v9, v35
	v_add_nc_u64_e32 v[46:47], 24, v[28:29]
	v_dual_cndmask_b32 v36, v28, v32, vcc_lo :: v_dual_cndmask_b32 v38, v30, v34, vcc_lo
	s_delay_alu instid0(VALU_DEP_4) | instskip(NEXT) | instid1(VALU_DEP_4)
	v_add_nc_u64_e32 v[44:45], 24, v[30:31]
	v_add_nc_u64_e32 v[40:41], 4, v[34:35]
	;; [unrolled: 1-line block ×3, first 2 shown]
	v_dual_cndmask_b32 v37, v29, v33, vcc_lo :: v_dual_cndmask_b32 v39, v31, v35, vcc_lo
	v_add_nc_u64_e32 v[48:49], 8, v[34:35]
	v_add_nc_u64_e32 v[52:53], 48, v[30:31]
	;; [unrolled: 1-line block ×16, first 2 shown]
	global_load_b32 v7, v[38:39], off
	global_load_b32 v9, v[36:37], off
	s_wait_xcnt 0x1
	v_dual_cndmask_b32 v39, v45, v41 :: v_dual_cndmask_b32 v38, v44, v40
	s_wait_xcnt 0x0
	v_dual_cndmask_b32 v37, v47, v43 :: v_dual_cndmask_b32 v36, v46, v42
	v_dual_cndmask_b32 v43, v53, v49 :: v_dual_cndmask_b32 v42, v52, v48
	;; [unrolled: 1-line block ×9, first 2 shown]
	global_load_b32 v76, v[38:39], off
	global_load_b32 v77, v[36:37], off
	;; [unrolled: 1-line block ×10, first 2 shown]
	s_wait_xcnt 0x0
	v_sub_nc_u64_e64 v[28:29], v[2:3], s[12:13]
	v_sub_nc_u64_e64 v[30:31], v[4:5], s[22:23]
	v_add_nc_u64_e32 v[4:5], 64, v[4:5]
	v_add_nc_u64_e32 v[2:3], 64, v[2:3]
	s_or_b32 s25, s0, s25
	s_delay_alu instid0(VALU_DEP_4) | instskip(NEXT) | instid1(VALU_DEP_4)
	v_mad_nc_u64_u32 v[32:33], v28, 6, v[12:13]
	v_mad_nc_u64_u32 v[34:35], v30, 6, v[16:17]
	s_delay_alu instid0(VALU_DEP_2) | instskip(NEXT) | instid1(VALU_DEP_2)
	v_mad_u32 v33, v29, 6, v33
	v_mad_u32 v35, v31, 6, v35
	s_delay_alu instid0(VALU_DEP_2) | instskip(NEXT) | instid1(VALU_DEP_2)
	v_lshlrev_b64_e32 v[28:29], 2, v[32:33]
	v_lshlrev_b64_e32 v[30:31], 2, v[34:35]
	s_wait_kmcnt 0x0
	s_delay_alu instid0(VALU_DEP_2) | instskip(NEXT) | instid1(VALU_DEP_2)
	v_add_nc_u64_e32 v[38:39], s[18:19], v[28:29]
	v_add_nc_u64_e32 v[40:41], s[18:19], v[30:31]
	;; [unrolled: 1-line block ×26, first 2 shown]
	s_wait_loadcnt 0xd
	v_subrev_nc_u32_e32 v74, s3, v74
	s_wait_loadcnt 0xc
	v_subrev_nc_u32_e32 v75, s24, v75
	s_delay_alu instid0(VALU_DEP_2) | instskip(NEXT) | instid1(VALU_DEP_2)
	v_mad_u32 v74, v74, 6, s2
	v_mad_u32 v75, v75, 6, s26
	v_or_b32_e32 v32, 1, v32
	v_or_b32_e32 v34, 1, v34
	s_clause 0x1
	global_store_b32 v[38:39], v74, off
	global_store_b32 v[40:41], v75, off
	s_wait_xcnt 0x0
	v_add_nc_u32_e32 v40, 1, v74
	v_lshlrev_b64_e32 v[32:33], 2, v[32:33]
	v_add_nc_u32_e32 v41, 1, v75
	v_lshlrev_b64_e32 v[34:35], 2, v[34:35]
	v_add_nc_u64_e32 v[38:39], s[18:19], v[30:31]
	v_add_nc_u64_e32 v[30:31], s[16:17], v[30:31]
	;; [unrolled: 1-line block ×6, first 2 shown]
	s_wait_loadcnt 0xb
	global_store_b32 v[36:37], v7, off
	s_wait_xcnt 0x0
	v_dual_add_nc_u32 v7, 2, v74 :: v_dual_add_nc_u32 v36, 2, v75
	v_add_nc_u32_e32 v37, 3, v74
	s_wait_loadcnt 0xa
	global_store_b32 v[42:43], v9, off
	s_wait_xcnt 0x0
	v_dual_add_nc_u32 v9, 3, v75 :: v_dual_add_nc_u32 v42, 4, v74
	v_dual_add_nc_u32 v43, 4, v75 :: v_dual_add_nc_u32 v74, 5, v74
	v_add_nc_u32_e32 v75, 5, v75
	s_clause 0x9
	global_store_b32 v[56:57], v40, off
	global_store_b32 v[58:59], v41, off
	global_store_b32 v[60:61], v7, off
	global_store_b32 v[62:63], v36, off
	global_store_b32 v[64:65], v37, off
	global_store_b32 v[66:67], v9, off
	global_store_b32 v[68:69], v42, off
	global_store_b32 v[70:71], v43, off
	global_store_b32 v[72:73], v74, off
	global_store_b32 v[38:39], v75, off
	s_wait_loadcnt 0x9
	global_store_b32 v[32:33], v76, off
	s_wait_loadcnt 0x8
	global_store_b32 v[34:35], v77, off
	s_wait_loadcnt 0x7
	global_store_b32 v[44:45], v78, off
	s_wait_loadcnt 0x6
	global_store_b32 v[46:47], v79, off
	s_wait_loadcnt 0x5
	global_store_b32 v[48:49], v80, off
	s_wait_loadcnt 0x4
	global_store_b32 v[50:51], v81, off
	s_wait_loadcnt 0x3
	global_store_b32 v[52:53], v82, off
	s_wait_loadcnt 0x2
	global_store_b32 v[54:55], v83, off
	s_wait_loadcnt 0x1
	global_store_b32 v[28:29], v84, off
	s_wait_loadcnt 0x0
	global_store_b32 v[30:31], v85, off
	s_wait_xcnt 0x0
	s_and_not1_b32 exec_lo, exec_lo, s25
	s_cbranch_execnz .LBB122_6
; %bb.7:
	s_or_b32 exec_lo, exec_lo, s25
	v_lshlrev_b64_e32 v[2:3], 5, v[18:19]
	v_cmp_ne_u64_e64 s0, v[14:15], v[18:19]
	s_delay_alu instid0(VALU_DEP_2)
	v_add_nc_u64_e32 v[0:1], v[0:1], v[2:3]
	s_or_not1_b32 s3, s0, exec_lo
.LBB122_8:
	s_or_b32 exec_lo, exec_lo, s1
	s_delay_alu instid0(SALU_CYCLE_1)
	s_and_b32 exec_lo, exec_lo, s3
	s_cbranch_execz .LBB122_11
; %bb.9:
	v_mul_u64_e32 v[2:3], s[10:11], v[10:11]
	s_mul_u64 s[0:1], s[4:5], 0x78
	v_mov_b32_e32 v7, 0
	v_lshl_add_u64 v[12:13], v[0:1], 2, s[14:15]
	s_mov_b64 s[4:5], 0
	s_delay_alu instid0(VALU_DEP_2) | instskip(NEXT) | instid1(VALU_DEP_4)
	v_mov_b32_e32 v9, v7
	v_mad_nc_u64_u32 v[4:5], v2, 24, s[0:1]
	s_mul_u64 s[0:1], s[8:9], 0x78
	s_delay_alu instid0(VALU_DEP_1) | instskip(SKIP_1) | instid1(VALU_DEP_2)
	v_mad_u32 v5, v3, 24, v5
	v_mad_nc_u64_u32 v[2:3], 0x90, v0, s[20:21]
	v_mad_nc_u64_u32 v[4:5], v0, 24, v[4:5]
	s_delay_alu instid0(VALU_DEP_2) | instskip(NEXT) | instid1(VALU_DEP_2)
	v_mad_u32 v3, 0x90, v1, v3
	v_mad_u32 v5, v1, 24, v5
	s_delay_alu instid0(VALU_DEP_1) | instskip(SKIP_1) | instid1(VALU_DEP_1)
	v_sub_nc_u64_e64 v[10:11], v[4:5], s[0:1]
	s_mov_b32 s1, 0
	v_add_nc_u64_e32 v[4:5], s[16:17], v[10:11]
	s_wait_kmcnt 0x0
	v_add_nc_u64_e32 v[10:11], s[18:19], v[10:11]
.LBB122_10:                             ; =>This Inner Loop Header: Depth=1
	v_add_nc_u64_e32 v[14:15], v[2:3], v[6:7]
	v_add_nc_u64_e32 v[16:17], v[2:3], v[8:9]
	global_load_b32 v38, v[12:13], off
	v_add_nc_u64_e32 v[0:1], 32, v[0:1]
	s_wait_xcnt 0x0
	v_add_nc_u64_e32 v[12:13], 0x80, v[12:13]
	v_add_nc_u64_e32 v[2:3], 0x1200, v[2:3]
	;; [unrolled: 1-line block ×10, first 2 shown]
	v_dual_cndmask_b32 v19, v15, v17 :: v_dual_cndmask_b32 v18, v14, v16
	v_add_nc_u64_e32 v[16:17], 20, v[16:17]
	v_add_nc_u64_e32 v[36:37], 0x78, v[14:15]
	v_dual_cndmask_b32 v23, v23, v21 :: v_dual_cndmask_b32 v22, v22, v20
	v_dual_cndmask_b32 v25, v27, v25 :: v_dual_cndmask_b32 v24, v26, v24
	;; [unrolled: 1-line block ×5, first 2 shown]
	global_load_b32 v14, v[18:19], off
	global_load_b32 v15, v[22:23], off
	;; [unrolled: 1-line block ×6, first 2 shown]
	v_cmp_le_i64_e64 s0, s[6:7], v[0:1]
	v_add_nc_u64_e32 v[32:33], s[4:5], v[4:5]
	s_wait_xcnt 0x0
	v_add_nc_u64_e32 v[30:31], s[4:5], v[10:11]
	s_add_nc_u64 s[4:5], s[4:5], 0x300
	s_or_b32 s1, s0, s1
	s_wait_loadcnt 0x6
	v_subrev_nc_u32_e32 v17, s8, v38
	s_delay_alu instid0(VALU_DEP_1) | instskip(NEXT) | instid1(VALU_DEP_1)
	v_mad_u32 v22, v17, 6, s2
	v_dual_add_nc_u32 v24, 2, v22 :: v_dual_add_nc_u32 v23, 1, v22
	v_dual_add_nc_u32 v27, 4, v22 :: v_dual_add_nc_u32 v26, 3, v22
	v_add_nc_u32_e32 v28, 5, v22
	s_wait_loadcnt 0x3
	global_store_b96 v[32:33], v[14:16], off
	s_wait_loadcnt 0x0
	global_store_b96 v[32:33], v[18:20], off offset:12
	s_clause 0x1
	global_store_b96 v[30:31], v[22:24], off
	global_store_b96 v[30:31], v[26:28], off offset:12
	s_wait_xcnt 0x0
	s_and_not1_b32 exec_lo, exec_lo, s1
	s_cbranch_execnz .LBB122_10
.LBB122_11:
	s_sendmsg sendmsg(MSG_DEALLOC_VGPRS)
	s_endpgm
	.section	.rodata,"a",@progbits
	.p2align	6, 0x0
	.amdhsa_kernel _ZN9rocsparseL32bsr2csr_block_per_row_2_7_kernelILj256ELj6EfliEEv20rocsparse_direction_T3_S2_21rocsparse_index_base_PKT1_PKT2_PKS2_S2_S3_PS4_PS7_PS2_
		.amdhsa_group_segment_fixed_size 0
		.amdhsa_private_segment_fixed_size 0
		.amdhsa_kernarg_size 72
		.amdhsa_user_sgpr_count 2
		.amdhsa_user_sgpr_dispatch_ptr 0
		.amdhsa_user_sgpr_queue_ptr 0
		.amdhsa_user_sgpr_kernarg_segment_ptr 1
		.amdhsa_user_sgpr_dispatch_id 0
		.amdhsa_user_sgpr_kernarg_preload_length 0
		.amdhsa_user_sgpr_kernarg_preload_offset 0
		.amdhsa_user_sgpr_private_segment_size 0
		.amdhsa_wavefront_size32 1
		.amdhsa_uses_dynamic_stack 0
		.amdhsa_enable_private_segment 0
		.amdhsa_system_sgpr_workgroup_id_x 1
		.amdhsa_system_sgpr_workgroup_id_y 0
		.amdhsa_system_sgpr_workgroup_id_z 0
		.amdhsa_system_sgpr_workgroup_info 0
		.amdhsa_system_vgpr_workitem_id 0
		.amdhsa_next_free_vgpr 86
		.amdhsa_next_free_sgpr 27
		.amdhsa_named_barrier_count 0
		.amdhsa_reserve_vcc 1
		.amdhsa_float_round_mode_32 0
		.amdhsa_float_round_mode_16_64 0
		.amdhsa_float_denorm_mode_32 3
		.amdhsa_float_denorm_mode_16_64 3
		.amdhsa_fp16_overflow 0
		.amdhsa_memory_ordered 1
		.amdhsa_forward_progress 1
		.amdhsa_inst_pref_size 19
		.amdhsa_round_robin_scheduling 0
		.amdhsa_exception_fp_ieee_invalid_op 0
		.amdhsa_exception_fp_denorm_src 0
		.amdhsa_exception_fp_ieee_div_zero 0
		.amdhsa_exception_fp_ieee_overflow 0
		.amdhsa_exception_fp_ieee_underflow 0
		.amdhsa_exception_fp_ieee_inexact 0
		.amdhsa_exception_int_div_zero 0
	.end_amdhsa_kernel
	.section	.text._ZN9rocsparseL32bsr2csr_block_per_row_2_7_kernelILj256ELj6EfliEEv20rocsparse_direction_T3_S2_21rocsparse_index_base_PKT1_PKT2_PKS2_S2_S3_PS4_PS7_PS2_,"axG",@progbits,_ZN9rocsparseL32bsr2csr_block_per_row_2_7_kernelILj256ELj6EfliEEv20rocsparse_direction_T3_S2_21rocsparse_index_base_PKT1_PKT2_PKS2_S2_S3_PS4_PS7_PS2_,comdat
.Lfunc_end122:
	.size	_ZN9rocsparseL32bsr2csr_block_per_row_2_7_kernelILj256ELj6EfliEEv20rocsparse_direction_T3_S2_21rocsparse_index_base_PKT1_PKT2_PKS2_S2_S3_PS4_PS7_PS2_, .Lfunc_end122-_ZN9rocsparseL32bsr2csr_block_per_row_2_7_kernelILj256ELj6EfliEEv20rocsparse_direction_T3_S2_21rocsparse_index_base_PKT1_PKT2_PKS2_S2_S3_PS4_PS7_PS2_
                                        ; -- End function
	.set _ZN9rocsparseL32bsr2csr_block_per_row_2_7_kernelILj256ELj6EfliEEv20rocsparse_direction_T3_S2_21rocsparse_index_base_PKT1_PKT2_PKS2_S2_S3_PS4_PS7_PS2_.num_vgpr, 86
	.set _ZN9rocsparseL32bsr2csr_block_per_row_2_7_kernelILj256ELj6EfliEEv20rocsparse_direction_T3_S2_21rocsparse_index_base_PKT1_PKT2_PKS2_S2_S3_PS4_PS7_PS2_.num_agpr, 0
	.set _ZN9rocsparseL32bsr2csr_block_per_row_2_7_kernelILj256ELj6EfliEEv20rocsparse_direction_T3_S2_21rocsparse_index_base_PKT1_PKT2_PKS2_S2_S3_PS4_PS7_PS2_.numbered_sgpr, 27
	.set _ZN9rocsparseL32bsr2csr_block_per_row_2_7_kernelILj256ELj6EfliEEv20rocsparse_direction_T3_S2_21rocsparse_index_base_PKT1_PKT2_PKS2_S2_S3_PS4_PS7_PS2_.num_named_barrier, 0
	.set _ZN9rocsparseL32bsr2csr_block_per_row_2_7_kernelILj256ELj6EfliEEv20rocsparse_direction_T3_S2_21rocsparse_index_base_PKT1_PKT2_PKS2_S2_S3_PS4_PS7_PS2_.private_seg_size, 0
	.set _ZN9rocsparseL32bsr2csr_block_per_row_2_7_kernelILj256ELj6EfliEEv20rocsparse_direction_T3_S2_21rocsparse_index_base_PKT1_PKT2_PKS2_S2_S3_PS4_PS7_PS2_.uses_vcc, 1
	.set _ZN9rocsparseL32bsr2csr_block_per_row_2_7_kernelILj256ELj6EfliEEv20rocsparse_direction_T3_S2_21rocsparse_index_base_PKT1_PKT2_PKS2_S2_S3_PS4_PS7_PS2_.uses_flat_scratch, 0
	.set _ZN9rocsparseL32bsr2csr_block_per_row_2_7_kernelILj256ELj6EfliEEv20rocsparse_direction_T3_S2_21rocsparse_index_base_PKT1_PKT2_PKS2_S2_S3_PS4_PS7_PS2_.has_dyn_sized_stack, 0
	.set _ZN9rocsparseL32bsr2csr_block_per_row_2_7_kernelILj256ELj6EfliEEv20rocsparse_direction_T3_S2_21rocsparse_index_base_PKT1_PKT2_PKS2_S2_S3_PS4_PS7_PS2_.has_recursion, 0
	.set _ZN9rocsparseL32bsr2csr_block_per_row_2_7_kernelILj256ELj6EfliEEv20rocsparse_direction_T3_S2_21rocsparse_index_base_PKT1_PKT2_PKS2_S2_S3_PS4_PS7_PS2_.has_indirect_call, 0
	.section	.AMDGPU.csdata,"",@progbits
; Kernel info:
; codeLenInByte = 2308
; TotalNumSgprs: 29
; NumVgprs: 86
; ScratchSize: 0
; MemoryBound: 0
; FloatMode: 240
; IeeeMode: 1
; LDSByteSize: 0 bytes/workgroup (compile time only)
; SGPRBlocks: 0
; VGPRBlocks: 5
; NumSGPRsForWavesPerEU: 29
; NumVGPRsForWavesPerEU: 86
; NamedBarCnt: 0
; Occupancy: 10
; WaveLimiterHint : 1
; COMPUTE_PGM_RSRC2:SCRATCH_EN: 0
; COMPUTE_PGM_RSRC2:USER_SGPR: 2
; COMPUTE_PGM_RSRC2:TRAP_HANDLER: 0
; COMPUTE_PGM_RSRC2:TGID_X_EN: 1
; COMPUTE_PGM_RSRC2:TGID_Y_EN: 0
; COMPUTE_PGM_RSRC2:TGID_Z_EN: 0
; COMPUTE_PGM_RSRC2:TIDIG_COMP_CNT: 0
	.section	.text._ZN9rocsparseL32bsr2csr_block_per_row_2_7_kernelILj256ELj7EfliEEv20rocsparse_direction_T3_S2_21rocsparse_index_base_PKT1_PKT2_PKS2_S2_S3_PS4_PS7_PS2_,"axG",@progbits,_ZN9rocsparseL32bsr2csr_block_per_row_2_7_kernelILj256ELj7EfliEEv20rocsparse_direction_T3_S2_21rocsparse_index_base_PKT1_PKT2_PKS2_S2_S3_PS4_PS7_PS2_,comdat
	.globl	_ZN9rocsparseL32bsr2csr_block_per_row_2_7_kernelILj256ELj7EfliEEv20rocsparse_direction_T3_S2_21rocsparse_index_base_PKT1_PKT2_PKS2_S2_S3_PS4_PS7_PS2_ ; -- Begin function _ZN9rocsparseL32bsr2csr_block_per_row_2_7_kernelILj256ELj7EfliEEv20rocsparse_direction_T3_S2_21rocsparse_index_base_PKT1_PKT2_PKS2_S2_S3_PS4_PS7_PS2_
	.p2align	8
	.type	_ZN9rocsparseL32bsr2csr_block_per_row_2_7_kernelILj256ELj7EfliEEv20rocsparse_direction_T3_S2_21rocsparse_index_base_PKT1_PKT2_PKS2_S2_S3_PS4_PS7_PS2_,@function
_ZN9rocsparseL32bsr2csr_block_per_row_2_7_kernelILj256ELj7EfliEEv20rocsparse_direction_T3_S2_21rocsparse_index_base_PKT1_PKT2_PKS2_S2_S3_PS4_PS7_PS2_: ; @_ZN9rocsparseL32bsr2csr_block_per_row_2_7_kernelILj256ELj7EfliEEv20rocsparse_direction_T3_S2_21rocsparse_index_base_PKT1_PKT2_PKS2_S2_S3_PS4_PS7_PS2_
; %bb.0:
	s_clause 0x1
	s_load_b32 s2, s[0:1], 0x2c
	s_load_b64 s[14:15], s[0:1], 0x38
	s_bfe_u32 s3, ttmp6, 0x4000c
	s_and_b32 s4, ttmp6, 15
	s_add_co_i32 s3, s3, 1
	s_getreg_b32 s5, hwreg(HW_REG_IB_STS2, 6, 4)
	s_mul_i32 s3, ttmp9, s3
	s_delay_alu instid0(SALU_CYCLE_1) | instskip(SKIP_3) | instid1(SALU_CYCLE_1)
	s_add_co_i32 s4, s4, s3
	s_cmp_eq_u32 s5, 0
	s_mov_b32 s3, exec_lo
	s_cselect_b32 s16, ttmp9, s4
	v_or_b32_e32 v1, s16, v0
	s_delay_alu instid0(VALU_DEP_1)
	v_cmpx_eq_u32_e32 0, v1
	s_cbranch_execz .LBB123_2
; %bb.1:
	s_wait_kmcnt 0x0
	v_dual_mov_b32 v2, s2 :: v_dual_mov_b32 v3, 0
	global_store_b64 v3, v[2:3], s[14:15]
.LBB123_2:
	s_wait_xcnt 0x0
	s_or_b32 exec_lo, exec_lo, s3
	v_and_b32_e32 v10, 7, v0
	s_mov_b32 s3, exec_lo
	s_delay_alu instid0(VALU_DEP_1)
	v_cmpx_ne_u32_e32 7, v10
	s_cbranch_execz .LBB123_11
; %bb.3:
	s_clause 0x1
	s_load_b64 s[4:5], s[0:1], 0x18
	s_load_b32 s8, s[0:1], 0xc
	s_ashr_i32 s17, s16, 31
	s_mov_b32 s9, 0
	s_lshl_b64 s[6:7], s[16:17], 3
	v_dual_mov_b32 v3, 0 :: v_dual_lshrrev_b32 v2, 3, v0
	s_mov_b32 s3, s9
	s_wait_kmcnt 0x0
	s_add_nc_u64 s[10:11], s[4:5], s[6:7]
	s_load_b128 s[4:7], s[10:11], 0x0
	s_wait_kmcnt 0x0
	s_sub_nc_u64 s[12:13], s[4:5], s[8:9]
	s_sub_nc_u64 s[6:7], s[6:7], s[8:9]
	s_mul_u64 s[18:19], s[12:13], 49
	s_sub_nc_u64 s[10:11], s[6:7], s[12:13]
	v_add_nc_u64_e32 v[0:1], s[12:13], v[2:3]
	s_mul_u64 s[20:21], s[10:11], 7
	s_delay_alu instid0(SALU_CYCLE_1) | instskip(SKIP_2) | instid1(VALU_DEP_2)
	v_mad_nc_u64_u32 v[12:13], s20, v10, s[18:19]
	s_add_nc_u64 s[18:19], s[20:21], s[2:3]
	s_mul_i32 s3, s16, 7
	v_cmp_gt_i64_e32 vcc_lo, s[6:7], v[0:1]
	v_add3_u32 v6, v10, s3, 1
	s_delay_alu instid0(VALU_DEP_3) | instskip(NEXT) | instid1(VALU_DEP_1)
	v_mad_u32 v13, s21, v10, v13
	v_add_nc_u64_e32 v[4:5], s[18:19], v[12:13]
	global_store_b64 v6, v[4:5], s[14:15] scale_offset
	s_wait_xcnt 0x0
	s_and_b32 exec_lo, exec_lo, vcc_lo
	s_cbranch_execz .LBB123_11
; %bb.4:
	v_add_nc_u64_e32 v[4:5], s[4:5], v[2:3]
	s_clause 0x3
	s_load_b64 s[14:15], s[0:1], 0x20
	s_load_b64 s[16:17], s[0:1], 0x30
	s_load_b32 s3, s[0:1], 0x0
	s_load_b64 s[20:21], s[0:1], 0x10
	v_dual_mov_b32 v11, v3 :: v_dual_lshlrev_b32 v6, 2, v10
	v_sub_nc_u64_e64 v[4:5], v[4:5], s[8:9]
	s_delay_alu instid0(VALU_DEP_1) | instskip(SKIP_2) | instid1(VALU_DEP_1)
	v_add_nc_u64_e32 v[4:5], 32, v[4:5]
	s_wait_kmcnt 0x0
	s_cmp_eq_u32 s3, 0
	v_max_i64 v[4:5], v[4:5], s[6:7]
	s_cselect_b32 vcc_lo, -1, 0
	s_not_b64 s[18:19], s[4:5]
	s_mov_b32 s3, -1
	s_add_nc_u64 s[18:19], s[18:19], s[8:9]
	s_delay_alu instid0(VALU_DEP_1) | instid1(SALU_CYCLE_1)
	v_add_nc_u64_e32 v[4:5], s[18:19], v[4:5]
	s_load_b64 s[18:19], s[0:1], 0x40
	s_wait_xcnt 0x0
	s_mov_b32 s1, exec_lo
	s_delay_alu instid0(VALU_DEP_1) | instskip(SKIP_1) | instid1(VALU_DEP_1)
	v_sub_nc_u64_e32 v[4:5], v[4:5], v[2:3]
	v_mul_u32_u24_e32 v2, 7, v10
	v_lshlrev_b32_e32 v8, 2, v2
	s_delay_alu instid0(VALU_DEP_3)
	v_cmpx_lt_u64_e32 31, v[4:5]
	s_cbranch_execz .LBB123_8
; %bb.5:
	v_lshrrev_b64 v[2:3], 5, v[4:5]
	v_dual_mov_b32 v7, 0 :: v_dual_mov_b32 v16, v12
	v_lshl_add_u64 v[4:5], v[0:1], 2, s[14:15]
	s_mov_b32 s3, s8
	s_mov_b32 s24, s8
	s_delay_alu instid0(VALU_DEP_2) | instskip(NEXT) | instid1(VALU_DEP_4)
	v_add_nc_u64_e32 v[20:21], s[20:21], v[6:7]
	v_add_nc_u64_e32 v[14:15], 1, v[2:3]
	;; [unrolled: 1-line block ×3, first 2 shown]
	v_mov_b32_e32 v9, v7
	v_add_nc_u64_e32 v[22:23], 0x80, v[4:5]
	s_mov_b32 s22, s12
	s_mov_b32 s23, s13
	;; [unrolled: 1-line block ×3, first 2 shown]
	v_dual_mov_b32 v19, v15 :: v_dual_bitop2_b32 v18, -2, v14 bitop3:0x40
	v_mov_b32_e32 v17, v13
	v_mov_b64_e32 v[4:5], v[2:3]
	v_add_nc_u64_e32 v[24:25], s[20:21], v[8:9]
	v_mov_b64_e32 v[2:3], v[0:1]
	v_mov_b64_e32 v[26:27], v[18:19]
	s_mov_b32 s25, 0
.LBB123_6:                              ; =>This Inner Loop Header: Depth=1
	s_delay_alu instid0(VALU_DEP_4) | instskip(SKIP_1) | instid1(VALU_DEP_4)
	v_mad_nc_u64_u32 v[28:29], 0xc4, v4, v[20:21]
	v_mul_lo_u32 v7, 0xc4, v5
	v_mad_nc_u64_u32 v[30:31], 0xc4, v2, v[20:21]
	v_mul_lo_u32 v9, 0xc4, v3
	v_mad_nc_u64_u32 v[32:33], 0xc4, v4, v[24:25]
	v_mad_nc_u64_u32 v[34:35], 0xc4, v2, v[24:25]
	s_clause 0x1
	global_load_b32 v80, v[22:23], off offset:-128
	global_load_b32 v81, v[22:23], off
	v_add_nc_u64_e32 v[26:27], -2, v[26:27]
	s_wait_xcnt 0x0
	v_add_nc_u64_e32 v[22:23], 0x100, v[22:23]
	v_dual_add_nc_u32 v29, v7, v29 :: v_dual_add_nc_u32 v31, v9, v31
	v_dual_add_nc_u32 v33, v7, v33 :: v_dual_add_nc_u32 v35, v9, v35
	v_dual_cndmask_b32 v36, v28, v32, vcc_lo :: v_dual_cndmask_b32 v38, v30, v34, vcc_lo
	s_delay_alu instid0(VALU_DEP_3) | instskip(NEXT) | instid1(VALU_DEP_3)
	v_add_nc_u64_e32 v[44:45], 28, v[30:31]
	v_dual_cndmask_b32 v37, v29, v33, vcc_lo :: v_dual_cndmask_b32 v39, v31, v35, vcc_lo
	global_load_b32 v7, v[38:39], off
	global_load_b32 v9, v[36:37], off
	v_add_nc_u64_e32 v[40:41], 4, v[34:35]
	v_add_nc_u64_e32 v[42:43], 4, v[32:33]
	;; [unrolled: 1-line block ×23, first 2 shown]
	s_wait_xcnt 0x1
	v_dual_cndmask_b32 v39, v45, v41 :: v_dual_cndmask_b32 v38, v44, v40
	s_wait_xcnt 0x0
	v_dual_cndmask_b32 v37, v47, v43 :: v_dual_cndmask_b32 v36, v46, v42
	v_dual_cndmask_b32 v43, v53, v49 :: v_dual_cndmask_b32 v42, v52, v48
	;; [unrolled: 1-line block ×11, first 2 shown]
	global_load_b32 v74, v[38:39], off
	global_load_b32 v75, v[36:37], off
	;; [unrolled: 1-line block ×12, first 2 shown]
	s_wait_xcnt 0x0
	v_sub_nc_u64_e64 v[28:29], v[2:3], s[12:13]
	v_sub_nc_u64_e64 v[30:31], v[4:5], s[22:23]
	v_cmp_eq_u64_e64 s0, 0, v[26:27]
	v_add_nc_u64_e32 v[4:5], 64, v[4:5]
	v_add_nc_u64_e32 v[2:3], 64, v[2:3]
	v_mad_nc_u64_u32 v[32:33], v28, 7, v[12:13]
	v_mad_nc_u64_u32 v[34:35], v30, 7, v[16:17]
	s_or_b32 s25, s0, s25
	s_delay_alu instid0(VALU_DEP_2) | instskip(NEXT) | instid1(VALU_DEP_2)
	v_mad_u32 v33, v29, 7, v33
	v_mad_u32 v35, v31, 7, v35
	s_delay_alu instid0(VALU_DEP_2) | instskip(NEXT) | instid1(VALU_DEP_2)
	v_lshlrev_b64_e32 v[28:29], 2, v[32:33]
	v_lshlrev_b64_e32 v[30:31], 2, v[34:35]
	s_delay_alu instid0(VALU_DEP_2) | instskip(NEXT) | instid1(VALU_DEP_2)
	v_add_nc_u64_e32 v[36:37], s[16:17], v[28:29]
	v_add_nc_u64_e32 v[38:39], s[16:17], v[30:31]
	v_add_nc_u64_e32 v[40:41], 4, v[28:29]
	s_wait_kmcnt 0x0
	v_add_nc_u64_e32 v[32:33], s[18:19], v[28:29]
	v_add_nc_u64_e32 v[34:35], s[18:19], v[30:31]
	;; [unrolled: 1-line block ×27, first 2 shown]
	s_wait_loadcnt 0xd
	global_store_b32 v[36:37], v7, off
	s_wait_loadcnt 0xc
	global_store_b32 v[38:39], v9, off
	s_wait_xcnt 0x1
	v_subrev_nc_u32_e32 v7, s3, v80
	s_wait_xcnt 0x0
	v_subrev_nc_u32_e32 v9, s24, v81
	v_add_nc_u64_e32 v[36:37], s[18:19], v[52:53]
	v_add_nc_u64_e32 v[38:39], s[18:19], v[54:55]
	;; [unrolled: 1-line block ×3, first 2 shown]
	v_mad_u32 v7, v7, 7, s2
	v_mad_u32 v9, v9, 7, s26
	v_add_nc_u64_e32 v[54:55], s[16:17], v[54:55]
	s_clause 0x1
	global_store_b32 v[32:33], v7, off
	global_store_b32 v[34:35], v9, off
	s_wait_xcnt 0x0
	v_add_nc_u32_e32 v34, 1, v7
	v_add_nc_u64_e32 v[32:33], s[18:19], v[58:59]
	v_add_nc_u64_e32 v[58:59], s[16:17], v[58:59]
	global_store_b32 v[60:61], v34, off
	s_wait_xcnt 0x0
	v_add_nc_u32_e32 v60, 1, v9
	v_add_nc_u64_e32 v[34:35], s[18:19], v[28:29]
	v_add_nc_u64_e32 v[28:29], s[16:17], v[28:29]
	global_store_b32 v[62:63], v60, off
	s_wait_xcnt 0x0
	v_dual_add_nc_u32 v62, 2, v7 :: v_dual_add_nc_u32 v63, 2, v9
	v_add_nc_u64_e32 v[60:61], s[18:19], v[30:31]
	v_add_nc_u64_e32 v[30:31], s[16:17], v[30:31]
	global_store_b32 v[64:65], v62, off
	s_wait_xcnt 0x0
	v_dual_add_nc_u32 v62, 3, v7 :: v_dual_add_nc_u32 v64, 3, v9
	v_add_nc_u32_e32 v65, 4, v7
	global_store_b32 v[66:67], v63, off
	s_wait_xcnt 0x0
	v_dual_add_nc_u32 v63, 4, v9 :: v_dual_add_nc_u32 v66, 5, v7
	v_dual_add_nc_u32 v67, 5, v9 :: v_dual_add_nc_u32 v7, 6, v7
	v_add_nc_u32_e32 v9, 6, v9
	s_clause 0x7
	global_store_b32 v[68:69], v62, off
	global_store_b32 v[70:71], v64, off
	;; [unrolled: 1-line block ×8, first 2 shown]
	s_wait_loadcnt 0xb
	global_store_b32 v[40:41], v74, off
	s_wait_loadcnt 0xa
	global_store_b32 v[42:43], v75, off
	;; [unrolled: 2-line block ×12, first 2 shown]
	s_wait_xcnt 0x0
	s_and_not1_b32 exec_lo, exec_lo, s25
	s_cbranch_execnz .LBB123_6
; %bb.7:
	s_or_b32 exec_lo, exec_lo, s25
	v_lshlrev_b64_e32 v[2:3], 5, v[18:19]
	v_cmp_ne_u64_e64 s0, v[14:15], v[18:19]
	s_delay_alu instid0(VALU_DEP_2)
	v_add_nc_u64_e32 v[0:1], v[0:1], v[2:3]
	s_or_not1_b32 s3, s0, exec_lo
.LBB123_8:
	s_or_b32 exec_lo, exec_lo, s1
	s_delay_alu instid0(SALU_CYCLE_1)
	s_and_b32 exec_lo, exec_lo, s3
	s_cbranch_execz .LBB123_11
; %bb.9:
	v_mul_u64_e32 v[2:3], s[10:11], v[10:11]
	s_mul_u64 s[0:1], s[4:5], 0xa8
	v_mov_b32_e32 v9, 0
	v_lshl_add_u64 v[12:13], v[0:1], 2, s[14:15]
	s_mov_b64 s[4:5], 0
	s_delay_alu instid0(VALU_DEP_2) | instskip(NEXT) | instid1(VALU_DEP_4)
	v_mov_b32_e32 v7, v9
	v_mad_nc_u64_u32 v[4:5], v2, 28, s[0:1]
	s_mul_u64 s[0:1], s[8:9], 0xa8
	s_delay_alu instid0(VALU_DEP_1) | instskip(SKIP_1) | instid1(VALU_DEP_2)
	v_mad_u32 v5, v3, 28, v5
	v_mad_nc_u64_u32 v[2:3], 0xc4, v0, s[20:21]
	v_mad_nc_u64_u32 v[4:5], v0, 28, v[4:5]
	s_delay_alu instid0(VALU_DEP_2) | instskip(NEXT) | instid1(VALU_DEP_2)
	v_mad_u32 v3, 0xc4, v1, v3
	v_mad_u32 v5, v1, 28, v5
	s_delay_alu instid0(VALU_DEP_1) | instskip(SKIP_1) | instid1(VALU_DEP_1)
	v_sub_nc_u64_e64 v[10:11], v[4:5], s[0:1]
	s_mov_b32 s1, 0
	v_add_nc_u64_e32 v[4:5], s[16:17], v[10:11]
	s_wait_kmcnt 0x0
	v_add_nc_u64_e32 v[10:11], s[18:19], v[10:11]
.LBB123_10:                             ; =>This Inner Loop Header: Depth=1
	v_add_nc_u64_e32 v[14:15], v[2:3], v[6:7]
	v_add_nc_u64_e32 v[16:17], v[2:3], v[8:9]
	global_load_b32 v42, v[12:13], off
	v_add_nc_u64_e32 v[0:1], 32, v[0:1]
	v_add_nc_u64_e32 v[2:3], 0x1880, v[2:3]
	s_wait_xcnt 0x0
	v_add_nc_u64_e32 v[12:13], 0x80, v[12:13]
	v_add_nc_u64_e32 v[24:25], 28, v[14:15]
	;; [unrolled: 1-line block ×5, first 2 shown]
	v_dual_cndmask_b32 v19, v15, v17 :: v_dual_cndmask_b32 v18, v14, v16
	v_add_nc_u64_e32 v[30:31], 12, v[16:17]
	v_add_nc_u64_e32 v[32:33], 0x54, v[14:15]
	v_add_nc_u64_e32 v[34:35], 16, v[16:17]
	v_add_nc_u64_e32 v[36:37], 0x70, v[14:15]
	v_add_nc_u64_e32 v[38:39], 20, v[16:17]
	v_add_nc_u64_e32 v[40:41], 0x8c, v[14:15]
	v_add_nc_u64_e32 v[16:17], 24, v[16:17]
	v_add_nc_u64_e32 v[14:15], 0xa8, v[14:15]
	global_load_b32 v22, v[18:19], off
	s_wait_xcnt 0x0
	v_dual_cndmask_b32 v19, v25, v21 :: v_dual_cndmask_b32 v18, v24, v20
	v_dual_cndmask_b32 v21, v29, v27 :: v_dual_cndmask_b32 v20, v28, v26
	;; [unrolled: 1-line block ×6, first 2 shown]
	global_load_b32 v23, v[18:19], off
	global_load_b32 v24, v[20:21], off
	;; [unrolled: 1-line block ×6, first 2 shown]
	v_cmp_le_i64_e64 s0, s[6:7], v[0:1]
	s_wait_xcnt 0x0
	v_add_nc_u64_e32 v[32:33], s[4:5], v[4:5]
	v_add_nc_u64_e32 v[30:31], s[4:5], v[10:11]
	s_add_nc_u64 s[4:5], s[4:5], 0x380
	s_or_b32 s1, s0, s1
	s_wait_loadcnt 0x7
	v_subrev_nc_u32_e32 v18, s8, v42
	s_delay_alu instid0(VALU_DEP_1) | instskip(NEXT) | instid1(VALU_DEP_1)
	v_mad_u32 v26, v18, 7, s2
	v_dual_add_nc_u32 v28, 2, v26 :: v_dual_add_nc_u32 v27, 1, v26
	v_dual_add_nc_u32 v19, 4, v26 :: v_dual_add_nc_u32 v18, 3, v26
	;; [unrolled: 1-line block ×3, first 2 shown]
	s_wait_loadcnt 0x4
	global_store_b96 v[32:33], v[22:24], off
	s_wait_loadcnt 0x0
	global_store_b128 v[32:33], v[14:17], off offset:12
	s_clause 0x1
	global_store_b96 v[30:31], v[26:28], off
	global_store_b128 v[30:31], v[18:21], off offset:12
	s_wait_xcnt 0x0
	s_and_not1_b32 exec_lo, exec_lo, s1
	s_cbranch_execnz .LBB123_10
.LBB123_11:
	s_sendmsg sendmsg(MSG_DEALLOC_VGPRS)
	s_endpgm
	.section	.rodata,"a",@progbits
	.p2align	6, 0x0
	.amdhsa_kernel _ZN9rocsparseL32bsr2csr_block_per_row_2_7_kernelILj256ELj7EfliEEv20rocsparse_direction_T3_S2_21rocsparse_index_base_PKT1_PKT2_PKS2_S2_S3_PS4_PS7_PS2_
		.amdhsa_group_segment_fixed_size 0
		.amdhsa_private_segment_fixed_size 0
		.amdhsa_kernarg_size 72
		.amdhsa_user_sgpr_count 2
		.amdhsa_user_sgpr_dispatch_ptr 0
		.amdhsa_user_sgpr_queue_ptr 0
		.amdhsa_user_sgpr_kernarg_segment_ptr 1
		.amdhsa_user_sgpr_dispatch_id 0
		.amdhsa_user_sgpr_kernarg_preload_length 0
		.amdhsa_user_sgpr_kernarg_preload_offset 0
		.amdhsa_user_sgpr_private_segment_size 0
		.amdhsa_wavefront_size32 1
		.amdhsa_uses_dynamic_stack 0
		.amdhsa_enable_private_segment 0
		.amdhsa_system_sgpr_workgroup_id_x 1
		.amdhsa_system_sgpr_workgroup_id_y 0
		.amdhsa_system_sgpr_workgroup_id_z 0
		.amdhsa_system_sgpr_workgroup_info 0
		.amdhsa_system_vgpr_workitem_id 0
		.amdhsa_next_free_vgpr 88
		.amdhsa_next_free_sgpr 27
		.amdhsa_named_barrier_count 0
		.amdhsa_reserve_vcc 1
		.amdhsa_float_round_mode_32 0
		.amdhsa_float_round_mode_16_64 0
		.amdhsa_float_denorm_mode_32 3
		.amdhsa_float_denorm_mode_16_64 3
		.amdhsa_fp16_overflow 0
		.amdhsa_memory_ordered 1
		.amdhsa_forward_progress 1
		.amdhsa_inst_pref_size 20
		.amdhsa_round_robin_scheduling 0
		.amdhsa_exception_fp_ieee_invalid_op 0
		.amdhsa_exception_fp_denorm_src 0
		.amdhsa_exception_fp_ieee_div_zero 0
		.amdhsa_exception_fp_ieee_overflow 0
		.amdhsa_exception_fp_ieee_underflow 0
		.amdhsa_exception_fp_ieee_inexact 0
		.amdhsa_exception_int_div_zero 0
	.end_amdhsa_kernel
	.section	.text._ZN9rocsparseL32bsr2csr_block_per_row_2_7_kernelILj256ELj7EfliEEv20rocsparse_direction_T3_S2_21rocsparse_index_base_PKT1_PKT2_PKS2_S2_S3_PS4_PS7_PS2_,"axG",@progbits,_ZN9rocsparseL32bsr2csr_block_per_row_2_7_kernelILj256ELj7EfliEEv20rocsparse_direction_T3_S2_21rocsparse_index_base_PKT1_PKT2_PKS2_S2_S3_PS4_PS7_PS2_,comdat
.Lfunc_end123:
	.size	_ZN9rocsparseL32bsr2csr_block_per_row_2_7_kernelILj256ELj7EfliEEv20rocsparse_direction_T3_S2_21rocsparse_index_base_PKT1_PKT2_PKS2_S2_S3_PS4_PS7_PS2_, .Lfunc_end123-_ZN9rocsparseL32bsr2csr_block_per_row_2_7_kernelILj256ELj7EfliEEv20rocsparse_direction_T3_S2_21rocsparse_index_base_PKT1_PKT2_PKS2_S2_S3_PS4_PS7_PS2_
                                        ; -- End function
	.set _ZN9rocsparseL32bsr2csr_block_per_row_2_7_kernelILj256ELj7EfliEEv20rocsparse_direction_T3_S2_21rocsparse_index_base_PKT1_PKT2_PKS2_S2_S3_PS4_PS7_PS2_.num_vgpr, 88
	.set _ZN9rocsparseL32bsr2csr_block_per_row_2_7_kernelILj256ELj7EfliEEv20rocsparse_direction_T3_S2_21rocsparse_index_base_PKT1_PKT2_PKS2_S2_S3_PS4_PS7_PS2_.num_agpr, 0
	.set _ZN9rocsparseL32bsr2csr_block_per_row_2_7_kernelILj256ELj7EfliEEv20rocsparse_direction_T3_S2_21rocsparse_index_base_PKT1_PKT2_PKS2_S2_S3_PS4_PS7_PS2_.numbered_sgpr, 27
	.set _ZN9rocsparseL32bsr2csr_block_per_row_2_7_kernelILj256ELj7EfliEEv20rocsparse_direction_T3_S2_21rocsparse_index_base_PKT1_PKT2_PKS2_S2_S3_PS4_PS7_PS2_.num_named_barrier, 0
	.set _ZN9rocsparseL32bsr2csr_block_per_row_2_7_kernelILj256ELj7EfliEEv20rocsparse_direction_T3_S2_21rocsparse_index_base_PKT1_PKT2_PKS2_S2_S3_PS4_PS7_PS2_.private_seg_size, 0
	.set _ZN9rocsparseL32bsr2csr_block_per_row_2_7_kernelILj256ELj7EfliEEv20rocsparse_direction_T3_S2_21rocsparse_index_base_PKT1_PKT2_PKS2_S2_S3_PS4_PS7_PS2_.uses_vcc, 1
	.set _ZN9rocsparseL32bsr2csr_block_per_row_2_7_kernelILj256ELj7EfliEEv20rocsparse_direction_T3_S2_21rocsparse_index_base_PKT1_PKT2_PKS2_S2_S3_PS4_PS7_PS2_.uses_flat_scratch, 0
	.set _ZN9rocsparseL32bsr2csr_block_per_row_2_7_kernelILj256ELj7EfliEEv20rocsparse_direction_T3_S2_21rocsparse_index_base_PKT1_PKT2_PKS2_S2_S3_PS4_PS7_PS2_.has_dyn_sized_stack, 0
	.set _ZN9rocsparseL32bsr2csr_block_per_row_2_7_kernelILj256ELj7EfliEEv20rocsparse_direction_T3_S2_21rocsparse_index_base_PKT1_PKT2_PKS2_S2_S3_PS4_PS7_PS2_.has_recursion, 0
	.set _ZN9rocsparseL32bsr2csr_block_per_row_2_7_kernelILj256ELj7EfliEEv20rocsparse_direction_T3_S2_21rocsparse_index_base_PKT1_PKT2_PKS2_S2_S3_PS4_PS7_PS2_.has_indirect_call, 0
	.section	.AMDGPU.csdata,"",@progbits
; Kernel info:
; codeLenInByte = 2504
; TotalNumSgprs: 29
; NumVgprs: 88
; ScratchSize: 0
; MemoryBound: 0
; FloatMode: 240
; IeeeMode: 1
; LDSByteSize: 0 bytes/workgroup (compile time only)
; SGPRBlocks: 0
; VGPRBlocks: 5
; NumSGPRsForWavesPerEU: 29
; NumVGPRsForWavesPerEU: 88
; NamedBarCnt: 0
; Occupancy: 10
; WaveLimiterHint : 1
; COMPUTE_PGM_RSRC2:SCRATCH_EN: 0
; COMPUTE_PGM_RSRC2:USER_SGPR: 2
; COMPUTE_PGM_RSRC2:TRAP_HANDLER: 0
; COMPUTE_PGM_RSRC2:TGID_X_EN: 1
; COMPUTE_PGM_RSRC2:TGID_Y_EN: 0
; COMPUTE_PGM_RSRC2:TGID_Z_EN: 0
; COMPUTE_PGM_RSRC2:TIDIG_COMP_CNT: 0
	.section	.text._ZN9rocsparseL33bsr2csr_block_per_row_8_32_kernelILj1024ELj8EfliEEv20rocsparse_direction_T3_S2_21rocsparse_index_base_PKT1_PKT2_PKS2_S2_S3_PS4_PS7_PS2_,"axG",@progbits,_ZN9rocsparseL33bsr2csr_block_per_row_8_32_kernelILj1024ELj8EfliEEv20rocsparse_direction_T3_S2_21rocsparse_index_base_PKT1_PKT2_PKS2_S2_S3_PS4_PS7_PS2_,comdat
	.globl	_ZN9rocsparseL33bsr2csr_block_per_row_8_32_kernelILj1024ELj8EfliEEv20rocsparse_direction_T3_S2_21rocsparse_index_base_PKT1_PKT2_PKS2_S2_S3_PS4_PS7_PS2_ ; -- Begin function _ZN9rocsparseL33bsr2csr_block_per_row_8_32_kernelILj1024ELj8EfliEEv20rocsparse_direction_T3_S2_21rocsparse_index_base_PKT1_PKT2_PKS2_S2_S3_PS4_PS7_PS2_
	.p2align	8
	.type	_ZN9rocsparseL33bsr2csr_block_per_row_8_32_kernelILj1024ELj8EfliEEv20rocsparse_direction_T3_S2_21rocsparse_index_base_PKT1_PKT2_PKS2_S2_S3_PS4_PS7_PS2_,@function
_ZN9rocsparseL33bsr2csr_block_per_row_8_32_kernelILj1024ELj8EfliEEv20rocsparse_direction_T3_S2_21rocsparse_index_base_PKT1_PKT2_PKS2_S2_S3_PS4_PS7_PS2_: ; @_ZN9rocsparseL33bsr2csr_block_per_row_8_32_kernelILj1024ELj8EfliEEv20rocsparse_direction_T3_S2_21rocsparse_index_base_PKT1_PKT2_PKS2_S2_S3_PS4_PS7_PS2_
; %bb.0:
	s_clause 0x1
	s_load_b64 s[2:3], s[0:1], 0x28
	s_load_b64 s[18:19], s[0:1], 0x38
	s_bfe_u32 s4, ttmp6, 0x4000c
	s_and_b32 s5, ttmp6, 15
	s_add_co_i32 s4, s4, 1
	s_getreg_b32 s6, hwreg(HW_REG_IB_STS2, 6, 4)
	s_mul_i32 s4, ttmp9, s4
	s_delay_alu instid0(SALU_CYCLE_1) | instskip(SKIP_3) | instid1(SALU_CYCLE_1)
	s_add_co_i32 s5, s5, s4
	s_cmp_eq_u32 s6, 0
	s_mov_b32 s4, exec_lo
	s_cselect_b32 s20, ttmp9, s5
	v_or_b32_e32 v1, s20, v0
	s_delay_alu instid0(VALU_DEP_1)
	v_cmpx_eq_u32_e32 0, v1
	s_cbranch_execz .LBB124_2
; %bb.1:
	s_wait_kmcnt 0x0
	v_dual_mov_b32 v2, s3 :: v_dual_mov_b32 v3, 0
	global_store_b64 v3, v[2:3], s[18:19]
.LBB124_2:
	s_wait_xcnt 0x0
	s_or_b32 exec_lo, exec_lo, s4
	v_and_b32_e32 v6, 7, v0
	v_bfe_u32 v24, v0, 3, 3
	s_mov_b32 s4, exec_lo
	s_delay_alu instid0(VALU_DEP_1) | instskip(SKIP_1) | instid1(VALU_DEP_1)
	v_max_i32_e32 v1, v24, v6
	s_wait_kmcnt 0x0
	v_cmpx_gt_i32_e64 s2, v1
	s_cbranch_execz .LBB124_13
; %bb.3:
	s_clause 0x1
	s_load_b64 s[4:5], s[0:1], 0x18
	s_load_b32 s8, s[0:1], 0xc
	s_ashr_i32 s21, s20, 31
	s_mov_b32 s9, 0
	s_lshl_b64 s[6:7], s[20:21], 3
	s_mov_b32 s12, s2
	s_mov_b32 s13, s9
	v_dual_mov_b32 v5, 0 :: v_dual_lshrrev_b32 v4, 6, v0
	s_mov_b32 s26, s3
	s_mov_b32 s27, s9
	v_mad_u32 v7, s2, s20, v24
	s_wait_kmcnt 0x0
	s_add_nc_u64 s[10:11], s[4:5], s[6:7]
	s_load_b128 s[4:7], s[10:11], 0x0
	s_wait_xcnt 0x0
	s_mul_i32 s10, s2, s2
	s_mov_b32 s11, s9
	s_wait_kmcnt 0x0
	s_sub_nc_u64 s[24:25], s[4:5], s[8:9]
	s_sub_nc_u64 s[6:7], s[6:7], s[8:9]
	s_mul_u64 s[14:15], s[24:25], s[10:11]
	s_sub_nc_u64 s[16:17], s[6:7], s[24:25]
	v_add_nc_u64_e32 v[0:1], s[24:25], v[4:5]
	s_mul_u64 s[22:23], s[16:17], s[12:13]
	s_delay_alu instid0(SALU_CYCLE_1) | instskip(SKIP_1) | instid1(VALU_DEP_2)
	v_mad_nc_u64_u32 v[2:3], s22, v24, s[14:15]
	s_add_nc_u64 s[20:21], s[22:23], s[26:27]
	v_cmp_gt_i64_e32 vcc_lo, s[6:7], v[0:1]
	s_delay_alu instid0(VALU_DEP_2) | instskip(NEXT) | instid1(VALU_DEP_1)
	v_mad_u32 v3, s23, v24, v3
	v_add_nc_u64_e32 v[8:9], s[20:21], v[2:3]
	global_store_b64 v7, v[8:9], s[18:19] offset:8 scale_offset
	s_wait_xcnt 0x0
	s_and_b32 exec_lo, exec_lo, vcc_lo
	s_cbranch_execz .LBB124_13
; %bb.4:
	v_add_nc_u64_e32 v[8:9], s[4:5], v[4:5]
	s_clause 0x3
	s_load_b64 s[22:23], s[0:1], 0x20
	s_load_b64 s[18:19], s[0:1], 0x30
	s_load_b32 s26, s[0:1], 0x0
	s_load_b64 s[20:21], s[0:1], 0x10
	v_mul_lo_u32 v10, s2, v6
	v_mul_lo_u32 v12, s2, v24
	v_dual_mov_b32 v11, v5 :: v_dual_mov_b32 v13, v5
	v_sub_nc_u64_e64 v[8:9], v[8:9], s[8:9]
	v_dual_mov_b32 v15, v5 :: v_dual_lshlrev_b32 v14, 2, v24
	v_dual_mov_b32 v17, v5 :: v_dual_lshlrev_b32 v16, 2, v6
	v_mov_b32_e32 v7, v5
	s_delay_alu instid0(VALU_DEP_4) | instskip(SKIP_2) | instid1(VALU_DEP_1)
	v_add_nc_u64_e32 v[8:9], 16, v[8:9]
	s_wait_kmcnt 0x0
	s_cmp_eq_u32 s26, 0
	v_max_i64 v[8:9], v[8:9], s[6:7]
	v_lshl_add_u64 v[10:11], v[10:11], 2, s[20:21]
	v_lshl_add_u64 v[12:13], v[12:13], 2, s[20:21]
	s_cselect_b32 vcc_lo, -1, 0
	s_not_b64 s[20:21], s[4:5]
	s_delay_alu instid0(SALU_CYCLE_1) | instskip(SKIP_2) | instid1(VALU_DEP_1)
	s_add_nc_u64 s[20:21], s[20:21], s[8:9]
	v_add_nc_u64_e32 v[10:11], v[10:11], v[14:15]
	v_add_nc_u64_e32 v[14:15], v[12:13], v[16:17]
	v_dual_cndmask_b32 v11, v11, v15 :: v_dual_cndmask_b32 v10, v10, v14
	v_add_nc_u64_e32 v[8:9], s[20:21], v[8:9]
	s_load_b64 s[20:21], s[0:1], 0x40
	s_wait_xcnt 0x0
	s_mov_b32 s1, s9
	s_delay_alu instid0(VALU_DEP_1) | instskip(SKIP_2) | instid1(VALU_DEP_2)
	v_sub_nc_u64_e32 v[12:13], v[8:9], v[4:5]
	v_add_nc_u32_e32 v8, s3, v6
	s_mov_b32 s3, exec_lo
	v_cmpx_lt_u64_e32 15, v[12:13]
	s_xor_b32 s3, exec_lo, s3
	s_cbranch_execnz .LBB124_7
; %bb.5:
	s_and_not1_saveexec_b32 s0, s3
	s_cbranch_execnz .LBB124_10
.LBB124_6:
	s_or_b32 exec_lo, exec_lo, s0
	s_delay_alu instid0(SALU_CYCLE_1)
	s_and_b32 exec_lo, exec_lo, s1
	s_cbranch_execnz .LBB124_11
	s_branch .LBB124_13
.LBB124_7:
	v_lshrrev_b64 v[4:5], 4, v[12:13]
	v_add_nc_u64_e32 v[12:13], v[2:3], v[6:7]
	v_add_nc_u64_e32 v[2:3], 16, v[0:1]
	s_mov_b32 s28, s8
	s_mov_b32 s29, s8
	s_mov_b32 s0, s24
	s_mov_b32 s1, s25
	v_add_nc_u64_e32 v[14:15], 1, v[4:5]
	v_lshl_add_u64 v[4:5], v[0:1], 2, s[22:23]
	v_dual_mov_b32 v9, v8 :: v_dual_mov_b32 v21, v13
	s_mov_b32 s30, s12
	s_mov_b32 s31, s2
	s_delay_alu instid0(VALU_DEP_2) | instskip(NEXT) | instid1(VALU_DEP_4)
	v_add_nc_u64_e32 v[18:19], 64, v[4:5]
	v_dual_mov_b32 v17, v15 :: v_dual_bitop2_b32 v16, -2, v14 bitop3:0x40
	v_mov_b32_e32 v20, v12
	v_mov_b64_e32 v[4:5], v[2:3]
	v_mov_b64_e32 v[2:3], v[0:1]
	s_mov_b32 s26, s10
	v_mov_b64_e32 v[22:23], v[16:17]
	s_mov_b32 s27, s11
	s_mov_b32 s33, 0
.LBB124_8:                              ; =>This Inner Loop Header: Depth=1
	s_delay_alu instid0(VALU_DEP_2)
	v_mul_u64_e32 v[26:27], s[10:11], v[2:3]
	v_mul_u64_e32 v[28:29], s[26:27], v[4:5]
	s_clause 0x1
	global_load_b32 v25, v[18:19], off offset:-64
	global_load_b32 v34, v[18:19], off
	v_add_nc_u64_e32 v[22:23], -2, v[22:23]
	s_wait_xcnt 0x0
	v_add_nc_u64_e32 v[18:19], 0x80, v[18:19]
	s_delay_alu instid0(VALU_DEP_2)
	v_cmp_eq_u64_e32 vcc_lo, 0, v[22:23]
	s_or_b32 s33, vcc_lo, s33
	v_lshl_add_u64 v[26:27], v[26:27], 2, v[10:11]
	v_lshl_add_u64 v[28:29], v[28:29], 2, v[10:11]
	s_clause 0x1
	global_load_b32 v35, v[26:27], off
	global_load_b32 v36, v[28:29], off
	s_wait_xcnt 0x1
	v_sub_nc_u64_e64 v[26:27], v[2:3], s[24:25]
	s_wait_xcnt 0x0
	v_sub_nc_u64_e64 v[28:29], v[4:5], s[0:1]
	v_add_nc_u64_e32 v[4:5], 32, v[4:5]
	v_add_nc_u64_e32 v[2:3], 32, v[2:3]
	s_delay_alu instid0(VALU_DEP_4) | instskip(NEXT) | instid1(VALU_DEP_4)
	v_mad_nc_u64_u32 v[30:31], v26, s12, v[12:13]
	v_mad_nc_u64_u32 v[32:33], v28, s30, v[20:21]
	s_delay_alu instid0(VALU_DEP_2) | instskip(NEXT) | instid1(VALU_DEP_2)
	v_mad_u32 v31, v27, s12, v31
	v_mad_u32 v33, v29, s30, v33
	s_delay_alu instid0(VALU_DEP_2) | instskip(NEXT) | instid1(VALU_DEP_2)
	v_lshlrev_b64_e32 v[26:27], 2, v[30:31]
	v_lshlrev_b64_e32 v[28:29], 2, v[32:33]
	s_wait_kmcnt 0x0
	s_delay_alu instid0(VALU_DEP_1)
	v_add_nc_u64_e32 v[32:33], s[20:21], v[28:29]
	v_add_nc_u64_e32 v[28:29], s[18:19], v[28:29]
	s_wait_loadcnt 0x3
	v_subrev_nc_u32_e32 v25, s28, v25
	s_wait_loadcnt 0x2
	v_subrev_nc_u32_e32 v30, s29, v34
	s_delay_alu instid0(VALU_DEP_2) | instskip(NEXT) | instid1(VALU_DEP_2)
	v_mad_u32 v25, v25, s2, v8
	v_mad_u32 v34, v30, s31, v9
	v_add_nc_u64_e32 v[30:31], s[20:21], v[26:27]
	v_add_nc_u64_e32 v[26:27], s[18:19], v[26:27]
	s_clause 0x1
	global_store_b32 v[30:31], v25, off
	global_store_b32 v[32:33], v34, off
	s_wait_loadcnt 0x1
	global_store_b32 v[26:27], v35, off
	s_wait_loadcnt 0x0
	global_store_b32 v[28:29], v36, off
	s_wait_xcnt 0x0
	s_and_not1_b32 exec_lo, exec_lo, s33
	s_cbranch_execnz .LBB124_8
; %bb.9:
	s_or_b32 exec_lo, exec_lo, s33
	v_cmp_ne_u64_e32 vcc_lo, v[14:15], v[16:17]
	v_lshl_add_u64 v[0:1], v[16:17], 4, v[0:1]
	s_and_b32 s1, vcc_lo, exec_lo
	s_and_not1_saveexec_b32 s0, s3
	s_cbranch_execz .LBB124_6
.LBB124_10:
	s_or_b32 s1, s1, exec_lo
	s_or_b32 exec_lo, exec_lo, s0
	s_delay_alu instid0(SALU_CYCLE_1)
	s_and_b32 exec_lo, exec_lo, s1
	s_cbranch_execz .LBB124_13
.LBB124_11:
	v_mad_nc_u64_u32 v[2:3], s16, v24, v[0:1]
	v_mul_u64_e32 v[4:5], s[10:11], v[0:1]
	s_lshl_b64 s[0:1], s[10:11], 6
	s_mov_b32 s3, 0
	s_delay_alu instid0(VALU_DEP_2) | instskip(NEXT) | instid1(VALU_DEP_1)
	v_mad_u32 v3, s17, v24, v3
	v_add_nc_u64_e32 v[2:3], s[8:9], v[2:3]
	s_delay_alu instid0(VALU_DEP_1) | instskip(SKIP_1) | instid1(VALU_DEP_4)
	v_sub_nc_u64_e64 v[2:3], v[2:3], s[4:5]
	s_lshl_b64 s[4:5], s[12:13], 6
	v_lshl_add_u64 v[4:5], v[4:5], 2, v[10:11]
	s_delay_alu instid0(VALU_DEP_2) | instskip(NEXT) | instid1(VALU_DEP_1)
	v_mad_nc_u64_u32 v[12:13], v2, s12, s[14:15]
	v_mad_u32 v13, v3, s12, v13
	s_delay_alu instid0(VALU_DEP_1) | instskip(SKIP_1) | instid1(VALU_DEP_2)
	v_add_nc_u64_e32 v[2:3], v[12:13], v[6:7]
	v_lshl_add_u64 v[6:7], v[0:1], 2, s[22:23]
	v_lshlrev_b64_e32 v[2:3], 2, v[2:3]
.LBB124_12:                             ; =>This Inner Loop Header: Depth=1
	global_load_b32 v9, v[6:7], off
	global_load_b32 v14, v[4:5], off
	v_add_nc_u64_e32 v[0:1], 16, v[0:1]
	s_wait_kmcnt 0x0
	v_add_nc_u64_e32 v[10:11], s[20:21], v[2:3]
	v_add_nc_u64_e32 v[12:13], s[18:19], v[2:3]
	s_wait_xcnt 0x0
	v_add_nc_u64_e32 v[4:5], s[0:1], v[4:5]
	v_add_nc_u64_e32 v[2:3], s[4:5], v[2:3]
	;; [unrolled: 1-line block ×3, first 2 shown]
	v_cmp_le_i64_e32 vcc_lo, s[6:7], v[0:1]
	s_or_b32 s3, vcc_lo, s3
	s_wait_loadcnt 0x1
	v_subrev_nc_u32_e32 v9, s8, v9
	s_delay_alu instid0(VALU_DEP_1)
	v_mad_u32 v9, v9, s2, v8
	s_wait_loadcnt 0x0
	global_store_b32 v[12:13], v14, off
	global_store_b32 v[10:11], v9, off
	s_wait_xcnt 0x0
	s_and_not1_b32 exec_lo, exec_lo, s3
	s_cbranch_execnz .LBB124_12
.LBB124_13:
	s_endpgm
	.section	.rodata,"a",@progbits
	.p2align	6, 0x0
	.amdhsa_kernel _ZN9rocsparseL33bsr2csr_block_per_row_8_32_kernelILj1024ELj8EfliEEv20rocsparse_direction_T3_S2_21rocsparse_index_base_PKT1_PKT2_PKS2_S2_S3_PS4_PS7_PS2_
		.amdhsa_group_segment_fixed_size 0
		.amdhsa_private_segment_fixed_size 0
		.amdhsa_kernarg_size 72
		.amdhsa_user_sgpr_count 2
		.amdhsa_user_sgpr_dispatch_ptr 0
		.amdhsa_user_sgpr_queue_ptr 0
		.amdhsa_user_sgpr_kernarg_segment_ptr 1
		.amdhsa_user_sgpr_dispatch_id 0
		.amdhsa_user_sgpr_kernarg_preload_length 0
		.amdhsa_user_sgpr_kernarg_preload_offset 0
		.amdhsa_user_sgpr_private_segment_size 0
		.amdhsa_wavefront_size32 1
		.amdhsa_uses_dynamic_stack 0
		.amdhsa_enable_private_segment 0
		.amdhsa_system_sgpr_workgroup_id_x 1
		.amdhsa_system_sgpr_workgroup_id_y 0
		.amdhsa_system_sgpr_workgroup_id_z 0
		.amdhsa_system_sgpr_workgroup_info 0
		.amdhsa_system_vgpr_workitem_id 0
		.amdhsa_next_free_vgpr 37
		.amdhsa_next_free_sgpr 34
		.amdhsa_named_barrier_count 0
		.amdhsa_reserve_vcc 1
		.amdhsa_float_round_mode_32 0
		.amdhsa_float_round_mode_16_64 0
		.amdhsa_float_denorm_mode_32 3
		.amdhsa_float_denorm_mode_16_64 3
		.amdhsa_fp16_overflow 0
		.amdhsa_memory_ordered 1
		.amdhsa_forward_progress 1
		.amdhsa_inst_pref_size 11
		.amdhsa_round_robin_scheduling 0
		.amdhsa_exception_fp_ieee_invalid_op 0
		.amdhsa_exception_fp_denorm_src 0
		.amdhsa_exception_fp_ieee_div_zero 0
		.amdhsa_exception_fp_ieee_overflow 0
		.amdhsa_exception_fp_ieee_underflow 0
		.amdhsa_exception_fp_ieee_inexact 0
		.amdhsa_exception_int_div_zero 0
	.end_amdhsa_kernel
	.section	.text._ZN9rocsparseL33bsr2csr_block_per_row_8_32_kernelILj1024ELj8EfliEEv20rocsparse_direction_T3_S2_21rocsparse_index_base_PKT1_PKT2_PKS2_S2_S3_PS4_PS7_PS2_,"axG",@progbits,_ZN9rocsparseL33bsr2csr_block_per_row_8_32_kernelILj1024ELj8EfliEEv20rocsparse_direction_T3_S2_21rocsparse_index_base_PKT1_PKT2_PKS2_S2_S3_PS4_PS7_PS2_,comdat
.Lfunc_end124:
	.size	_ZN9rocsparseL33bsr2csr_block_per_row_8_32_kernelILj1024ELj8EfliEEv20rocsparse_direction_T3_S2_21rocsparse_index_base_PKT1_PKT2_PKS2_S2_S3_PS4_PS7_PS2_, .Lfunc_end124-_ZN9rocsparseL33bsr2csr_block_per_row_8_32_kernelILj1024ELj8EfliEEv20rocsparse_direction_T3_S2_21rocsparse_index_base_PKT1_PKT2_PKS2_S2_S3_PS4_PS7_PS2_
                                        ; -- End function
	.set _ZN9rocsparseL33bsr2csr_block_per_row_8_32_kernelILj1024ELj8EfliEEv20rocsparse_direction_T3_S2_21rocsparse_index_base_PKT1_PKT2_PKS2_S2_S3_PS4_PS7_PS2_.num_vgpr, 37
	.set _ZN9rocsparseL33bsr2csr_block_per_row_8_32_kernelILj1024ELj8EfliEEv20rocsparse_direction_T3_S2_21rocsparse_index_base_PKT1_PKT2_PKS2_S2_S3_PS4_PS7_PS2_.num_agpr, 0
	.set _ZN9rocsparseL33bsr2csr_block_per_row_8_32_kernelILj1024ELj8EfliEEv20rocsparse_direction_T3_S2_21rocsparse_index_base_PKT1_PKT2_PKS2_S2_S3_PS4_PS7_PS2_.numbered_sgpr, 34
	.set _ZN9rocsparseL33bsr2csr_block_per_row_8_32_kernelILj1024ELj8EfliEEv20rocsparse_direction_T3_S2_21rocsparse_index_base_PKT1_PKT2_PKS2_S2_S3_PS4_PS7_PS2_.num_named_barrier, 0
	.set _ZN9rocsparseL33bsr2csr_block_per_row_8_32_kernelILj1024ELj8EfliEEv20rocsparse_direction_T3_S2_21rocsparse_index_base_PKT1_PKT2_PKS2_S2_S3_PS4_PS7_PS2_.private_seg_size, 0
	.set _ZN9rocsparseL33bsr2csr_block_per_row_8_32_kernelILj1024ELj8EfliEEv20rocsparse_direction_T3_S2_21rocsparse_index_base_PKT1_PKT2_PKS2_S2_S3_PS4_PS7_PS2_.uses_vcc, 1
	.set _ZN9rocsparseL33bsr2csr_block_per_row_8_32_kernelILj1024ELj8EfliEEv20rocsparse_direction_T3_S2_21rocsparse_index_base_PKT1_PKT2_PKS2_S2_S3_PS4_PS7_PS2_.uses_flat_scratch, 0
	.set _ZN9rocsparseL33bsr2csr_block_per_row_8_32_kernelILj1024ELj8EfliEEv20rocsparse_direction_T3_S2_21rocsparse_index_base_PKT1_PKT2_PKS2_S2_S3_PS4_PS7_PS2_.has_dyn_sized_stack, 0
	.set _ZN9rocsparseL33bsr2csr_block_per_row_8_32_kernelILj1024ELj8EfliEEv20rocsparse_direction_T3_S2_21rocsparse_index_base_PKT1_PKT2_PKS2_S2_S3_PS4_PS7_PS2_.has_recursion, 0
	.set _ZN9rocsparseL33bsr2csr_block_per_row_8_32_kernelILj1024ELj8EfliEEv20rocsparse_direction_T3_S2_21rocsparse_index_base_PKT1_PKT2_PKS2_S2_S3_PS4_PS7_PS2_.has_indirect_call, 0
	.section	.AMDGPU.csdata,"",@progbits
; Kernel info:
; codeLenInByte = 1292
; TotalNumSgprs: 36
; NumVgprs: 37
; ScratchSize: 0
; MemoryBound: 0
; FloatMode: 240
; IeeeMode: 1
; LDSByteSize: 0 bytes/workgroup (compile time only)
; SGPRBlocks: 0
; VGPRBlocks: 2
; NumSGPRsForWavesPerEU: 36
; NumVGPRsForWavesPerEU: 37
; NamedBarCnt: 0
; Occupancy: 16
; WaveLimiterHint : 0
; COMPUTE_PGM_RSRC2:SCRATCH_EN: 0
; COMPUTE_PGM_RSRC2:USER_SGPR: 2
; COMPUTE_PGM_RSRC2:TRAP_HANDLER: 0
; COMPUTE_PGM_RSRC2:TGID_X_EN: 1
; COMPUTE_PGM_RSRC2:TGID_Y_EN: 0
; COMPUTE_PGM_RSRC2:TGID_Z_EN: 0
; COMPUTE_PGM_RSRC2:TIDIG_COMP_CNT: 0
	.section	.text._ZN9rocsparseL33bsr2csr_block_per_row_8_32_kernelILj1024ELj16EfliEEv20rocsparse_direction_T3_S2_21rocsparse_index_base_PKT1_PKT2_PKS2_S2_S3_PS4_PS7_PS2_,"axG",@progbits,_ZN9rocsparseL33bsr2csr_block_per_row_8_32_kernelILj1024ELj16EfliEEv20rocsparse_direction_T3_S2_21rocsparse_index_base_PKT1_PKT2_PKS2_S2_S3_PS4_PS7_PS2_,comdat
	.globl	_ZN9rocsparseL33bsr2csr_block_per_row_8_32_kernelILj1024ELj16EfliEEv20rocsparse_direction_T3_S2_21rocsparse_index_base_PKT1_PKT2_PKS2_S2_S3_PS4_PS7_PS2_ ; -- Begin function _ZN9rocsparseL33bsr2csr_block_per_row_8_32_kernelILj1024ELj16EfliEEv20rocsparse_direction_T3_S2_21rocsparse_index_base_PKT1_PKT2_PKS2_S2_S3_PS4_PS7_PS2_
	.p2align	8
	.type	_ZN9rocsparseL33bsr2csr_block_per_row_8_32_kernelILj1024ELj16EfliEEv20rocsparse_direction_T3_S2_21rocsparse_index_base_PKT1_PKT2_PKS2_S2_S3_PS4_PS7_PS2_,@function
_ZN9rocsparseL33bsr2csr_block_per_row_8_32_kernelILj1024ELj16EfliEEv20rocsparse_direction_T3_S2_21rocsparse_index_base_PKT1_PKT2_PKS2_S2_S3_PS4_PS7_PS2_: ; @_ZN9rocsparseL33bsr2csr_block_per_row_8_32_kernelILj1024ELj16EfliEEv20rocsparse_direction_T3_S2_21rocsparse_index_base_PKT1_PKT2_PKS2_S2_S3_PS4_PS7_PS2_
; %bb.0:
	s_clause 0x1
	s_load_b64 s[2:3], s[0:1], 0x28
	s_load_b64 s[18:19], s[0:1], 0x38
	s_bfe_u32 s4, ttmp6, 0x4000c
	s_and_b32 s5, ttmp6, 15
	s_add_co_i32 s4, s4, 1
	s_getreg_b32 s6, hwreg(HW_REG_IB_STS2, 6, 4)
	s_mul_i32 s4, ttmp9, s4
	s_delay_alu instid0(SALU_CYCLE_1) | instskip(SKIP_3) | instid1(SALU_CYCLE_1)
	s_add_co_i32 s5, s5, s4
	s_cmp_eq_u32 s6, 0
	s_mov_b32 s4, exec_lo
	s_cselect_b32 s20, ttmp9, s5
	v_or_b32_e32 v1, s20, v0
	s_delay_alu instid0(VALU_DEP_1)
	v_cmpx_eq_u32_e32 0, v1
	s_cbranch_execz .LBB125_2
; %bb.1:
	s_wait_kmcnt 0x0
	v_dual_mov_b32 v2, s3 :: v_dual_mov_b32 v3, 0
	global_store_b64 v3, v[2:3], s[18:19]
.LBB125_2:
	s_wait_xcnt 0x0
	s_or_b32 exec_lo, exec_lo, s4
	v_and_b32_e32 v6, 15, v0
	v_bfe_u32 v24, v0, 4, 4
	s_mov_b32 s4, exec_lo
	s_delay_alu instid0(VALU_DEP_1) | instskip(SKIP_1) | instid1(VALU_DEP_1)
	v_max_i32_e32 v1, v24, v6
	s_wait_kmcnt 0x0
	v_cmpx_gt_i32_e64 s2, v1
	s_cbranch_execz .LBB125_13
; %bb.3:
	s_clause 0x1
	s_load_b64 s[4:5], s[0:1], 0x18
	s_load_b32 s8, s[0:1], 0xc
	s_ashr_i32 s21, s20, 31
	s_mov_b32 s9, 0
	s_lshl_b64 s[6:7], s[20:21], 3
	s_mov_b32 s12, s2
	s_mov_b32 s13, s9
	v_dual_mov_b32 v5, 0 :: v_dual_lshrrev_b32 v4, 8, v0
	s_mov_b32 s26, s3
	s_mov_b32 s27, s9
	v_mad_u32 v7, s2, s20, v24
	s_wait_kmcnt 0x0
	s_add_nc_u64 s[10:11], s[4:5], s[6:7]
	s_load_b128 s[4:7], s[10:11], 0x0
	s_wait_xcnt 0x0
	s_mul_i32 s10, s2, s2
	s_mov_b32 s11, s9
	s_wait_kmcnt 0x0
	s_sub_nc_u64 s[24:25], s[4:5], s[8:9]
	s_sub_nc_u64 s[6:7], s[6:7], s[8:9]
	s_mul_u64 s[14:15], s[24:25], s[10:11]
	s_sub_nc_u64 s[16:17], s[6:7], s[24:25]
	v_add_nc_u64_e32 v[0:1], s[24:25], v[4:5]
	s_mul_u64 s[22:23], s[16:17], s[12:13]
	s_delay_alu instid0(SALU_CYCLE_1) | instskip(SKIP_1) | instid1(VALU_DEP_2)
	v_mad_nc_u64_u32 v[2:3], s22, v24, s[14:15]
	s_add_nc_u64 s[20:21], s[22:23], s[26:27]
	v_cmp_gt_i64_e32 vcc_lo, s[6:7], v[0:1]
	s_delay_alu instid0(VALU_DEP_2) | instskip(NEXT) | instid1(VALU_DEP_1)
	v_mad_u32 v3, s23, v24, v3
	v_add_nc_u64_e32 v[8:9], s[20:21], v[2:3]
	global_store_b64 v7, v[8:9], s[18:19] offset:8 scale_offset
	s_wait_xcnt 0x0
	s_and_b32 exec_lo, exec_lo, vcc_lo
	s_cbranch_execz .LBB125_13
; %bb.4:
	v_add_nc_u64_e32 v[8:9], s[4:5], v[4:5]
	s_clause 0x3
	s_load_b64 s[22:23], s[0:1], 0x20
	s_load_b64 s[18:19], s[0:1], 0x30
	s_load_b32 s26, s[0:1], 0x0
	s_load_b64 s[20:21], s[0:1], 0x10
	v_mul_lo_u32 v10, s2, v6
	v_mul_lo_u32 v12, s2, v24
	v_dual_mov_b32 v11, v5 :: v_dual_mov_b32 v13, v5
	v_sub_nc_u64_e64 v[8:9], v[8:9], s[8:9]
	v_dual_mov_b32 v15, v5 :: v_dual_lshlrev_b32 v14, 2, v24
	v_dual_mov_b32 v17, v5 :: v_dual_lshlrev_b32 v16, 2, v6
	v_mov_b32_e32 v7, v5
	s_delay_alu instid0(VALU_DEP_4) | instskip(SKIP_2) | instid1(VALU_DEP_1)
	v_add_nc_u64_e32 v[8:9], 4, v[8:9]
	s_wait_kmcnt 0x0
	s_cmp_eq_u32 s26, 0
	v_max_i64 v[8:9], v[8:9], s[6:7]
	v_lshl_add_u64 v[10:11], v[10:11], 2, s[20:21]
	v_lshl_add_u64 v[12:13], v[12:13], 2, s[20:21]
	s_cselect_b32 vcc_lo, -1, 0
	s_not_b64 s[20:21], s[4:5]
	s_delay_alu instid0(SALU_CYCLE_1) | instskip(SKIP_2) | instid1(VALU_DEP_1)
	s_add_nc_u64 s[20:21], s[20:21], s[8:9]
	v_add_nc_u64_e32 v[10:11], v[10:11], v[14:15]
	v_add_nc_u64_e32 v[14:15], v[12:13], v[16:17]
	v_dual_cndmask_b32 v11, v11, v15 :: v_dual_cndmask_b32 v10, v10, v14
	v_add_nc_u64_e32 v[8:9], s[20:21], v[8:9]
	s_load_b64 s[20:21], s[0:1], 0x40
	s_wait_xcnt 0x0
	s_mov_b32 s1, s9
	s_delay_alu instid0(VALU_DEP_1) | instskip(SKIP_2) | instid1(VALU_DEP_2)
	v_sub_nc_u64_e32 v[12:13], v[8:9], v[4:5]
	v_add_nc_u32_e32 v8, s3, v6
	s_mov_b32 s3, exec_lo
	v_cmpx_lt_u64_e32 3, v[12:13]
	s_xor_b32 s3, exec_lo, s3
	s_cbranch_execnz .LBB125_7
; %bb.5:
	s_and_not1_saveexec_b32 s0, s3
	s_cbranch_execnz .LBB125_10
.LBB125_6:
	s_or_b32 exec_lo, exec_lo, s0
	s_delay_alu instid0(SALU_CYCLE_1)
	s_and_b32 exec_lo, exec_lo, s1
	s_cbranch_execnz .LBB125_11
	s_branch .LBB125_13
.LBB125_7:
	v_lshrrev_b64 v[4:5], 2, v[12:13]
	v_add_nc_u64_e32 v[12:13], v[2:3], v[6:7]
	v_add_nc_u64_e32 v[2:3], 4, v[0:1]
	s_mov_b32 s28, s8
	s_mov_b32 s29, s8
	;; [unrolled: 1-line block ×4, first 2 shown]
	v_add_nc_u64_e32 v[14:15], 1, v[4:5]
	v_lshl_add_u64 v[4:5], v[0:1], 2, s[22:23]
	v_dual_mov_b32 v9, v8 :: v_dual_mov_b32 v21, v13
	s_mov_b32 s30, s12
	s_mov_b32 s31, s2
	s_delay_alu instid0(VALU_DEP_2) | instskip(NEXT) | instid1(VALU_DEP_4)
	v_add_nc_u64_e32 v[18:19], 16, v[4:5]
	v_dual_mov_b32 v17, v15 :: v_dual_bitop2_b32 v16, -2, v14 bitop3:0x40
	v_mov_b32_e32 v20, v12
	v_mov_b64_e32 v[4:5], v[2:3]
	v_mov_b64_e32 v[2:3], v[0:1]
	s_mov_b32 s26, s10
	v_mov_b64_e32 v[22:23], v[16:17]
	s_mov_b32 s27, s11
	s_mov_b32 s33, 0
.LBB125_8:                              ; =>This Inner Loop Header: Depth=1
	s_delay_alu instid0(VALU_DEP_2)
	v_mul_u64_e32 v[26:27], s[10:11], v[2:3]
	v_mul_u64_e32 v[28:29], s[26:27], v[4:5]
	s_clause 0x1
	global_load_b32 v25, v[18:19], off offset:-16
	global_load_b32 v34, v[18:19], off
	v_add_nc_u64_e32 v[22:23], -2, v[22:23]
	s_wait_xcnt 0x0
	v_add_nc_u64_e32 v[18:19], 32, v[18:19]
	s_delay_alu instid0(VALU_DEP_2)
	v_cmp_eq_u64_e32 vcc_lo, 0, v[22:23]
	s_or_b32 s33, vcc_lo, s33
	v_lshl_add_u64 v[26:27], v[26:27], 2, v[10:11]
	v_lshl_add_u64 v[28:29], v[28:29], 2, v[10:11]
	s_clause 0x1
	global_load_b32 v35, v[26:27], off
	global_load_b32 v36, v[28:29], off
	s_wait_xcnt 0x1
	v_sub_nc_u64_e64 v[26:27], v[2:3], s[24:25]
	s_wait_xcnt 0x0
	v_sub_nc_u64_e64 v[28:29], v[4:5], s[0:1]
	v_add_nc_u64_e32 v[4:5], 8, v[4:5]
	v_add_nc_u64_e32 v[2:3], 8, v[2:3]
	s_delay_alu instid0(VALU_DEP_4) | instskip(NEXT) | instid1(VALU_DEP_4)
	v_mad_nc_u64_u32 v[30:31], v26, s12, v[12:13]
	v_mad_nc_u64_u32 v[32:33], v28, s30, v[20:21]
	s_delay_alu instid0(VALU_DEP_2) | instskip(NEXT) | instid1(VALU_DEP_2)
	v_mad_u32 v31, v27, s12, v31
	v_mad_u32 v33, v29, s30, v33
	s_delay_alu instid0(VALU_DEP_2) | instskip(NEXT) | instid1(VALU_DEP_2)
	v_lshlrev_b64_e32 v[26:27], 2, v[30:31]
	v_lshlrev_b64_e32 v[28:29], 2, v[32:33]
	s_wait_kmcnt 0x0
	s_delay_alu instid0(VALU_DEP_1)
	v_add_nc_u64_e32 v[32:33], s[20:21], v[28:29]
	v_add_nc_u64_e32 v[28:29], s[18:19], v[28:29]
	s_wait_loadcnt 0x3
	v_subrev_nc_u32_e32 v25, s28, v25
	s_wait_loadcnt 0x2
	v_subrev_nc_u32_e32 v30, s29, v34
	s_delay_alu instid0(VALU_DEP_2) | instskip(NEXT) | instid1(VALU_DEP_2)
	v_mad_u32 v25, v25, s2, v8
	v_mad_u32 v34, v30, s31, v9
	v_add_nc_u64_e32 v[30:31], s[20:21], v[26:27]
	v_add_nc_u64_e32 v[26:27], s[18:19], v[26:27]
	s_clause 0x1
	global_store_b32 v[30:31], v25, off
	global_store_b32 v[32:33], v34, off
	s_wait_loadcnt 0x1
	global_store_b32 v[26:27], v35, off
	s_wait_loadcnt 0x0
	global_store_b32 v[28:29], v36, off
	s_wait_xcnt 0x0
	s_and_not1_b32 exec_lo, exec_lo, s33
	s_cbranch_execnz .LBB125_8
; %bb.9:
	s_or_b32 exec_lo, exec_lo, s33
	v_cmp_ne_u64_e32 vcc_lo, v[14:15], v[16:17]
	v_lshl_add_u64 v[0:1], v[16:17], 2, v[0:1]
	s_and_b32 s1, vcc_lo, exec_lo
	s_and_not1_saveexec_b32 s0, s3
	s_cbranch_execz .LBB125_6
.LBB125_10:
	s_or_b32 s1, s1, exec_lo
	s_or_b32 exec_lo, exec_lo, s0
	s_delay_alu instid0(SALU_CYCLE_1)
	s_and_b32 exec_lo, exec_lo, s1
	s_cbranch_execz .LBB125_13
.LBB125_11:
	v_mad_nc_u64_u32 v[2:3], s16, v24, v[0:1]
	v_mul_u64_e32 v[4:5], s[10:11], v[0:1]
	s_lshl_b64 s[0:1], s[10:11], 4
	s_mov_b32 s3, 0
	s_delay_alu instid0(VALU_DEP_2) | instskip(NEXT) | instid1(VALU_DEP_1)
	v_mad_u32 v3, s17, v24, v3
	v_add_nc_u64_e32 v[2:3], s[8:9], v[2:3]
	s_delay_alu instid0(VALU_DEP_1) | instskip(SKIP_1) | instid1(VALU_DEP_4)
	v_sub_nc_u64_e64 v[2:3], v[2:3], s[4:5]
	s_lshl_b64 s[4:5], s[12:13], 4
	v_lshl_add_u64 v[4:5], v[4:5], 2, v[10:11]
	s_delay_alu instid0(VALU_DEP_2) | instskip(NEXT) | instid1(VALU_DEP_1)
	v_mad_nc_u64_u32 v[12:13], v2, s12, s[14:15]
	v_mad_u32 v13, v3, s12, v13
	s_delay_alu instid0(VALU_DEP_1) | instskip(SKIP_1) | instid1(VALU_DEP_2)
	v_add_nc_u64_e32 v[2:3], v[12:13], v[6:7]
	v_lshl_add_u64 v[6:7], v[0:1], 2, s[22:23]
	v_lshlrev_b64_e32 v[2:3], 2, v[2:3]
.LBB125_12:                             ; =>This Inner Loop Header: Depth=1
	global_load_b32 v9, v[6:7], off
	global_load_b32 v14, v[4:5], off
	v_add_nc_u64_e32 v[0:1], 4, v[0:1]
	s_wait_kmcnt 0x0
	v_add_nc_u64_e32 v[10:11], s[20:21], v[2:3]
	v_add_nc_u64_e32 v[12:13], s[18:19], v[2:3]
	s_wait_xcnt 0x0
	v_add_nc_u64_e32 v[4:5], s[0:1], v[4:5]
	v_add_nc_u64_e32 v[2:3], s[4:5], v[2:3]
	;; [unrolled: 1-line block ×3, first 2 shown]
	v_cmp_le_i64_e32 vcc_lo, s[6:7], v[0:1]
	s_or_b32 s3, vcc_lo, s3
	s_wait_loadcnt 0x1
	v_subrev_nc_u32_e32 v9, s8, v9
	s_delay_alu instid0(VALU_DEP_1)
	v_mad_u32 v9, v9, s2, v8
	s_wait_loadcnt 0x0
	global_store_b32 v[12:13], v14, off
	global_store_b32 v[10:11], v9, off
	s_wait_xcnt 0x0
	s_and_not1_b32 exec_lo, exec_lo, s3
	s_cbranch_execnz .LBB125_12
.LBB125_13:
	s_endpgm
	.section	.rodata,"a",@progbits
	.p2align	6, 0x0
	.amdhsa_kernel _ZN9rocsparseL33bsr2csr_block_per_row_8_32_kernelILj1024ELj16EfliEEv20rocsparse_direction_T3_S2_21rocsparse_index_base_PKT1_PKT2_PKS2_S2_S3_PS4_PS7_PS2_
		.amdhsa_group_segment_fixed_size 0
		.amdhsa_private_segment_fixed_size 0
		.amdhsa_kernarg_size 72
		.amdhsa_user_sgpr_count 2
		.amdhsa_user_sgpr_dispatch_ptr 0
		.amdhsa_user_sgpr_queue_ptr 0
		.amdhsa_user_sgpr_kernarg_segment_ptr 1
		.amdhsa_user_sgpr_dispatch_id 0
		.amdhsa_user_sgpr_kernarg_preload_length 0
		.amdhsa_user_sgpr_kernarg_preload_offset 0
		.amdhsa_user_sgpr_private_segment_size 0
		.amdhsa_wavefront_size32 1
		.amdhsa_uses_dynamic_stack 0
		.amdhsa_enable_private_segment 0
		.amdhsa_system_sgpr_workgroup_id_x 1
		.amdhsa_system_sgpr_workgroup_id_y 0
		.amdhsa_system_sgpr_workgroup_id_z 0
		.amdhsa_system_sgpr_workgroup_info 0
		.amdhsa_system_vgpr_workitem_id 0
		.amdhsa_next_free_vgpr 37
		.amdhsa_next_free_sgpr 34
		.amdhsa_named_barrier_count 0
		.amdhsa_reserve_vcc 1
		.amdhsa_float_round_mode_32 0
		.amdhsa_float_round_mode_16_64 0
		.amdhsa_float_denorm_mode_32 3
		.amdhsa_float_denorm_mode_16_64 3
		.amdhsa_fp16_overflow 0
		.amdhsa_memory_ordered 1
		.amdhsa_forward_progress 1
		.amdhsa_inst_pref_size 11
		.amdhsa_round_robin_scheduling 0
		.amdhsa_exception_fp_ieee_invalid_op 0
		.amdhsa_exception_fp_denorm_src 0
		.amdhsa_exception_fp_ieee_div_zero 0
		.amdhsa_exception_fp_ieee_overflow 0
		.amdhsa_exception_fp_ieee_underflow 0
		.amdhsa_exception_fp_ieee_inexact 0
		.amdhsa_exception_int_div_zero 0
	.end_amdhsa_kernel
	.section	.text._ZN9rocsparseL33bsr2csr_block_per_row_8_32_kernelILj1024ELj16EfliEEv20rocsparse_direction_T3_S2_21rocsparse_index_base_PKT1_PKT2_PKS2_S2_S3_PS4_PS7_PS2_,"axG",@progbits,_ZN9rocsparseL33bsr2csr_block_per_row_8_32_kernelILj1024ELj16EfliEEv20rocsparse_direction_T3_S2_21rocsparse_index_base_PKT1_PKT2_PKS2_S2_S3_PS4_PS7_PS2_,comdat
.Lfunc_end125:
	.size	_ZN9rocsparseL33bsr2csr_block_per_row_8_32_kernelILj1024ELj16EfliEEv20rocsparse_direction_T3_S2_21rocsparse_index_base_PKT1_PKT2_PKS2_S2_S3_PS4_PS7_PS2_, .Lfunc_end125-_ZN9rocsparseL33bsr2csr_block_per_row_8_32_kernelILj1024ELj16EfliEEv20rocsparse_direction_T3_S2_21rocsparse_index_base_PKT1_PKT2_PKS2_S2_S3_PS4_PS7_PS2_
                                        ; -- End function
	.set _ZN9rocsparseL33bsr2csr_block_per_row_8_32_kernelILj1024ELj16EfliEEv20rocsparse_direction_T3_S2_21rocsparse_index_base_PKT1_PKT2_PKS2_S2_S3_PS4_PS7_PS2_.num_vgpr, 37
	.set _ZN9rocsparseL33bsr2csr_block_per_row_8_32_kernelILj1024ELj16EfliEEv20rocsparse_direction_T3_S2_21rocsparse_index_base_PKT1_PKT2_PKS2_S2_S3_PS4_PS7_PS2_.num_agpr, 0
	.set _ZN9rocsparseL33bsr2csr_block_per_row_8_32_kernelILj1024ELj16EfliEEv20rocsparse_direction_T3_S2_21rocsparse_index_base_PKT1_PKT2_PKS2_S2_S3_PS4_PS7_PS2_.numbered_sgpr, 34
	.set _ZN9rocsparseL33bsr2csr_block_per_row_8_32_kernelILj1024ELj16EfliEEv20rocsparse_direction_T3_S2_21rocsparse_index_base_PKT1_PKT2_PKS2_S2_S3_PS4_PS7_PS2_.num_named_barrier, 0
	.set _ZN9rocsparseL33bsr2csr_block_per_row_8_32_kernelILj1024ELj16EfliEEv20rocsparse_direction_T3_S2_21rocsparse_index_base_PKT1_PKT2_PKS2_S2_S3_PS4_PS7_PS2_.private_seg_size, 0
	.set _ZN9rocsparseL33bsr2csr_block_per_row_8_32_kernelILj1024ELj16EfliEEv20rocsparse_direction_T3_S2_21rocsparse_index_base_PKT1_PKT2_PKS2_S2_S3_PS4_PS7_PS2_.uses_vcc, 1
	.set _ZN9rocsparseL33bsr2csr_block_per_row_8_32_kernelILj1024ELj16EfliEEv20rocsparse_direction_T3_S2_21rocsparse_index_base_PKT1_PKT2_PKS2_S2_S3_PS4_PS7_PS2_.uses_flat_scratch, 0
	.set _ZN9rocsparseL33bsr2csr_block_per_row_8_32_kernelILj1024ELj16EfliEEv20rocsparse_direction_T3_S2_21rocsparse_index_base_PKT1_PKT2_PKS2_S2_S3_PS4_PS7_PS2_.has_dyn_sized_stack, 0
	.set _ZN9rocsparseL33bsr2csr_block_per_row_8_32_kernelILj1024ELj16EfliEEv20rocsparse_direction_T3_S2_21rocsparse_index_base_PKT1_PKT2_PKS2_S2_S3_PS4_PS7_PS2_.has_recursion, 0
	.set _ZN9rocsparseL33bsr2csr_block_per_row_8_32_kernelILj1024ELj16EfliEEv20rocsparse_direction_T3_S2_21rocsparse_index_base_PKT1_PKT2_PKS2_S2_S3_PS4_PS7_PS2_.has_indirect_call, 0
	.section	.AMDGPU.csdata,"",@progbits
; Kernel info:
; codeLenInByte = 1288
; TotalNumSgprs: 36
; NumVgprs: 37
; ScratchSize: 0
; MemoryBound: 0
; FloatMode: 240
; IeeeMode: 1
; LDSByteSize: 0 bytes/workgroup (compile time only)
; SGPRBlocks: 0
; VGPRBlocks: 2
; NumSGPRsForWavesPerEU: 36
; NumVGPRsForWavesPerEU: 37
; NamedBarCnt: 0
; Occupancy: 16
; WaveLimiterHint : 0
; COMPUTE_PGM_RSRC2:SCRATCH_EN: 0
; COMPUTE_PGM_RSRC2:USER_SGPR: 2
; COMPUTE_PGM_RSRC2:TRAP_HANDLER: 0
; COMPUTE_PGM_RSRC2:TGID_X_EN: 1
; COMPUTE_PGM_RSRC2:TGID_Y_EN: 0
; COMPUTE_PGM_RSRC2:TGID_Z_EN: 0
; COMPUTE_PGM_RSRC2:TIDIG_COMP_CNT: 0
	.section	.text._ZN9rocsparseL33bsr2csr_block_per_row_8_32_kernelILj1024ELj32EfliEEv20rocsparse_direction_T3_S2_21rocsparse_index_base_PKT1_PKT2_PKS2_S2_S3_PS4_PS7_PS2_,"axG",@progbits,_ZN9rocsparseL33bsr2csr_block_per_row_8_32_kernelILj1024ELj32EfliEEv20rocsparse_direction_T3_S2_21rocsparse_index_base_PKT1_PKT2_PKS2_S2_S3_PS4_PS7_PS2_,comdat
	.globl	_ZN9rocsparseL33bsr2csr_block_per_row_8_32_kernelILj1024ELj32EfliEEv20rocsparse_direction_T3_S2_21rocsparse_index_base_PKT1_PKT2_PKS2_S2_S3_PS4_PS7_PS2_ ; -- Begin function _ZN9rocsparseL33bsr2csr_block_per_row_8_32_kernelILj1024ELj32EfliEEv20rocsparse_direction_T3_S2_21rocsparse_index_base_PKT1_PKT2_PKS2_S2_S3_PS4_PS7_PS2_
	.p2align	8
	.type	_ZN9rocsparseL33bsr2csr_block_per_row_8_32_kernelILj1024ELj32EfliEEv20rocsparse_direction_T3_S2_21rocsparse_index_base_PKT1_PKT2_PKS2_S2_S3_PS4_PS7_PS2_,@function
_ZN9rocsparseL33bsr2csr_block_per_row_8_32_kernelILj1024ELj32EfliEEv20rocsparse_direction_T3_S2_21rocsparse_index_base_PKT1_PKT2_PKS2_S2_S3_PS4_PS7_PS2_: ; @_ZN9rocsparseL33bsr2csr_block_per_row_8_32_kernelILj1024ELj32EfliEEv20rocsparse_direction_T3_S2_21rocsparse_index_base_PKT1_PKT2_PKS2_S2_S3_PS4_PS7_PS2_
; %bb.0:
	s_clause 0x1
	s_load_b64 s[2:3], s[0:1], 0x28
	s_load_b64 s[16:17], s[0:1], 0x38
	s_bfe_u32 s4, ttmp6, 0x4000c
	s_and_b32 s5, ttmp6, 15
	s_add_co_i32 s4, s4, 1
	s_getreg_b32 s6, hwreg(HW_REG_IB_STS2, 6, 4)
	s_mul_i32 s4, ttmp9, s4
	s_delay_alu instid0(SALU_CYCLE_1) | instskip(SKIP_3) | instid1(SALU_CYCLE_1)
	s_add_co_i32 s5, s5, s4
	s_cmp_eq_u32 s6, 0
	s_mov_b32 s4, exec_lo
	s_cselect_b32 s22, ttmp9, s5
	v_or_b32_e32 v1, s22, v0
	s_delay_alu instid0(VALU_DEP_1)
	v_cmpx_eq_u32_e32 0, v1
	s_cbranch_execz .LBB126_2
; %bb.1:
	s_wait_kmcnt 0x0
	v_dual_mov_b32 v2, s3 :: v_dual_mov_b32 v3, 0
	global_store_b64 v3, v[2:3], s[16:17]
.LBB126_2:
	s_wait_xcnt 0x0
	s_or_b32 exec_lo, exec_lo, s4
	v_dual_lshrrev_b32 v4, 5, v0 :: v_dual_bitop2_b32 v2, 31, v0 bitop3:0x40
	s_mov_b32 s4, exec_lo
	s_delay_alu instid0(VALU_DEP_1) | instskip(SKIP_1) | instid1(VALU_DEP_1)
	v_max_i32_e32 v0, v4, v2
	s_wait_kmcnt 0x0
	v_cmpx_gt_i32_e64 s2, v0
	s_cbranch_execz .LBB126_6
; %bb.3:
	s_clause 0x1
	s_load_b64 s[4:5], s[0:1], 0x18
	s_load_b32 s8, s[0:1], 0xc
	s_ashr_i32 s23, s22, 31
	s_mov_b32 s9, 0
	s_lshl_b64 s[6:7], s[22:23], 3
	s_mul_i32 s14, s2, s2
	s_mov_b32 s18, s2
	s_mov_b32 s15, s9
	;; [unrolled: 1-line block ×4, first 2 shown]
	v_mad_u32 v3, s2, s22, v4
	s_mov_b32 s27, s9
	s_wait_kmcnt 0x0
	s_add_nc_u64 s[10:11], s[4:5], s[6:7]
	s_load_b128 s[4:7], s[10:11], 0x0
	s_wait_kmcnt 0x0
	s_sub_nc_u64 s[10:11], s[4:5], s[8:9]
	s_sub_nc_u64 s[12:13], s[6:7], s[8:9]
	s_mul_u64 s[20:21], s[10:11], s[14:15]
	s_sub_nc_u64 s[24:25], s[12:13], s[10:11]
	v_cmp_ge_i64_e64 s6, s[4:5], s[6:7]
	s_mul_u64 s[24:25], s[24:25], s[18:19]
	s_delay_alu instid0(SALU_CYCLE_1) | instskip(SKIP_2) | instid1(VALU_DEP_1)
	v_mad_nc_u64_u32 v[0:1], s24, v4, s[20:21]
	s_add_nc_u64 s[22:23], s[24:25], s[26:27]
	s_and_b32 vcc_lo, exec_lo, s6
	v_mad_u32 v1, s25, v4, v1
	s_delay_alu instid0(VALU_DEP_1)
	v_add_nc_u64_e32 v[6:7], s[22:23], v[0:1]
	global_store_b64 v3, v[6:7], s[16:17] offset:8 scale_offset
	s_cbranch_vccnz .LBB126_6
; %bb.4:
	s_wait_xcnt 0x0
	s_clause 0x3
	s_load_b64 s[16:17], s[0:1], 0x10
	s_load_b64 s[22:23], s[0:1], 0x20
	;; [unrolled: 1-line block ×3, first 2 shown]
	s_load_b32 s24, s[0:1], 0x0
	v_mul_lo_u32 v6, s2, v2
	v_mov_b32_e32 v3, 0
	v_mul_lo_u32 v8, s2, v4
	v_dual_lshlrev_b32 v4, 2, v4 :: v_dual_lshlrev_b32 v10, 2, v2
	s_wait_xcnt 0x0
	s_load_b64 s[0:1], s[0:1], 0x40
	v_dual_mov_b32 v7, v3 :: v_dual_mov_b32 v9, v3
	v_mov_b32_e32 v5, v3
	v_add_nc_u64_e32 v[0:1], v[0:1], v[2:3]
	s_delay_alu instid0(VALU_DEP_1)
	v_lshlrev_b64_e32 v[0:1], 2, v[0:1]
	s_wait_kmcnt 0x0
	v_lshl_add_u64 v[6:7], v[6:7], 2, s[16:17]
	v_lshl_add_u64 v[8:9], v[8:9], 2, s[16:17]
	s_cmp_eq_u32 s24, 0
	s_cselect_b32 vcc_lo, -1, 0
	s_delay_alu instid0(VALU_DEP_2)
	v_add_nc_u64_e32 v[4:5], v[6:7], v[4:5]
	v_mov_b32_e32 v11, v3
	s_lshl_b64 s[16:17], s[4:5], 2
	s_lshl_b64 s[24:25], s[8:9], 2
	;; [unrolled: 1-line block ×3, first 2 shown]
	s_sub_nc_u64 s[16:17], s[16:17], s[24:25]
	v_add_nc_u64_e32 v[6:7], v[8:9], v[10:11]
	s_lshl_b64 s[14:15], s[18:19], 2
	s_add_nc_u64 s[16:17], s[22:23], s[16:17]
	s_delay_alu instid0(VALU_DEP_1) | instskip(SKIP_1) | instid1(VALU_DEP_2)
	v_dual_cndmask_b32 v7, v5, v7 :: v_dual_cndmask_b32 v6, v4, v6
	v_add_nc_u32_e32 v4, s3, v2
	v_lshl_add_u64 v[2:3], s[20:21], 2, v[6:7]
.LBB126_5:                              ; =>This Inner Loop Header: Depth=1
	global_load_b32 v5, v[2:3], off
	s_load_b32 s3, s[16:17], 0x0
	s_add_nc_u64 s[10:11], s[10:11], 1
	v_add_nc_u64_e32 v[6:7], s[0:1], v[0:1]
	v_cmp_lt_i64_e64 s9, s[10:11], s[12:13]
	v_add_nc_u64_e32 v[8:9], s[6:7], v[0:1]
	v_add_nc_u64_e32 v[2:3], s[4:5], v[2:3]
	;; [unrolled: 1-line block ×3, first 2 shown]
	s_wait_xcnt 0x0
	s_add_nc_u64 s[16:17], s[16:17], 4
	s_and_b32 vcc_lo, exec_lo, s9
	s_wait_kmcnt 0x0
	s_sub_co_i32 s3, s3, s8
	s_delay_alu instid0(SALU_CYCLE_1)
	v_mad_u32 v10, s3, s2, v4
	global_store_b32 v[6:7], v10, off
	s_wait_loadcnt 0x0
	global_store_b32 v[8:9], v5, off
	s_cbranch_vccnz .LBB126_5
.LBB126_6:
	s_endpgm
	.section	.rodata,"a",@progbits
	.p2align	6, 0x0
	.amdhsa_kernel _ZN9rocsparseL33bsr2csr_block_per_row_8_32_kernelILj1024ELj32EfliEEv20rocsparse_direction_T3_S2_21rocsparse_index_base_PKT1_PKT2_PKS2_S2_S3_PS4_PS7_PS2_
		.amdhsa_group_segment_fixed_size 0
		.amdhsa_private_segment_fixed_size 0
		.amdhsa_kernarg_size 72
		.amdhsa_user_sgpr_count 2
		.amdhsa_user_sgpr_dispatch_ptr 0
		.amdhsa_user_sgpr_queue_ptr 0
		.amdhsa_user_sgpr_kernarg_segment_ptr 1
		.amdhsa_user_sgpr_dispatch_id 0
		.amdhsa_user_sgpr_kernarg_preload_length 0
		.amdhsa_user_sgpr_kernarg_preload_offset 0
		.amdhsa_user_sgpr_private_segment_size 0
		.amdhsa_wavefront_size32 1
		.amdhsa_uses_dynamic_stack 0
		.amdhsa_enable_private_segment 0
		.amdhsa_system_sgpr_workgroup_id_x 1
		.amdhsa_system_sgpr_workgroup_id_y 0
		.amdhsa_system_sgpr_workgroup_id_z 0
		.amdhsa_system_sgpr_workgroup_info 0
		.amdhsa_system_vgpr_workitem_id 0
		.amdhsa_next_free_vgpr 12
		.amdhsa_next_free_sgpr 28
		.amdhsa_named_barrier_count 0
		.amdhsa_reserve_vcc 1
		.amdhsa_float_round_mode_32 0
		.amdhsa_float_round_mode_16_64 0
		.amdhsa_float_denorm_mode_32 3
		.amdhsa_float_denorm_mode_16_64 3
		.amdhsa_fp16_overflow 0
		.amdhsa_memory_ordered 1
		.amdhsa_forward_progress 1
		.amdhsa_inst_pref_size 5
		.amdhsa_round_robin_scheduling 0
		.amdhsa_exception_fp_ieee_invalid_op 0
		.amdhsa_exception_fp_denorm_src 0
		.amdhsa_exception_fp_ieee_div_zero 0
		.amdhsa_exception_fp_ieee_overflow 0
		.amdhsa_exception_fp_ieee_underflow 0
		.amdhsa_exception_fp_ieee_inexact 0
		.amdhsa_exception_int_div_zero 0
	.end_amdhsa_kernel
	.section	.text._ZN9rocsparseL33bsr2csr_block_per_row_8_32_kernelILj1024ELj32EfliEEv20rocsparse_direction_T3_S2_21rocsparse_index_base_PKT1_PKT2_PKS2_S2_S3_PS4_PS7_PS2_,"axG",@progbits,_ZN9rocsparseL33bsr2csr_block_per_row_8_32_kernelILj1024ELj32EfliEEv20rocsparse_direction_T3_S2_21rocsparse_index_base_PKT1_PKT2_PKS2_S2_S3_PS4_PS7_PS2_,comdat
.Lfunc_end126:
	.size	_ZN9rocsparseL33bsr2csr_block_per_row_8_32_kernelILj1024ELj32EfliEEv20rocsparse_direction_T3_S2_21rocsparse_index_base_PKT1_PKT2_PKS2_S2_S3_PS4_PS7_PS2_, .Lfunc_end126-_ZN9rocsparseL33bsr2csr_block_per_row_8_32_kernelILj1024ELj32EfliEEv20rocsparse_direction_T3_S2_21rocsparse_index_base_PKT1_PKT2_PKS2_S2_S3_PS4_PS7_PS2_
                                        ; -- End function
	.set _ZN9rocsparseL33bsr2csr_block_per_row_8_32_kernelILj1024ELj32EfliEEv20rocsparse_direction_T3_S2_21rocsparse_index_base_PKT1_PKT2_PKS2_S2_S3_PS4_PS7_PS2_.num_vgpr, 12
	.set _ZN9rocsparseL33bsr2csr_block_per_row_8_32_kernelILj1024ELj32EfliEEv20rocsparse_direction_T3_S2_21rocsparse_index_base_PKT1_PKT2_PKS2_S2_S3_PS4_PS7_PS2_.num_agpr, 0
	.set _ZN9rocsparseL33bsr2csr_block_per_row_8_32_kernelILj1024ELj32EfliEEv20rocsparse_direction_T3_S2_21rocsparse_index_base_PKT1_PKT2_PKS2_S2_S3_PS4_PS7_PS2_.numbered_sgpr, 28
	.set _ZN9rocsparseL33bsr2csr_block_per_row_8_32_kernelILj1024ELj32EfliEEv20rocsparse_direction_T3_S2_21rocsparse_index_base_PKT1_PKT2_PKS2_S2_S3_PS4_PS7_PS2_.num_named_barrier, 0
	.set _ZN9rocsparseL33bsr2csr_block_per_row_8_32_kernelILj1024ELj32EfliEEv20rocsparse_direction_T3_S2_21rocsparse_index_base_PKT1_PKT2_PKS2_S2_S3_PS4_PS7_PS2_.private_seg_size, 0
	.set _ZN9rocsparseL33bsr2csr_block_per_row_8_32_kernelILj1024ELj32EfliEEv20rocsparse_direction_T3_S2_21rocsparse_index_base_PKT1_PKT2_PKS2_S2_S3_PS4_PS7_PS2_.uses_vcc, 1
	.set _ZN9rocsparseL33bsr2csr_block_per_row_8_32_kernelILj1024ELj32EfliEEv20rocsparse_direction_T3_S2_21rocsparse_index_base_PKT1_PKT2_PKS2_S2_S3_PS4_PS7_PS2_.uses_flat_scratch, 0
	.set _ZN9rocsparseL33bsr2csr_block_per_row_8_32_kernelILj1024ELj32EfliEEv20rocsparse_direction_T3_S2_21rocsparse_index_base_PKT1_PKT2_PKS2_S2_S3_PS4_PS7_PS2_.has_dyn_sized_stack, 0
	.set _ZN9rocsparseL33bsr2csr_block_per_row_8_32_kernelILj1024ELj32EfliEEv20rocsparse_direction_T3_S2_21rocsparse_index_base_PKT1_PKT2_PKS2_S2_S3_PS4_PS7_PS2_.has_recursion, 0
	.set _ZN9rocsparseL33bsr2csr_block_per_row_8_32_kernelILj1024ELj32EfliEEv20rocsparse_direction_T3_S2_21rocsparse_index_base_PKT1_PKT2_PKS2_S2_S3_PS4_PS7_PS2_.has_indirect_call, 0
	.section	.AMDGPU.csdata,"",@progbits
; Kernel info:
; codeLenInByte = 636
; TotalNumSgprs: 30
; NumVgprs: 12
; ScratchSize: 0
; MemoryBound: 0
; FloatMode: 240
; IeeeMode: 1
; LDSByteSize: 0 bytes/workgroup (compile time only)
; SGPRBlocks: 0
; VGPRBlocks: 0
; NumSGPRsForWavesPerEU: 30
; NumVGPRsForWavesPerEU: 12
; NamedBarCnt: 0
; Occupancy: 16
; WaveLimiterHint : 0
; COMPUTE_PGM_RSRC2:SCRATCH_EN: 0
; COMPUTE_PGM_RSRC2:USER_SGPR: 2
; COMPUTE_PGM_RSRC2:TRAP_HANDLER: 0
; COMPUTE_PGM_RSRC2:TGID_X_EN: 1
; COMPUTE_PGM_RSRC2:TGID_Y_EN: 0
; COMPUTE_PGM_RSRC2:TGID_Z_EN: 0
; COMPUTE_PGM_RSRC2:TIDIG_COMP_CNT: 0
	.section	.text._ZN9rocsparseL35bsr2csr_block_per_row_33_256_kernelILj1024ELj64ELj32EfliEEv20rocsparse_direction_T4_S2_21rocsparse_index_base_PKT2_PKT3_PKS2_S2_S3_PS4_PS7_PS2_,"axG",@progbits,_ZN9rocsparseL35bsr2csr_block_per_row_33_256_kernelILj1024ELj64ELj32EfliEEv20rocsparse_direction_T4_S2_21rocsparse_index_base_PKT2_PKT3_PKS2_S2_S3_PS4_PS7_PS2_,comdat
	.globl	_ZN9rocsparseL35bsr2csr_block_per_row_33_256_kernelILj1024ELj64ELj32EfliEEv20rocsparse_direction_T4_S2_21rocsparse_index_base_PKT2_PKT3_PKS2_S2_S3_PS4_PS7_PS2_ ; -- Begin function _ZN9rocsparseL35bsr2csr_block_per_row_33_256_kernelILj1024ELj64ELj32EfliEEv20rocsparse_direction_T4_S2_21rocsparse_index_base_PKT2_PKT3_PKS2_S2_S3_PS4_PS7_PS2_
	.p2align	8
	.type	_ZN9rocsparseL35bsr2csr_block_per_row_33_256_kernelILj1024ELj64ELj32EfliEEv20rocsparse_direction_T4_S2_21rocsparse_index_base_PKT2_PKT3_PKS2_S2_S3_PS4_PS7_PS2_,@function
_ZN9rocsparseL35bsr2csr_block_per_row_33_256_kernelILj1024ELj64ELj32EfliEEv20rocsparse_direction_T4_S2_21rocsparse_index_base_PKT2_PKT3_PKS2_S2_S3_PS4_PS7_PS2_: ; @_ZN9rocsparseL35bsr2csr_block_per_row_33_256_kernelILj1024ELj64ELj32EfliEEv20rocsparse_direction_T4_S2_21rocsparse_index_base_PKT2_PKT3_PKS2_S2_S3_PS4_PS7_PS2_
; %bb.0:
	s_load_b64 s[2:3], s[0:1], 0x18
	s_bfe_u32 s4, ttmp6, 0x4000c
	s_and_b32 s5, ttmp6, 15
	s_add_co_i32 s4, s4, 1
	s_getreg_b32 s6, hwreg(HW_REG_IB_STS2, 6, 4)
	s_mul_i32 s4, ttmp9, s4
	s_clause 0x1
	s_load_b64 s[8:9], s[0:1], 0x28
	s_load_b64 s[24:25], s[0:1], 0x38
	s_add_co_i32 s5, s5, s4
	s_cmp_eq_u32 s6, 0
	s_mov_b32 s11, 0
	s_cselect_b32 s26, ttmp9, s5
	s_mov_b32 s13, s11
	s_ashr_i32 s27, s26, 31
	v_or_b32_e32 v1, s26, v0
	s_lshl_b64 s[4:5], s[26:27], 3
	s_wait_kmcnt 0x0
	s_add_nc_u64 s[2:3], s[2:3], s[4:5]
	s_load_b128 s[4:7], s[2:3], 0x0
	s_wait_xcnt 0x0
	s_mov_b32 s2, exec_lo
	s_mov_b32 s12, s9
	v_cmpx_eq_u32_e32 0, v1
	s_cbranch_execz .LBB127_2
; %bb.1:
	v_mov_b64_e32 v[2:3], s[12:13]
	v_mov_b32_e32 v1, 0
	global_store_b64 v1, v[2:3], s[24:25]
.LBB127_2:
	s_wait_xcnt 0x0
	s_or_b32 exec_lo, exec_lo, s2
	s_load_b32 s10, s[0:1], 0xc
	v_lshrrev_b32_e32 v2, 5, v0
	s_mul_i32 s18, s8, s8
	s_mov_b32 s19, s11
	s_mov_b32 s9, s11
	s_mul_i32 s26, s8, s26
	v_cmp_gt_i32_e64 s2, s8, v2
	s_wait_kmcnt 0x0
	s_sub_nc_u64 s[14:15], s[4:5], s[10:11]
	s_sub_nc_u64 s[16:17], s[6:7], s[10:11]
	s_mul_u64 s[20:21], s[14:15], s[18:19]
	s_sub_nc_u64 s[22:23], s[16:17], s[14:15]
	s_add_nc_u64 s[30:31], s[20:21], s[12:13]
	s_mul_u64 s[28:29], s[22:23], s[8:9]
	s_delay_alu instid0(SALU_CYCLE_1)
	s_add_nc_u64 s[30:31], s[30:31], s[28:29]
	s_and_saveexec_b32 s3, s2
	s_cbranch_execz .LBB127_4
; %bb.3:
	v_mad_nc_u64_u32 v[4:5], s28, v2, s[30:31]
	v_add_nc_u32_e32 v1, s26, v2
	s_delay_alu instid0(VALU_DEP_2)
	v_mad_u32 v5, s29, v2, v5
	global_store_b64 v1, v[4:5], s[24:25] offset:8 scale_offset
.LBB127_4:
	s_wait_xcnt 0x0
	s_or_b32 exec_lo, exec_lo, s3
	v_or_b32_e32 v4, 32, v2
	s_delay_alu instid0(VALU_DEP_1)
	v_cmp_gt_i32_e64 s3, s8, v4
	s_and_saveexec_b32 s13, s3
	s_cbranch_execz .LBB127_6
; %bb.5:
	v_mad_nc_u64_u32 v[6:7], s28, v4, s[30:31]
	v_mov_b32_e32 v3, 0
	s_ashr_i32 s27, s26, 31
	s_delay_alu instid0(VALU_DEP_1) | instid1(SALU_CYCLE_1)
	v_add_nc_u64_e32 v[8:9], s[26:27], v[2:3]
	s_delay_alu instid0(VALU_DEP_3) | instskip(NEXT) | instid1(VALU_DEP_2)
	v_mad_u32 v7, s29, v4, v7
	v_lshl_add_u64 v[8:9], v[8:9], 3, s[24:25]
	global_store_b64 v[8:9], v[6:7], off offset:264
.LBB127_6:
	s_wait_xcnt 0x0
	s_or_b32 exec_lo, exec_lo, s13
	v_cmp_lt_i64_e64 s6, s[4:5], s[6:7]
	s_and_b32 vcc_lo, exec_lo, s6
	s_cbranch_vccz .LBB127_17
; %bb.7:
	v_dual_mov_b32 v3, 0 :: v_dual_bitop2_b32 v28, 31, v0 bitop3:0x40
	s_clause 0x4
	s_load_b64 s[6:7], s[0:1], 0x20
	s_load_b64 s[24:25], s[0:1], 0x30
	s_load_b32 s13, s[0:1], 0x0
	s_load_b64 s[26:27], s[0:1], 0x10
	s_load_b64 s[28:29], s[0:1], 0x40
	v_dual_mov_b32 v5, v3 :: v_dual_lshlrev_b32 v16, 2, v2
	v_mul_u64_e32 v[6:7], s[22:23], v[2:3]
	v_dual_lshlrev_b32 v12, 2, v28 :: v_dual_bitop2_b32 v29, 32, v28 bitop3:0x54
	s_delay_alu instid0(VALU_DEP_3)
	v_mul_u64_e32 v[4:5], s[22:23], v[4:5]
	v_mul_lo_u32 v8, v2, s8
	v_mul_lo_u32 v10, v28, s8
	v_cmp_gt_i32_e32 vcc_lo, s8, v28
	s_wait_xcnt 0x0
	v_cmp_gt_i32_e64 s1, s8, v29
	v_dual_mov_b32 v9, v3 :: v_dual_mov_b32 v11, v3
	v_dual_mov_b32 v13, v3 :: v_dual_mov_b32 v19, v3
	;; [unrolled: 1-line block ×3, first 2 shown]
	s_wait_kmcnt 0x0
	s_cmp_eq_u32 s13, 0
	s_delay_alu instid0(VALU_DEP_2)
	v_lshl_add_u64 v[0:1], v[8:9], 2, v[12:13]
	s_cselect_b32 s0, -1, 0
	s_and_b32 s13, s2, vcc_lo
	s_and_b32 s22, s2, s1
	s_lshl_b32 s2, s8, 5
	s_lshl_b64 s[20:21], s[20:21], 2
	v_dual_add_nc_u32 v14, s2, v8 :: v_dual_add_nc_u32 v18, s2, v10
	v_lshl_add_u64 v[2:3], v[10:11], 2, v[16:17]
	s_lshl_b64 s[4:5], s[4:5], 2
	s_lshl_b64 s[30:31], s[10:11], 2
	s_and_b32 s23, s3, vcc_lo
	v_lshl_add_u64 v[16:17], v[18:19], 2, v[16:17]
	s_and_b32 s1, s3, s1
	s_add_nc_u64 s[2:3], s[26:27], s[20:21]
	v_mul_u64_e32 v[6:7], s[8:9], v[6:7]
	v_mul_u64_e32 v[4:5], s[8:9], v[4:5]
	s_delay_alu instid0(VALU_DEP_2) | instskip(SKIP_1) | instid1(VALU_DEP_3)
	v_lshl_add_u64 v[22:23], v[6:7], 2, 0x80
	v_lshl_add_u64 v[6:7], v[14:15], 2, v[12:13]
	v_lshlrev_b64_e32 v[20:21], 2, v[4:5]
	v_add_nc_u64_e32 v[4:5], s[20:21], v[12:13]
	s_delay_alu instid0(VALU_DEP_4)
	v_add_nc_u64_e32 v[8:9], s[28:29], v[22:23]
	v_add_nc_u64_e32 v[14:15], s[24:25], v[22:23]
	s_sub_nc_u64 s[20:21], s[4:5], s[30:31]
	s_lshl_b64 s[4:5], s[18:19], 2
	s_add_nc_u64 s[6:7], s[6:7], s[20:21]
	v_add_nc_u64_e32 v[10:11], s[24:25], v[20:21]
	v_add_nc_u64_e32 v[12:13], s[28:29], v[20:21]
	s_lshl_b64 s[18:19], s[8:9], 2
	s_branch .LBB127_9
.LBB127_8:                              ;   in Loop: Header=BB127_9 Depth=1
	s_wait_xcnt 0x0
	s_or_b32 exec_lo, exec_lo, s9
	s_add_nc_u64 s[14:15], s[14:15], 1
	v_add_nc_u64_e32 v[4:5], s[18:19], v[4:5]
	v_cmp_ge_i64_e64 s9, s[14:15], s[16:17]
	s_add_nc_u64 s[2:3], s[2:3], s[4:5]
	s_add_nc_u64 s[6:7], s[6:7], 4
	s_and_b32 vcc_lo, exec_lo, s9
	s_cbranch_vccnz .LBB127_17
.LBB127_9:                              ; =>This Inner Loop Header: Depth=1
	s_load_b32 s9, s[6:7], 0x0
	v_add_nc_u64_e32 v[22:23], v[8:9], v[4:5]
	v_add_nc_u64_e32 v[24:25], v[14:15], v[4:5]
	;; [unrolled: 1-line block ×4, first 2 shown]
	s_wait_kmcnt 0x0
	s_sub_co_i32 s9, s9, s10
	s_delay_alu instid0(SALU_CYCLE_1) | instskip(NEXT) | instid1(SALU_CYCLE_1)
	s_mul_i32 s9, s9, s8
	s_add_co_i32 s9, s9, s12
	s_delay_alu instid0(SALU_CYCLE_1)
	v_add_nc_u32_e32 v30, s9, v28
	s_and_saveexec_b32 s11, s13
	s_cbranch_execz .LBB127_11
; %bb.10:                               ;   in Loop: Header=BB127_9 Depth=1
	v_dual_cndmask_b32 v21, v19, v27, s0 :: v_dual_cndmask_b32 v20, v18, v26, s0
	global_load_b32 v20, v[20:21], off
	global_store_b32 v[22:23], v30, off offset:-128
	s_wait_loadcnt 0x0
	global_store_b32 v[24:25], v20, off offset:-128
.LBB127_11:                             ;   in Loop: Header=BB127_9 Depth=1
	s_wait_xcnt 0x0
	s_or_b32 exec_lo, exec_lo, s11
	v_add_nc_u64_e32 v[20:21], s[2:3], v[16:17]
	v_add_nc_u32_e32 v31, s9, v29
	s_and_saveexec_b32 s9, s22
	s_cbranch_execz .LBB127_13
; %bb.12:                               ;   in Loop: Header=BB127_9 Depth=1
	v_add_nc_u64_e32 v[26:27], 0x80, v[26:27]
	s_delay_alu instid0(VALU_DEP_1)
	v_dual_cndmask_b32 v27, v21, v27, s0 :: v_dual_cndmask_b32 v26, v20, v26, s0
	global_load_b32 v26, v[26:27], off
	global_store_b32 v[22:23], v31, off
	s_wait_loadcnt 0x0
	global_store_b32 v[24:25], v26, off
.LBB127_13:                             ;   in Loop: Header=BB127_9 Depth=1
	s_wait_xcnt 0x0
	s_or_b32 exec_lo, exec_lo, s9
	v_add_nc_u64_e32 v[22:23], v[12:13], v[4:5]
	v_add_nc_u64_e32 v[24:25], v[10:11], v[4:5]
	;; [unrolled: 1-line block ×3, first 2 shown]
	s_and_saveexec_b32 s9, s23
	s_cbranch_execz .LBB127_15
; %bb.14:                               ;   in Loop: Header=BB127_9 Depth=1
	v_add_nc_u64_e32 v[18:19], 0x80, v[18:19]
	s_delay_alu instid0(VALU_DEP_1)
	v_dual_cndmask_b32 v19, v19, v27, s0 :: v_dual_cndmask_b32 v18, v18, v26, s0
	global_load_b32 v18, v[18:19], off
	global_store_b32 v[22:23], v30, off
	s_wait_loadcnt 0x0
	global_store_b32 v[24:25], v18, off
.LBB127_15:                             ;   in Loop: Header=BB127_9 Depth=1
	s_wait_xcnt 0x0
	s_or_b32 exec_lo, exec_lo, s9
	s_and_saveexec_b32 s9, s1
	s_cbranch_execz .LBB127_8
; %bb.16:                               ;   in Loop: Header=BB127_9 Depth=1
	v_dual_cndmask_b32 v19, v21, v27, s0 :: v_dual_cndmask_b32 v18, v20, v26, s0
	global_load_b32 v18, v[18:19], off offset:128
	global_store_b32 v[22:23], v31, off offset:128
	s_wait_loadcnt 0x0
	global_store_b32 v[24:25], v18, off offset:128
	s_branch .LBB127_8
.LBB127_17:
	s_endpgm
	.section	.rodata,"a",@progbits
	.p2align	6, 0x0
	.amdhsa_kernel _ZN9rocsparseL35bsr2csr_block_per_row_33_256_kernelILj1024ELj64ELj32EfliEEv20rocsparse_direction_T4_S2_21rocsparse_index_base_PKT2_PKT3_PKS2_S2_S3_PS4_PS7_PS2_
		.amdhsa_group_segment_fixed_size 0
		.amdhsa_private_segment_fixed_size 0
		.amdhsa_kernarg_size 72
		.amdhsa_user_sgpr_count 2
		.amdhsa_user_sgpr_dispatch_ptr 0
		.amdhsa_user_sgpr_queue_ptr 0
		.amdhsa_user_sgpr_kernarg_segment_ptr 1
		.amdhsa_user_sgpr_dispatch_id 0
		.amdhsa_user_sgpr_kernarg_preload_length 0
		.amdhsa_user_sgpr_kernarg_preload_offset 0
		.amdhsa_user_sgpr_private_segment_size 0
		.amdhsa_wavefront_size32 1
		.amdhsa_uses_dynamic_stack 0
		.amdhsa_enable_private_segment 0
		.amdhsa_system_sgpr_workgroup_id_x 1
		.amdhsa_system_sgpr_workgroup_id_y 0
		.amdhsa_system_sgpr_workgroup_id_z 0
		.amdhsa_system_sgpr_workgroup_info 0
		.amdhsa_system_vgpr_workitem_id 0
		.amdhsa_next_free_vgpr 32
		.amdhsa_next_free_sgpr 32
		.amdhsa_named_barrier_count 0
		.amdhsa_reserve_vcc 1
		.amdhsa_float_round_mode_32 0
		.amdhsa_float_round_mode_16_64 0
		.amdhsa_float_denorm_mode_32 3
		.amdhsa_float_denorm_mode_16_64 3
		.amdhsa_fp16_overflow 0
		.amdhsa_memory_ordered 1
		.amdhsa_forward_progress 1
		.amdhsa_inst_pref_size 9
		.amdhsa_round_robin_scheduling 0
		.amdhsa_exception_fp_ieee_invalid_op 0
		.amdhsa_exception_fp_denorm_src 0
		.amdhsa_exception_fp_ieee_div_zero 0
		.amdhsa_exception_fp_ieee_overflow 0
		.amdhsa_exception_fp_ieee_underflow 0
		.amdhsa_exception_fp_ieee_inexact 0
		.amdhsa_exception_int_div_zero 0
	.end_amdhsa_kernel
	.section	.text._ZN9rocsparseL35bsr2csr_block_per_row_33_256_kernelILj1024ELj64ELj32EfliEEv20rocsparse_direction_T4_S2_21rocsparse_index_base_PKT2_PKT3_PKS2_S2_S3_PS4_PS7_PS2_,"axG",@progbits,_ZN9rocsparseL35bsr2csr_block_per_row_33_256_kernelILj1024ELj64ELj32EfliEEv20rocsparse_direction_T4_S2_21rocsparse_index_base_PKT2_PKT3_PKS2_S2_S3_PS4_PS7_PS2_,comdat
.Lfunc_end127:
	.size	_ZN9rocsparseL35bsr2csr_block_per_row_33_256_kernelILj1024ELj64ELj32EfliEEv20rocsparse_direction_T4_S2_21rocsparse_index_base_PKT2_PKT3_PKS2_S2_S3_PS4_PS7_PS2_, .Lfunc_end127-_ZN9rocsparseL35bsr2csr_block_per_row_33_256_kernelILj1024ELj64ELj32EfliEEv20rocsparse_direction_T4_S2_21rocsparse_index_base_PKT2_PKT3_PKS2_S2_S3_PS4_PS7_PS2_
                                        ; -- End function
	.set _ZN9rocsparseL35bsr2csr_block_per_row_33_256_kernelILj1024ELj64ELj32EfliEEv20rocsparse_direction_T4_S2_21rocsparse_index_base_PKT2_PKT3_PKS2_S2_S3_PS4_PS7_PS2_.num_vgpr, 32
	.set _ZN9rocsparseL35bsr2csr_block_per_row_33_256_kernelILj1024ELj64ELj32EfliEEv20rocsparse_direction_T4_S2_21rocsparse_index_base_PKT2_PKT3_PKS2_S2_S3_PS4_PS7_PS2_.num_agpr, 0
	.set _ZN9rocsparseL35bsr2csr_block_per_row_33_256_kernelILj1024ELj64ELj32EfliEEv20rocsparse_direction_T4_S2_21rocsparse_index_base_PKT2_PKT3_PKS2_S2_S3_PS4_PS7_PS2_.numbered_sgpr, 32
	.set _ZN9rocsparseL35bsr2csr_block_per_row_33_256_kernelILj1024ELj64ELj32EfliEEv20rocsparse_direction_T4_S2_21rocsparse_index_base_PKT2_PKT3_PKS2_S2_S3_PS4_PS7_PS2_.num_named_barrier, 0
	.set _ZN9rocsparseL35bsr2csr_block_per_row_33_256_kernelILj1024ELj64ELj32EfliEEv20rocsparse_direction_T4_S2_21rocsparse_index_base_PKT2_PKT3_PKS2_S2_S3_PS4_PS7_PS2_.private_seg_size, 0
	.set _ZN9rocsparseL35bsr2csr_block_per_row_33_256_kernelILj1024ELj64ELj32EfliEEv20rocsparse_direction_T4_S2_21rocsparse_index_base_PKT2_PKT3_PKS2_S2_S3_PS4_PS7_PS2_.uses_vcc, 1
	.set _ZN9rocsparseL35bsr2csr_block_per_row_33_256_kernelILj1024ELj64ELj32EfliEEv20rocsparse_direction_T4_S2_21rocsparse_index_base_PKT2_PKT3_PKS2_S2_S3_PS4_PS7_PS2_.uses_flat_scratch, 0
	.set _ZN9rocsparseL35bsr2csr_block_per_row_33_256_kernelILj1024ELj64ELj32EfliEEv20rocsparse_direction_T4_S2_21rocsparse_index_base_PKT2_PKT3_PKS2_S2_S3_PS4_PS7_PS2_.has_dyn_sized_stack, 0
	.set _ZN9rocsparseL35bsr2csr_block_per_row_33_256_kernelILj1024ELj64ELj32EfliEEv20rocsparse_direction_T4_S2_21rocsparse_index_base_PKT2_PKT3_PKS2_S2_S3_PS4_PS7_PS2_.has_recursion, 0
	.set _ZN9rocsparseL35bsr2csr_block_per_row_33_256_kernelILj1024ELj64ELj32EfliEEv20rocsparse_direction_T4_S2_21rocsparse_index_base_PKT2_PKT3_PKS2_S2_S3_PS4_PS7_PS2_.has_indirect_call, 0
	.section	.AMDGPU.csdata,"",@progbits
; Kernel info:
; codeLenInByte = 1108
; TotalNumSgprs: 34
; NumVgprs: 32
; ScratchSize: 0
; MemoryBound: 0
; FloatMode: 240
; IeeeMode: 1
; LDSByteSize: 0 bytes/workgroup (compile time only)
; SGPRBlocks: 0
; VGPRBlocks: 1
; NumSGPRsForWavesPerEU: 34
; NumVGPRsForWavesPerEU: 32
; NamedBarCnt: 0
; Occupancy: 16
; WaveLimiterHint : 1
; COMPUTE_PGM_RSRC2:SCRATCH_EN: 0
; COMPUTE_PGM_RSRC2:USER_SGPR: 2
; COMPUTE_PGM_RSRC2:TRAP_HANDLER: 0
; COMPUTE_PGM_RSRC2:TGID_X_EN: 1
; COMPUTE_PGM_RSRC2:TGID_Y_EN: 0
; COMPUTE_PGM_RSRC2:TGID_Z_EN: 0
; COMPUTE_PGM_RSRC2:TIDIG_COMP_CNT: 0
	.section	.text._ZN9rocsparseL35bsr2csr_block_per_row_33_256_kernelILj1024ELj128ELj32EfliEEv20rocsparse_direction_T4_S2_21rocsparse_index_base_PKT2_PKT3_PKS2_S2_S3_PS4_PS7_PS2_,"axG",@progbits,_ZN9rocsparseL35bsr2csr_block_per_row_33_256_kernelILj1024ELj128ELj32EfliEEv20rocsparse_direction_T4_S2_21rocsparse_index_base_PKT2_PKT3_PKS2_S2_S3_PS4_PS7_PS2_,comdat
	.globl	_ZN9rocsparseL35bsr2csr_block_per_row_33_256_kernelILj1024ELj128ELj32EfliEEv20rocsparse_direction_T4_S2_21rocsparse_index_base_PKT2_PKT3_PKS2_S2_S3_PS4_PS7_PS2_ ; -- Begin function _ZN9rocsparseL35bsr2csr_block_per_row_33_256_kernelILj1024ELj128ELj32EfliEEv20rocsparse_direction_T4_S2_21rocsparse_index_base_PKT2_PKT3_PKS2_S2_S3_PS4_PS7_PS2_
	.p2align	8
	.type	_ZN9rocsparseL35bsr2csr_block_per_row_33_256_kernelILj1024ELj128ELj32EfliEEv20rocsparse_direction_T4_S2_21rocsparse_index_base_PKT2_PKT3_PKS2_S2_S3_PS4_PS7_PS2_,@function
_ZN9rocsparseL35bsr2csr_block_per_row_33_256_kernelILj1024ELj128ELj32EfliEEv20rocsparse_direction_T4_S2_21rocsparse_index_base_PKT2_PKT3_PKS2_S2_S3_PS4_PS7_PS2_: ; @_ZN9rocsparseL35bsr2csr_block_per_row_33_256_kernelILj1024ELj128ELj32EfliEEv20rocsparse_direction_T4_S2_21rocsparse_index_base_PKT2_PKT3_PKS2_S2_S3_PS4_PS7_PS2_
; %bb.0:
	s_load_b64 s[2:3], s[0:1], 0x18
	s_bfe_u32 s4, ttmp6, 0x4000c
	s_and_b32 s5, ttmp6, 15
	s_add_co_i32 s4, s4, 1
	s_getreg_b32 s6, hwreg(HW_REG_IB_STS2, 6, 4)
	s_mul_i32 s4, ttmp9, s4
	s_clause 0x1
	s_load_b64 s[12:13], s[0:1], 0x28
	s_load_b64 s[26:27], s[0:1], 0x38
	s_add_co_i32 s5, s5, s4
	s_cmp_eq_u32 s6, 0
	s_mov_b32 s15, 0
	s_cselect_b32 s4, ttmp9, s5
	s_mov_b32 s17, s15
	s_ashr_i32 s5, s4, 31
	v_or_b32_e32 v1, s4, v0
	s_lshl_b64 s[6:7], s[4:5], 3
	s_wait_kmcnt 0x0
	s_add_nc_u64 s[2:3], s[2:3], s[6:7]
	s_load_b128 s[8:11], s[2:3], 0x0
	s_wait_xcnt 0x0
	s_mov_b32 s2, exec_lo
	s_mov_b32 s16, s13
	v_cmpx_eq_u32_e32 0, v1
	s_cbranch_execz .LBB128_2
; %bb.1:
	v_mov_b64_e32 v[2:3], s[16:17]
	v_mov_b32_e32 v1, 0
	global_store_b64 v1, v[2:3], s[26:27]
.LBB128_2:
	s_wait_xcnt 0x0
	s_or_b32 exec_lo, exec_lo, s2
	s_load_b32 s14, s[0:1], 0xc
	v_lshrrev_b32_e32 v6, 5, v0
	s_mul_i32 s22, s12, s12
	s_mov_b32 s23, s15
	s_mov_b32 s13, s15
	s_delay_alu instid0(VALU_DEP_1)
	v_cmp_gt_i32_e64 s2, s12, v6
	s_wait_kmcnt 0x0
	s_sub_nc_u64 s[18:19], s[8:9], s[14:15]
	s_sub_nc_u64 s[20:21], s[10:11], s[14:15]
	s_mul_u64 s[24:25], s[18:19], s[22:23]
	s_sub_nc_u64 s[6:7], s[20:21], s[18:19]
	s_add_nc_u64 s[30:31], s[24:25], s[16:17]
	s_mul_u64 s[28:29], s[6:7], s[12:13]
	s_delay_alu instid0(SALU_CYCLE_1)
	s_add_nc_u64 s[34:35], s[30:31], s[28:29]
	s_mul_i32 s30, s12, s4
	s_and_saveexec_b32 s3, s2
	s_cbranch_execz .LBB128_4
; %bb.3:
	v_mad_nc_u64_u32 v[2:3], s28, v6, s[34:35]
	v_add_nc_u32_e32 v1, s30, v6
	s_delay_alu instid0(VALU_DEP_2)
	v_mad_u32 v3, s29, v6, v3
	global_store_b64 v1, v[2:3], s[26:27] offset:8 scale_offset
.LBB128_4:
	s_wait_xcnt 0x0
	s_or_b32 exec_lo, exec_lo, s3
	v_or_b32_e32 v2, 32, v6
	s_delay_alu instid0(VALU_DEP_1)
	v_cmp_gt_i32_e64 s3, s12, v2
	s_and_saveexec_b32 s4, s3
	s_cbranch_execz .LBB128_6
; %bb.5:
	v_mad_nc_u64_u32 v[4:5], s28, v2, s[34:35]
	v_mov_b32_e32 v7, 0
	s_ashr_i32 s31, s30, 31
	s_delay_alu instid0(VALU_DEP_1) | instid1(SALU_CYCLE_1)
	v_add_nc_u64_e32 v[8:9], s[30:31], v[6:7]
	s_delay_alu instid0(VALU_DEP_3) | instskip(NEXT) | instid1(VALU_DEP_2)
	v_mad_u32 v5, s29, v2, v5
	v_lshl_add_u64 v[8:9], v[8:9], 3, s[26:27]
	global_store_b64 v[8:9], v[4:5], off offset:264
.LBB128_6:
	s_wait_xcnt 0x0
	s_or_b32 exec_lo, exec_lo, s4
	v_or_b32_e32 v4, 64, v6
	s_delay_alu instid0(VALU_DEP_1)
	v_cmp_gt_i32_e64 s4, s12, v4
	s_and_saveexec_b32 s5, s4
	s_cbranch_execz .LBB128_8
; %bb.7:
	v_mad_nc_u64_u32 v[8:9], s28, v4, s[34:35]
	v_mov_b32_e32 v7, 0
	s_ashr_i32 s31, s30, 31
	s_delay_alu instid0(VALU_DEP_1) | instid1(SALU_CYCLE_1)
	v_add_nc_u64_e32 v[10:11], s[30:31], v[6:7]
	s_delay_alu instid0(VALU_DEP_3) | instskip(NEXT) | instid1(VALU_DEP_2)
	v_mad_u32 v9, s29, v4, v9
	v_lshl_add_u64 v[10:11], v[10:11], 3, s[26:27]
	global_store_b64 v[10:11], v[8:9], off offset:520
.LBB128_8:
	;; [unrolled: 18-line block ×3, first 2 shown]
	s_wait_xcnt 0x0
	s_or_b32 exec_lo, exec_lo, s17
	v_cmp_lt_i64_e64 s10, s[8:9], s[10:11]
	s_and_b32 vcc_lo, exec_lo, s10
	s_cbranch_vccz .LBB128_45
; %bb.11:
	s_clause 0x2
	s_load_b64 s[10:11], s[0:1], 0x20
	s_load_b64 s[26:27], s[0:1], 0x30
	s_load_b32 s17, s[0:1], 0x0
	v_dual_mov_b32 v7, 0 :: v_dual_bitop2_b32 v0, 31, v0 bitop3:0x40
	s_clause 0x1
	s_load_b64 s[30:31], s[0:1], 0x10
	s_load_b64 s[28:29], s[0:1], 0x40
	v_mul_lo_u32 v8, v6, s12
	v_dual_mov_b32 v41, v7 :: v_dual_lshlrev_b32 v40, 2, v6
	v_mul_lo_u32 v10, v0, s12
	v_dual_mov_b32 v3, v7 :: v_dual_bitop2_b32 v48, 32, v0 bitop3:0x54
	v_dual_mov_b32 v13, v7 :: v_dual_bitop2_b32 v49, 64, v0 bitop3:0x54
	v_mul_u64_e32 v[14:15], s[6:7], v[6:7]
	v_dual_mov_b32 v9, v7 :: v_dual_mov_b32 v1, v7
	s_delay_alu instid0(VALU_DEP_4) | instskip(NEXT) | instid1(VALU_DEP_4)
	v_mul_u64_e32 v[18:19], s[6:7], v[2:3]
	v_mul_u64_e32 v[12:13], s[6:7], v[12:13]
	v_dual_mov_b32 v17, v7 :: v_dual_mov_b32 v21, v7
	v_dual_mov_b32 v35, v7 :: v_dual_lshlrev_b32 v34, 2, v0
	s_wait_kmcnt 0x0
	s_cmp_eq_u32 s17, 0
	v_or_b32_e32 v50, 0x60, v0
	s_cselect_b32 s0, -1, 0
	s_lshl_b32 s44, s12, 5
	s_delay_alu instid0(SALU_CYCLE_1) | instskip(SKIP_2) | instid1(VALU_DEP_3)
	v_dual_mov_b32 v5, v7 :: v_dual_add_nc_u32 v16, s44, v10
	v_dual_mov_b32 v23, v7 :: v_dual_add_nc_u32 v22, s44, v8
	v_mov_b32_e32 v11, v7
	v_mul_u64_e32 v[4:5], s[6:7], v[4:5]
	s_delay_alu instid0(VALU_DEP_3) | instskip(SKIP_1) | instid1(VALU_DEP_2)
	v_dual_add_nc_u32 v20, s44, v16 :: v_dual_add_nc_u32 v24, s44, v22
	v_dual_mov_b32 v25, v7 :: v_dual_mov_b32 v27, v7
	v_dual_mov_b32 v33, v7 :: v_dual_add_nc_u32 v32, s44, v20
	s_delay_alu instid0(VALU_DEP_3) | instskip(SKIP_1) | instid1(VALU_DEP_4)
	v_add_nc_u32_e32 v26, s44, v24
	v_lshl_add_u64 v[2:3], v[8:9], 2, v[34:35]
	v_lshl_add_u64 v[6:7], v[24:25], 2, v[34:35]
	v_cmp_gt_i32_e64 s6, s12, v49
	v_cmp_gt_i32_e64 s7, s12, v50
	v_lshl_add_u64 v[8:9], v[26:27], 2, v[34:35]
	v_cmp_gt_i32_e32 vcc_lo, s12, v0
	v_mad_nc_u64_u32 v[28:29], v14, s12, s[24:25]
	v_cmp_gt_i32_e64 s1, s12, v48
	s_and_b32 s34, s2, s6
	v_mad_nc_u64_u32 v[36:37], v18, s12, s[24:25]
	v_mad_nc_u64_u32 v[30:31], v12, s12, s[24:25]
	s_and_b32 s35, s2, s7
	s_and_b32 s38, s3, s6
	;; [unrolled: 1-line block ×6, first 2 shown]
	v_mad_u32 v29, v15, s12, v29
	s_and_b32 s46, s5, s7
	s_lshl_b64 s[6:7], s[8:9], 2
	v_mad_u32 v37, v19, s12, v37
	v_mad_u32 v31, v13, s12, v31
	v_lshl_add_u64 v[12:13], v[16:17], 2, v[40:41]
	s_lshl_b64 s[8:9], s[14:15], 2
	v_mad_nc_u64_u32 v[38:39], v4, s12, s[24:25]
	v_lshl_add_u64 v[10:11], v[10:11], 2, v[40:41]
	v_lshl_add_u64 v[32:33], v[32:33], 2, v[40:41]
	s_and_b32 s17, s2, vcc_lo
	v_add_nc_u64_e32 v[14:15], v[28:29], v[0:1]
	s_and_b32 s33, s2, s1
	s_and_b32 s36, s3, vcc_lo
	s_and_b32 s37, s3, s1
	v_add_nc_u64_e32 v[18:19], v[30:31], v[0:1]
	s_lshl_b64 s[2:3], s[24:25], 2
	s_sub_nc_u64 s[6:7], s[6:7], s[8:9]
	v_mad_u32 v39, v5, s12, v39
	v_lshl_add_u64 v[4:5], v[22:23], 2, v[34:35]
	v_add_nc_u64_e32 v[22:23], v[36:37], v[0:1]
	v_lshlrev_b64_e32 v[24:25], 2, v[14:15]
	v_lshlrev_b64_e32 v[26:27], 2, v[18:19]
	v_lshl_add_u64 v[14:15], v[20:21], 2, v[40:41]
	s_and_b32 s40, s4, vcc_lo
	s_and_b32 s41, s4, s1
	s_and_b32 s44, s5, vcc_lo
	v_lshlrev_b64_e32 v[28:29], 2, v[22:23]
	v_add_nc_u64_e32 v[18:19], s[26:27], v[24:25]
	v_add_nc_u64_e32 v[16:17], v[38:39], v[0:1]
	;; [unrolled: 1-line block ×4, first 2 shown]
	s_and_b32 s1, s5, s1
	s_add_nc_u64 s[2:3], s[30:31], s[2:3]
	v_add_nc_u64_e32 v[26:27], s[26:27], v[28:29]
	s_lshl_b64 s[4:5], s[22:23], 2
	v_lshlrev_b64_e32 v[30:31], 2, v[16:17]
	v_add_nc_u64_e32 v[16:17], s[28:29], v[24:25]
	v_add_nc_u64_e32 v[24:25], s[28:29], v[28:29]
	s_add_nc_u64 s[6:7], s[10:11], s[6:7]
	s_lshl_b64 s[8:9], s[12:13], 2
	s_mov_b64 s[10:11], 0
	s_delay_alu instid0(VALU_DEP_3)
	v_add_nc_u64_e32 v[28:29], s[26:27], v[30:31]
	v_add_nc_u64_e32 v[30:31], s[28:29], v[30:31]
	s_branch .LBB128_13
.LBB128_12:                             ;   in Loop: Header=BB128_13 Depth=1
	s_wait_xcnt 0x0
	s_or_b32 exec_lo, exec_lo, s13
	s_add_nc_u64 s[18:19], s[18:19], 1
	s_add_nc_u64 s[2:3], s[2:3], s[4:5]
	v_cmp_ge_i64_e64 s13, s[18:19], s[20:21]
	s_add_nc_u64 s[6:7], s[6:7], 4
	s_add_nc_u64 s[10:11], s[10:11], s[8:9]
	s_and_b32 vcc_lo, exec_lo, s13
	s_cbranch_vccnz .LBB128_45
.LBB128_13:                             ; =>This Inner Loop Header: Depth=1
	s_load_b32 s13, s[6:7], 0x0
	v_add_nc_u64_e32 v[42:43], s[10:11], v[16:17]
	v_add_nc_u64_e32 v[44:45], s[10:11], v[18:19]
	;; [unrolled: 1-line block ×4, first 2 shown]
	s_wait_kmcnt 0x0
	s_sub_co_i32 s13, s13, s14
	s_delay_alu instid0(SALU_CYCLE_1) | instskip(NEXT) | instid1(SALU_CYCLE_1)
	s_mul_i32 s13, s13, s12
	s_add_co_i32 s13, s13, s16
	s_delay_alu instid0(SALU_CYCLE_1)
	v_add_nc_u32_e32 v1, s13, v0
	s_and_saveexec_b32 s15, s17
	s_cbranch_execz .LBB128_15
; %bb.14:                               ;   in Loop: Header=BB128_13 Depth=1
	v_dual_cndmask_b32 v37, v35, v47, s0 :: v_dual_cndmask_b32 v36, v34, v46, s0
	global_load_b32 v36, v[36:37], off
	global_store_b32 v[42:43], v1, off
	s_wait_loadcnt 0x0
	global_store_b32 v[44:45], v36, off
.LBB128_15:                             ;   in Loop: Header=BB128_13 Depth=1
	s_wait_xcnt 0x0
	s_or_b32 exec_lo, exec_lo, s15
	v_add_nc_u64_e32 v[36:37], s[2:3], v[12:13]
	v_add_nc_u32_e32 v51, s13, v48
	s_and_saveexec_b32 s15, s33
	s_cbranch_execz .LBB128_17
; %bb.16:                               ;   in Loop: Header=BB128_13 Depth=1
	v_add_nc_u64_e32 v[38:39], 0x80, v[46:47]
	s_delay_alu instid0(VALU_DEP_1)
	v_dual_cndmask_b32 v39, v37, v39, s0 :: v_dual_cndmask_b32 v38, v36, v38, s0
	global_load_b32 v38, v[38:39], off
	global_store_b32 v[42:43], v51, off offset:128
	s_wait_loadcnt 0x0
	global_store_b32 v[44:45], v38, off offset:128
.LBB128_17:                             ;   in Loop: Header=BB128_13 Depth=1
	s_wait_xcnt 0x0
	s_or_b32 exec_lo, exec_lo, s15
	v_add_nc_u64_e32 v[38:39], s[2:3], v[14:15]
	v_add_nc_u32_e32 v52, s13, v49
	s_and_saveexec_b32 s15, s34
	s_cbranch_execz .LBB128_19
; %bb.18:                               ;   in Loop: Header=BB128_13 Depth=1
	v_add_nc_u64_e32 v[40:41], 0x100, v[46:47]
	s_delay_alu instid0(VALU_DEP_1)
	v_dual_cndmask_b32 v41, v39, v41, s0 :: v_dual_cndmask_b32 v40, v38, v40, s0
	global_load_b32 v40, v[40:41], off
	global_store_b32 v[42:43], v52, off offset:256
	s_wait_loadcnt 0x0
	global_store_b32 v[44:45], v40, off offset:256
.LBB128_19:                             ;   in Loop: Header=BB128_13 Depth=1
	;; [unrolled: 15-line block ×3, first 2 shown]
	s_wait_xcnt 0x0
	s_or_b32 exec_lo, exec_lo, s13
	v_add_nc_u64_e32 v[42:43], s[10:11], v[24:25]
	v_add_nc_u64_e32 v[44:45], s[10:11], v[26:27]
	;; [unrolled: 1-line block ×3, first 2 shown]
	s_and_saveexec_b32 s13, s36
	s_cbranch_execnz .LBB128_35
; %bb.22:                               ;   in Loop: Header=BB128_13 Depth=1
	s_or_b32 exec_lo, exec_lo, s13
	s_and_saveexec_b32 s13, s37
	s_cbranch_execnz .LBB128_36
.LBB128_23:                             ;   in Loop: Header=BB128_13 Depth=1
	s_or_b32 exec_lo, exec_lo, s13
	s_and_saveexec_b32 s13, s38
	s_cbranch_execnz .LBB128_37
.LBB128_24:                             ;   in Loop: Header=BB128_13 Depth=1
	s_or_b32 exec_lo, exec_lo, s13
	s_and_saveexec_b32 s13, s39
	s_cbranch_execz .LBB128_26
.LBB128_25:                             ;   in Loop: Header=BB128_13 Depth=1
	v_add_nc_u64_e32 v[46:47], 0x180, v[46:47]
	v_add_nc_u64_e32 v[54:55], 0x80, v[40:41]
	s_delay_alu instid0(VALU_DEP_1)
	v_dual_cndmask_b32 v47, v55, v47, s0 :: v_dual_cndmask_b32 v46, v54, v46, s0
	global_load_b32 v46, v[46:47], off
	global_store_b32 v[42:43], v53, off offset:384
	s_wait_loadcnt 0x0
	global_store_b32 v[44:45], v46, off offset:384
.LBB128_26:                             ;   in Loop: Header=BB128_13 Depth=1
	s_wait_xcnt 0x0
	s_or_b32 exec_lo, exec_lo, s13
	v_add_nc_u64_e32 v[42:43], s[10:11], v[30:31]
	v_add_nc_u64_e32 v[44:45], s[10:11], v[28:29]
	;; [unrolled: 1-line block ×3, first 2 shown]
	s_and_saveexec_b32 s13, s40
	s_cbranch_execnz .LBB128_38
; %bb.27:                               ;   in Loop: Header=BB128_13 Depth=1
	s_or_b32 exec_lo, exec_lo, s13
	s_and_saveexec_b32 s13, s41
	s_cbranch_execnz .LBB128_39
.LBB128_28:                             ;   in Loop: Header=BB128_13 Depth=1
	s_or_b32 exec_lo, exec_lo, s13
	s_and_saveexec_b32 s13, s42
	s_cbranch_execnz .LBB128_40
.LBB128_29:                             ;   in Loop: Header=BB128_13 Depth=1
	s_or_b32 exec_lo, exec_lo, s13
	s_and_saveexec_b32 s13, s43
	s_cbranch_execz .LBB128_31
.LBB128_30:                             ;   in Loop: Header=BB128_13 Depth=1
	v_add_nc_u64_e32 v[46:47], 0x180, v[46:47]
	v_add_nc_u64_e32 v[54:55], 0x100, v[40:41]
	s_delay_alu instid0(VALU_DEP_1)
	v_dual_cndmask_b32 v47, v55, v47, s0 :: v_dual_cndmask_b32 v46, v54, v46, s0
	global_load_b32 v46, v[46:47], off
	global_store_b32 v[42:43], v53, off offset:384
	s_wait_loadcnt 0x0
	global_store_b32 v[44:45], v46, off offset:384
.LBB128_31:                             ;   in Loop: Header=BB128_13 Depth=1
	s_wait_xcnt 0x0
	s_or_b32 exec_lo, exec_lo, s13
	v_add_nc_u64_e32 v[42:43], s[10:11], v[22:23]
	v_add_nc_u64_e32 v[44:45], s[10:11], v[20:21]
	;; [unrolled: 1-line block ×3, first 2 shown]
	s_and_saveexec_b32 s13, s44
	s_cbranch_execnz .LBB128_41
; %bb.32:                               ;   in Loop: Header=BB128_13 Depth=1
	s_or_b32 exec_lo, exec_lo, s13
	s_and_saveexec_b32 s13, s1
	s_cbranch_execnz .LBB128_42
.LBB128_33:                             ;   in Loop: Header=BB128_13 Depth=1
	s_or_b32 exec_lo, exec_lo, s13
	s_and_saveexec_b32 s13, s45
	s_cbranch_execnz .LBB128_43
.LBB128_34:                             ;   in Loop: Header=BB128_13 Depth=1
	s_or_b32 exec_lo, exec_lo, s13
	s_and_saveexec_b32 s13, s46
	s_cbranch_execz .LBB128_12
	s_branch .LBB128_44
.LBB128_35:                             ;   in Loop: Header=BB128_13 Depth=1
	v_add_nc_u64_e32 v[54:55], 0x80, v[34:35]
	s_delay_alu instid0(VALU_DEP_1)
	v_dual_cndmask_b32 v55, v55, v47, s0 :: v_dual_cndmask_b32 v54, v54, v46, s0
	global_load_b32 v54, v[54:55], off
	global_store_b32 v[42:43], v1, off
	s_wait_loadcnt 0x0
	global_store_b32 v[44:45], v54, off
	s_wait_xcnt 0x0
	s_or_b32 exec_lo, exec_lo, s13
	s_and_saveexec_b32 s13, s37
	s_cbranch_execz .LBB128_23
.LBB128_36:                             ;   in Loop: Header=BB128_13 Depth=1
	s_delay_alu instid0(VALU_DEP_1)
	v_dual_cndmask_b32 v55, v37, v47, s0 :: v_dual_cndmask_b32 v54, v36, v46, s0
	global_load_b32 v54, v[54:55], off offset:128
	global_store_b32 v[42:43], v51, off offset:128
	s_wait_loadcnt 0x0
	global_store_b32 v[44:45], v54, off offset:128
	s_wait_xcnt 0x0
	s_or_b32 exec_lo, exec_lo, s13
	s_and_saveexec_b32 s13, s38
	s_cbranch_execz .LBB128_24
.LBB128_37:                             ;   in Loop: Header=BB128_13 Depth=1
	v_add_nc_u64_e32 v[54:55], 0x100, v[46:47]
	v_add_nc_u64_e32 v[56:57], 0x80, v[38:39]
	s_delay_alu instid0(VALU_DEP_1)
	v_dual_cndmask_b32 v55, v57, v55, s0 :: v_dual_cndmask_b32 v54, v56, v54, s0
	global_load_b32 v54, v[54:55], off
	global_store_b32 v[42:43], v52, off offset:256
	s_wait_loadcnt 0x0
	global_store_b32 v[44:45], v54, off offset:256
	s_wait_xcnt 0x0
	s_or_b32 exec_lo, exec_lo, s13
	s_and_saveexec_b32 s13, s39
	s_cbranch_execnz .LBB128_25
	s_branch .LBB128_26
.LBB128_38:                             ;   in Loop: Header=BB128_13 Depth=1
	v_add_nc_u64_e32 v[54:55], 0x100, v[34:35]
	s_delay_alu instid0(VALU_DEP_1)
	v_dual_cndmask_b32 v55, v55, v47, s0 :: v_dual_cndmask_b32 v54, v54, v46, s0
	global_load_b32 v54, v[54:55], off
	global_store_b32 v[42:43], v1, off
	s_wait_loadcnt 0x0
	global_store_b32 v[44:45], v54, off
	s_wait_xcnt 0x0
	s_or_b32 exec_lo, exec_lo, s13
	s_and_saveexec_b32 s13, s41
	s_cbranch_execz .LBB128_28
.LBB128_39:                             ;   in Loop: Header=BB128_13 Depth=1
	s_delay_alu instid0(VALU_DEP_1) | instskip(SKIP_1) | instid1(VALU_DEP_1)
	v_add_nc_u64_e32 v[54:55], 0x80, v[46:47]
	v_add_nc_u64_e32 v[56:57], 0x100, v[36:37]
	v_dual_cndmask_b32 v55, v57, v55, s0 :: v_dual_cndmask_b32 v54, v56, v54, s0
	global_load_b32 v54, v[54:55], off
	global_store_b32 v[42:43], v51, off offset:128
	s_wait_loadcnt 0x0
	global_store_b32 v[44:45], v54, off offset:128
	s_wait_xcnt 0x0
	s_or_b32 exec_lo, exec_lo, s13
	s_and_saveexec_b32 s13, s42
	s_cbranch_execz .LBB128_29
.LBB128_40:                             ;   in Loop: Header=BB128_13 Depth=1
	v_dual_cndmask_b32 v55, v39, v47, s0 :: v_dual_cndmask_b32 v54, v38, v46, s0
	global_load_b32 v54, v[54:55], off offset:256
	global_store_b32 v[42:43], v52, off offset:256
	s_wait_loadcnt 0x0
	global_store_b32 v[44:45], v54, off offset:256
	s_wait_xcnt 0x0
	s_or_b32 exec_lo, exec_lo, s13
	s_and_saveexec_b32 s13, s43
	s_cbranch_execnz .LBB128_30
	s_branch .LBB128_31
.LBB128_41:                             ;   in Loop: Header=BB128_13 Depth=1
	v_add_nc_u64_e32 v[34:35], 0x180, v[34:35]
	s_delay_alu instid0(VALU_DEP_1)
	v_dual_cndmask_b32 v35, v35, v47, s0 :: v_dual_cndmask_b32 v34, v34, v46, s0
	global_load_b32 v34, v[34:35], off
	global_store_b32 v[42:43], v1, off
	s_wait_loadcnt 0x0
	global_store_b32 v[44:45], v34, off
	s_wait_xcnt 0x0
	s_or_b32 exec_lo, exec_lo, s13
	s_and_saveexec_b32 s13, s1
	s_cbranch_execz .LBB128_33
.LBB128_42:                             ;   in Loop: Header=BB128_13 Depth=1
	s_delay_alu instid0(VALU_DEP_1) | instskip(SKIP_1) | instid1(VALU_DEP_1)
	v_add_nc_u64_e32 v[34:35], 0x80, v[46:47]
	v_add_nc_u64_e32 v[36:37], 0x180, v[36:37]
	v_dual_cndmask_b32 v35, v37, v35, s0 :: v_dual_cndmask_b32 v34, v36, v34, s0
	global_load_b32 v1, v[34:35], off
	global_store_b32 v[42:43], v51, off offset:128
	s_wait_loadcnt 0x0
	global_store_b32 v[44:45], v1, off offset:128
	s_wait_xcnt 0x0
	s_or_b32 exec_lo, exec_lo, s13
	s_and_saveexec_b32 s13, s45
	s_cbranch_execz .LBB128_34
.LBB128_43:                             ;   in Loop: Header=BB128_13 Depth=1
	v_add_nc_u64_e32 v[34:35], 0x100, v[46:47]
	v_add_nc_u64_e32 v[36:37], 0x180, v[38:39]
	s_delay_alu instid0(VALU_DEP_1)
	v_dual_cndmask_b32 v35, v37, v35, s0 :: v_dual_cndmask_b32 v34, v36, v34, s0
	global_load_b32 v1, v[34:35], off
	global_store_b32 v[42:43], v52, off offset:256
	s_wait_loadcnt 0x0
	global_store_b32 v[44:45], v1, off offset:256
	s_wait_xcnt 0x0
	s_or_b32 exec_lo, exec_lo, s13
	s_and_saveexec_b32 s13, s46
	s_cbranch_execz .LBB128_12
.LBB128_44:                             ;   in Loop: Header=BB128_13 Depth=1
	v_dual_cndmask_b32 v35, v41, v47, s0 :: v_dual_cndmask_b32 v34, v40, v46, s0
	global_load_b32 v1, v[34:35], off offset:384
	global_store_b32 v[42:43], v53, off offset:384
	s_wait_loadcnt 0x0
	global_store_b32 v[44:45], v1, off offset:384
	s_branch .LBB128_12
.LBB128_45:
	s_endpgm
	.section	.rodata,"a",@progbits
	.p2align	6, 0x0
	.amdhsa_kernel _ZN9rocsparseL35bsr2csr_block_per_row_33_256_kernelILj1024ELj128ELj32EfliEEv20rocsparse_direction_T4_S2_21rocsparse_index_base_PKT2_PKT3_PKS2_S2_S3_PS4_PS7_PS2_
		.amdhsa_group_segment_fixed_size 0
		.amdhsa_private_segment_fixed_size 0
		.amdhsa_kernarg_size 72
		.amdhsa_user_sgpr_count 2
		.amdhsa_user_sgpr_dispatch_ptr 0
		.amdhsa_user_sgpr_queue_ptr 0
		.amdhsa_user_sgpr_kernarg_segment_ptr 1
		.amdhsa_user_sgpr_dispatch_id 0
		.amdhsa_user_sgpr_kernarg_preload_length 0
		.amdhsa_user_sgpr_kernarg_preload_offset 0
		.amdhsa_user_sgpr_private_segment_size 0
		.amdhsa_wavefront_size32 1
		.amdhsa_uses_dynamic_stack 0
		.amdhsa_enable_private_segment 0
		.amdhsa_system_sgpr_workgroup_id_x 1
		.amdhsa_system_sgpr_workgroup_id_y 0
		.amdhsa_system_sgpr_workgroup_id_z 0
		.amdhsa_system_sgpr_workgroup_info 0
		.amdhsa_system_vgpr_workitem_id 0
		.amdhsa_next_free_vgpr 58
		.amdhsa_next_free_sgpr 47
		.amdhsa_named_barrier_count 0
		.amdhsa_reserve_vcc 1
		.amdhsa_float_round_mode_32 0
		.amdhsa_float_round_mode_16_64 0
		.amdhsa_float_denorm_mode_32 3
		.amdhsa_float_denorm_mode_16_64 3
		.amdhsa_fp16_overflow 0
		.amdhsa_memory_ordered 1
		.amdhsa_forward_progress 1
		.amdhsa_inst_pref_size 22
		.amdhsa_round_robin_scheduling 0
		.amdhsa_exception_fp_ieee_invalid_op 0
		.amdhsa_exception_fp_denorm_src 0
		.amdhsa_exception_fp_ieee_div_zero 0
		.amdhsa_exception_fp_ieee_overflow 0
		.amdhsa_exception_fp_ieee_underflow 0
		.amdhsa_exception_fp_ieee_inexact 0
		.amdhsa_exception_int_div_zero 0
	.end_amdhsa_kernel
	.section	.text._ZN9rocsparseL35bsr2csr_block_per_row_33_256_kernelILj1024ELj128ELj32EfliEEv20rocsparse_direction_T4_S2_21rocsparse_index_base_PKT2_PKT3_PKS2_S2_S3_PS4_PS7_PS2_,"axG",@progbits,_ZN9rocsparseL35bsr2csr_block_per_row_33_256_kernelILj1024ELj128ELj32EfliEEv20rocsparse_direction_T4_S2_21rocsparse_index_base_PKT2_PKT3_PKS2_S2_S3_PS4_PS7_PS2_,comdat
.Lfunc_end128:
	.size	_ZN9rocsparseL35bsr2csr_block_per_row_33_256_kernelILj1024ELj128ELj32EfliEEv20rocsparse_direction_T4_S2_21rocsparse_index_base_PKT2_PKT3_PKS2_S2_S3_PS4_PS7_PS2_, .Lfunc_end128-_ZN9rocsparseL35bsr2csr_block_per_row_33_256_kernelILj1024ELj128ELj32EfliEEv20rocsparse_direction_T4_S2_21rocsparse_index_base_PKT2_PKT3_PKS2_S2_S3_PS4_PS7_PS2_
                                        ; -- End function
	.set _ZN9rocsparseL35bsr2csr_block_per_row_33_256_kernelILj1024ELj128ELj32EfliEEv20rocsparse_direction_T4_S2_21rocsparse_index_base_PKT2_PKT3_PKS2_S2_S3_PS4_PS7_PS2_.num_vgpr, 58
	.set _ZN9rocsparseL35bsr2csr_block_per_row_33_256_kernelILj1024ELj128ELj32EfliEEv20rocsparse_direction_T4_S2_21rocsparse_index_base_PKT2_PKT3_PKS2_S2_S3_PS4_PS7_PS2_.num_agpr, 0
	.set _ZN9rocsparseL35bsr2csr_block_per_row_33_256_kernelILj1024ELj128ELj32EfliEEv20rocsparse_direction_T4_S2_21rocsparse_index_base_PKT2_PKT3_PKS2_S2_S3_PS4_PS7_PS2_.numbered_sgpr, 47
	.set _ZN9rocsparseL35bsr2csr_block_per_row_33_256_kernelILj1024ELj128ELj32EfliEEv20rocsparse_direction_T4_S2_21rocsparse_index_base_PKT2_PKT3_PKS2_S2_S3_PS4_PS7_PS2_.num_named_barrier, 0
	.set _ZN9rocsparseL35bsr2csr_block_per_row_33_256_kernelILj1024ELj128ELj32EfliEEv20rocsparse_direction_T4_S2_21rocsparse_index_base_PKT2_PKT3_PKS2_S2_S3_PS4_PS7_PS2_.private_seg_size, 0
	.set _ZN9rocsparseL35bsr2csr_block_per_row_33_256_kernelILj1024ELj128ELj32EfliEEv20rocsparse_direction_T4_S2_21rocsparse_index_base_PKT2_PKT3_PKS2_S2_S3_PS4_PS7_PS2_.uses_vcc, 1
	.set _ZN9rocsparseL35bsr2csr_block_per_row_33_256_kernelILj1024ELj128ELj32EfliEEv20rocsparse_direction_T4_S2_21rocsparse_index_base_PKT2_PKT3_PKS2_S2_S3_PS4_PS7_PS2_.uses_flat_scratch, 0
	.set _ZN9rocsparseL35bsr2csr_block_per_row_33_256_kernelILj1024ELj128ELj32EfliEEv20rocsparse_direction_T4_S2_21rocsparse_index_base_PKT2_PKT3_PKS2_S2_S3_PS4_PS7_PS2_.has_dyn_sized_stack, 0
	.set _ZN9rocsparseL35bsr2csr_block_per_row_33_256_kernelILj1024ELj128ELj32EfliEEv20rocsparse_direction_T4_S2_21rocsparse_index_base_PKT2_PKT3_PKS2_S2_S3_PS4_PS7_PS2_.has_recursion, 0
	.set _ZN9rocsparseL35bsr2csr_block_per_row_33_256_kernelILj1024ELj128ELj32EfliEEv20rocsparse_direction_T4_S2_21rocsparse_index_base_PKT2_PKT3_PKS2_S2_S3_PS4_PS7_PS2_.has_indirect_call, 0
	.section	.AMDGPU.csdata,"",@progbits
; Kernel info:
; codeLenInByte = 2696
; TotalNumSgprs: 49
; NumVgprs: 58
; ScratchSize: 0
; MemoryBound: 0
; FloatMode: 240
; IeeeMode: 1
; LDSByteSize: 0 bytes/workgroup (compile time only)
; SGPRBlocks: 0
; VGPRBlocks: 3
; NumSGPRsForWavesPerEU: 49
; NumVGPRsForWavesPerEU: 58
; NamedBarCnt: 0
; Occupancy: 16
; WaveLimiterHint : 1
; COMPUTE_PGM_RSRC2:SCRATCH_EN: 0
; COMPUTE_PGM_RSRC2:USER_SGPR: 2
; COMPUTE_PGM_RSRC2:TRAP_HANDLER: 0
; COMPUTE_PGM_RSRC2:TGID_X_EN: 1
; COMPUTE_PGM_RSRC2:TGID_Y_EN: 0
; COMPUTE_PGM_RSRC2:TGID_Z_EN: 0
; COMPUTE_PGM_RSRC2:TIDIG_COMP_CNT: 0
	.section	.text._ZN9rocsparseL35bsr2csr_block_per_row_33_256_kernelILj1024ELj256ELj32EfliEEv20rocsparse_direction_T4_S2_21rocsparse_index_base_PKT2_PKT3_PKS2_S2_S3_PS4_PS7_PS2_,"axG",@progbits,_ZN9rocsparseL35bsr2csr_block_per_row_33_256_kernelILj1024ELj256ELj32EfliEEv20rocsparse_direction_T4_S2_21rocsparse_index_base_PKT2_PKT3_PKS2_S2_S3_PS4_PS7_PS2_,comdat
	.globl	_ZN9rocsparseL35bsr2csr_block_per_row_33_256_kernelILj1024ELj256ELj32EfliEEv20rocsparse_direction_T4_S2_21rocsparse_index_base_PKT2_PKT3_PKS2_S2_S3_PS4_PS7_PS2_ ; -- Begin function _ZN9rocsparseL35bsr2csr_block_per_row_33_256_kernelILj1024ELj256ELj32EfliEEv20rocsparse_direction_T4_S2_21rocsparse_index_base_PKT2_PKT3_PKS2_S2_S3_PS4_PS7_PS2_
	.p2align	8
	.type	_ZN9rocsparseL35bsr2csr_block_per_row_33_256_kernelILj1024ELj256ELj32EfliEEv20rocsparse_direction_T4_S2_21rocsparse_index_base_PKT2_PKT3_PKS2_S2_S3_PS4_PS7_PS2_,@function
_ZN9rocsparseL35bsr2csr_block_per_row_33_256_kernelILj1024ELj256ELj32EfliEEv20rocsparse_direction_T4_S2_21rocsparse_index_base_PKT2_PKT3_PKS2_S2_S3_PS4_PS7_PS2_: ; @_ZN9rocsparseL35bsr2csr_block_per_row_33_256_kernelILj1024ELj256ELj32EfliEEv20rocsparse_direction_T4_S2_21rocsparse_index_base_PKT2_PKT3_PKS2_S2_S3_PS4_PS7_PS2_
; %bb.0:
	s_load_b64 s[2:3], s[0:1], 0x18
	s_bfe_u32 s4, ttmp6, 0x4000c
	s_and_b32 s5, ttmp6, 15
	s_add_co_i32 s4, s4, 1
	s_getreg_b32 s6, hwreg(HW_REG_IB_STS2, 6, 4)
	s_mul_i32 s4, ttmp9, s4
	s_clause 0x1
	s_load_b64 s[16:17], s[0:1], 0x28
	s_load_b64 s[10:11], s[0:1], 0x38
	s_add_co_i32 s5, s5, s4
	s_cmp_eq_u32 s6, 0
	s_mov_b32 s19, 0
	s_cselect_b32 s4, ttmp9, s5
	s_mov_b32 s21, s19
	s_ashr_i32 s5, s4, 31
	v_or_b32_e32 v1, s4, v0
	s_lshl_b64 s[6:7], s[4:5], 3
	s_wait_kmcnt 0x0
	s_add_nc_u64 s[2:3], s[2:3], s[6:7]
	s_load_b128 s[12:15], s[2:3], 0x0
	s_wait_xcnt 0x0
	s_mov_b32 s2, exec_lo
	s_mov_b32 s20, s17
	v_cmpx_eq_u32_e32 0, v1
	s_cbranch_execz .LBB129_2
; %bb.1:
	v_mov_b64_e32 v[2:3], s[20:21]
	v_mov_b32_e32 v1, 0
	global_store_b64 v1, v[2:3], s[10:11]
.LBB129_2:
	s_wait_xcnt 0x0
	s_or_b32 exec_lo, exec_lo, s2
	s_load_b32 s22, s[0:1], 0xc
	s_mov_b32 s23, s19
	v_lshrrev_b32_e32 v2, 5, v0
	s_mul_i32 s18, s16, s16
	s_mov_b32 s17, s19
	s_mul_i32 s34, s16, s4
	s_delay_alu instid0(VALU_DEP_1)
	v_cmp_gt_i32_e64 s2, s16, v2
	s_wait_kmcnt 0x0
	s_sub_nc_u64 s[24:25], s[12:13], s[22:23]
	s_sub_nc_u64 s[26:27], s[14:15], s[22:23]
	s_mul_u64 s[28:29], s[24:25], s[18:19]
	s_sub_nc_u64 s[40:41], s[26:27], s[24:25]
	s_add_nc_u64 s[6:7], s[28:29], s[20:21]
	s_mul_u64 s[30:31], s[40:41], s[16:17]
	s_delay_alu instid0(SALU_CYCLE_1)
	s_add_nc_u64 s[36:37], s[6:7], s[30:31]
	s_and_saveexec_b32 s3, s2
	s_cbranch_execz .LBB129_4
; %bb.3:
	v_mad_nc_u64_u32 v[4:5], s30, v2, s[36:37]
	v_add_nc_u32_e32 v1, s34, v2
	s_delay_alu instid0(VALU_DEP_2)
	v_mad_u32 v5, s31, v2, v5
	global_store_b64 v1, v[4:5], s[10:11] offset:8 scale_offset
.LBB129_4:
	s_wait_xcnt 0x0
	s_or_b32 exec_lo, exec_lo, s3
	v_or_b32_e32 v24, 32, v2
	s_delay_alu instid0(VALU_DEP_1)
	v_cmp_gt_i32_e64 s3, s16, v24
	s_and_saveexec_b32 s4, s3
	s_cbranch_execz .LBB129_6
; %bb.5:
	v_mad_nc_u64_u32 v[4:5], s30, v24, s[36:37]
	v_mov_b32_e32 v3, 0
	s_ashr_i32 s35, s34, 31
	s_delay_alu instid0(VALU_DEP_1) | instid1(SALU_CYCLE_1)
	v_add_nc_u64_e32 v[6:7], s[34:35], v[2:3]
	s_delay_alu instid0(VALU_DEP_3) | instskip(NEXT) | instid1(VALU_DEP_2)
	v_mad_u32 v5, s31, v24, v5
	v_lshl_add_u64 v[6:7], v[6:7], 3, s[10:11]
	global_store_b64 v[6:7], v[4:5], off offset:264
.LBB129_6:
	s_wait_xcnt 0x0
	s_or_b32 exec_lo, exec_lo, s4
	v_or_b32_e32 v28, 64, v2
	s_delay_alu instid0(VALU_DEP_1)
	v_cmp_gt_i32_e64 s4, s16, v28
	s_and_saveexec_b32 s5, s4
	s_cbranch_execz .LBB129_8
; %bb.7:
	v_mad_nc_u64_u32 v[4:5], s30, v28, s[36:37]
	v_mov_b32_e32 v3, 0
	s_ashr_i32 s35, s34, 31
	s_delay_alu instid0(VALU_DEP_1) | instid1(SALU_CYCLE_1)
	v_add_nc_u64_e32 v[6:7], s[34:35], v[2:3]
	s_delay_alu instid0(VALU_DEP_3) | instskip(NEXT) | instid1(VALU_DEP_2)
	v_mad_u32 v5, s31, v28, v5
	v_lshl_add_u64 v[6:7], v[6:7], 3, s[10:11]
	global_store_b64 v[6:7], v[4:5], off offset:520
.LBB129_8:
	;; [unrolled: 18-line block ×7, first 2 shown]
	s_wait_xcnt 0x0
	s_or_b32 exec_lo, exec_lo, s17
	v_cmp_lt_i64_e64 s10, s[12:13], s[14:15]
	s_and_b32 vcc_lo, exec_lo, s10
	s_cbranch_vccz .LBB129_149
; %bb.19:
	s_clause 0x2
	s_load_b64 s[30:31], s[0:1], 0x20
	s_load_b64 s[34:35], s[0:1], 0x30
	s_load_b32 s10, s[0:1], 0x0
	v_dual_mov_b32 v3, 0 :: v_dual_bitop2_b32 v0, 31, v0 bitop3:0x40
	s_clause 0x1
	s_load_b64 s[36:37], s[0:1], 0x10
	s_load_b64 s[38:39], s[0:1], 0x40
	v_mul_lo_u32 v4, v2, s16
	v_mul_lo_u32 v6, v0, s16
	v_dual_mov_b32 v31, v3 :: v_dual_mov_b32 v33, v3
	v_dual_mov_b32 v39, v3 :: v_dual_mov_b32 v41, v3
	;; [unrolled: 1-line block ×3, first 2 shown]
	v_mul_u64_e32 v[22:23], s[40:41], v[2:3]
	s_delay_alu instid0(VALU_DEP_4) | instskip(NEXT) | instid1(VALU_DEP_4)
	v_mul_u64_e32 v[32:33], s[40:41], v[32:33]
	v_mul_u64_e32 v[40:41], s[40:41], v[40:41]
	s_delay_alu instid0(VALU_DEP_4)
	v_mul_u64_e32 v[44:45], s[40:41], v[44:45]
	v_mul_u64_e32 v[46:47], s[40:41], v[46:47]
	v_dual_mov_b32 v9, v3 :: v_dual_bitop2_b32 v74, 32, v0 bitop3:0x54
	s_wait_kmcnt 0x0
	s_cmp_eq_u32 s10, 0
	v_dual_mov_b32 v11, v3 :: v_dual_bitop2_b32 v75, 64, v0 bitop3:0x54
	s_cselect_b32 s0, -1, 0
	s_lshl_b32 s91, s16, 5
	s_delay_alu instid0(SALU_CYCLE_1)
	v_dual_mov_b32 v17, v3 :: v_dual_add_nc_u32 v8, s91, v6
	v_mov_b32_e32 v19, v3
	v_or_b32_e32 v76, 0x60, v0
	v_or_b32_e32 v77, 0x80, v0
	;; [unrolled: 1-line block ×3, first 2 shown]
	v_dual_mov_b32 v25, v3 :: v_dual_add_nc_u32 v10, s91, v8
	v_or_b32_e32 v79, 0xc0, v0
	v_or_b32_e32 v80, 0xe0, v0
	v_cmp_gt_i32_e32 vcc_lo, s16, v0
	s_delay_alu instid0(VALU_DEP_4)
	v_add_nc_u32_e32 v12, s91, v10
	v_mul_u64_e32 v[24:25], s[40:41], v[24:25]
	v_cmp_gt_i32_e64 s1, s16, v74
	v_cmp_gt_i32_e64 s10, s16, v75
	;; [unrolled: 1-line block ×3, first 2 shown]
	v_add_nc_u32_e32 v14, s91, v12
	v_cmp_gt_i32_e64 s12, s16, v77
	v_cmp_gt_i32_e64 s13, s16, v78
	v_dual_mov_b32 v29, v3 :: v_dual_add_nc_u32 v26, s91, v4
	s_delay_alu instid0(VALU_DEP_4) | instskip(SKIP_2) | instid1(VALU_DEP_4)
	v_add_nc_u32_e32 v16, s91, v14
	v_cmp_gt_i32_e64 s14, s16, v79
	v_cmp_gt_i32_e64 s15, s16, v80
	v_add_nc_u32_e32 v30, s91, v26
	v_mul_u64_e32 v[28:29], s[40:41], v[28:29]
	v_dual_mov_b32 v27, v3 :: v_dual_add_nc_u32 v18, s91, v16
	v_dual_mov_b32 v1, v3 :: v_dual_mov_b32 v7, v3
	s_delay_alu instid0(VALU_DEP_4) | instskip(SKIP_1) | instid1(VALU_DEP_2)
	v_dual_mov_b32 v35, v3 :: v_dual_add_nc_u32 v34, s91, v30
	v_dual_mov_b32 v37, v3 :: v_dual_mov_b32 v13, v3
	v_dual_mov_b32 v15, v3 :: v_dual_add_nc_u32 v38, s91, v34
	v_dual_mov_b32 v21, v3 :: v_dual_mov_b32 v5, v3
	s_delay_alu instid0(VALU_DEP_3) | instskip(NEXT) | instid1(VALU_DEP_3)
	v_mul_u64_e32 v[36:37], s[40:41], v[36:37]
	v_dual_mov_b32 v43, v3 :: v_dual_add_nc_u32 v42, s91, v38
	v_add_nc_u32_e32 v20, s91, v18
	v_lshlrev_b32_e32 v2, 2, v2
	s_and_b32 s17, s2, vcc_lo
	s_delay_alu instid0(VALU_DEP_3) | instskip(SKIP_3) | instid1(VALU_DEP_1)
	v_dual_mov_b32 v49, v3 :: v_dual_add_nc_u32 v48, s91, v42
	s_and_b32 s21, s2, s1
	s_and_b32 s23, s2, s10
	;; [unrolled: 1-line block ×3, first 2 shown]
	v_dual_mov_b32 v51, v3 :: v_dual_add_nc_u32 v50, s91, v48
	s_and_b32 s42, s2, s12
	s_and_b32 s43, s2, s13
	s_and_b32 s44, s2, s14
	s_and_b32 s45, s2, s15
	s_and_b32 s46, s3, vcc_lo
	s_and_b32 s47, s3, s1
	s_and_b32 s48, s3, s10
	s_and_b32 s49, s3, s11
	s_and_b32 s50, s3, s12
	s_and_b32 s51, s3, s13
	s_and_b32 s52, s3, s14
	s_and_b32 s53, s3, s15
	s_and_b32 s54, s4, vcc_lo
	s_and_b32 s55, s4, s1
	s_and_b32 s56, s4, s10
	s_and_b32 s57, s4, s11
	;; [unrolled: 8-line block ×7, first 2 shown]
	s_and_b32 s12, s9, s12
	s_and_b32 s13, s9, s13
	;; [unrolled: 1-line block ×4, first 2 shown]
	s_mov_b64 s[2:3], s[24:25]
	s_branch .LBB129_21
.LBB129_20:                             ;   in Loop: Header=BB129_21 Depth=1
	s_wait_xcnt 0x0
	s_or_b32 exec_lo, exec_lo, s4
	s_add_nc_u64 s[2:3], s[2:3], 1
	s_delay_alu instid0(SALU_CYCLE_1)
	v_cmp_ge_i64_e64 s4, s[2:3], s[26:27]
	s_and_b32 vcc_lo, exec_lo, s4
	s_cbranch_vccnz .LBB129_149
.LBB129_21:                             ; =>This Inner Loop Header: Depth=1
	s_sub_nc_u64 s[4:5], s[2:3], s[24:25]
	s_lshl_b64 s[6:7], s[2:3], 2
	v_add_nc_u64_e32 v[52:53], s[4:5], v[22:23]
	s_add_nc_u64 s[6:7], s[30:31], s[6:7]
	s_load_b32 s15, s[6:7], 0x0
	s_wait_xcnt 0x0
	s_mul_u64 s[6:7], s[2:3], s[18:19]
	s_delay_alu instid0(SALU_CYCLE_1) | instskip(NEXT) | instid1(VALU_DEP_1)
	s_lshl_b64 s[6:7], s[6:7], 2
	v_mad_nc_u64_u32 v[54:55], v52, s16, s[28:29]
	s_add_nc_u64 s[6:7], s[36:37], s[6:7]
	s_delay_alu instid0(SALU_CYCLE_1) | instskip(NEXT) | instid1(VALU_DEP_2)
	v_lshl_add_u64 v[72:73], v[4:5], 2, s[6:7]
	v_mad_u32 v55, v53, s16, v55
	s_wait_kmcnt 0x0
	s_sub_co_i32 s15, s15, s22
	s_delay_alu instid0(SALU_CYCLE_1) | instskip(NEXT) | instid1(SALU_CYCLE_1)
	s_mul_i32 s15, s15, s16
	s_add_co_i32 s15, s15, s20
	s_delay_alu instid0(SALU_CYCLE_1) | instskip(NEXT) | instid1(VALU_DEP_2)
	v_add_nc_u32_e32 v81, s15, v0
	v_add_nc_u64_e32 v[52:53], v[54:55], v[0:1]
	v_add_nc_u64_e32 v[54:55], s[6:7], v[2:3]
	s_delay_alu instid0(VALU_DEP_2) | instskip(NEXT) | instid1(VALU_DEP_2)
	v_lshlrev_b64_e32 v[70:71], 2, v[52:53]
	v_lshl_add_u64 v[68:69], v[6:7], 2, v[54:55]
	v_lshlrev_b32_e32 v52, 2, v0
	s_and_saveexec_b32 s92, s17
	s_cbranch_execz .LBB129_23
; %bb.22:                               ;   in Loop: Header=BB129_21 Depth=1
	v_mov_b32_e32 v53, v3
	s_delay_alu instid0(VALU_DEP_4) | instskip(NEXT) | instid1(VALU_DEP_2)
	v_add_nc_u64_e32 v[58:59], s[34:35], v[70:71]
	v_add_nc_u64_e32 v[56:57], v[72:73], v[52:53]
	s_delay_alu instid0(VALU_DEP_1)
	v_dual_cndmask_b32 v57, v69, v57, s0 :: v_dual_cndmask_b32 v56, v68, v56, s0
	global_load_b32 v53, v[56:57], off
	s_wait_xcnt 0x0
	v_add_nc_u64_e32 v[56:57], s[38:39], v[70:71]
	global_store_b32 v[56:57], v81, off
	s_wait_loadcnt 0x0
	global_store_b32 v[58:59], v53, off
.LBB129_23:                             ;   in Loop: Header=BB129_21 Depth=1
	s_wait_xcnt 0x0
	s_or_b32 exec_lo, exec_lo, s92
	v_add_nc_u32_e32 v82, s15, v74
	v_lshl_add_u64 v[66:67], v[8:9], 2, v[54:55]
	s_and_saveexec_b32 s92, s21
	s_cbranch_execz .LBB129_25
; %bb.24:                               ;   in Loop: Header=BB129_21 Depth=1
	v_mov_b32_e32 v53, v3
	v_add_nc_u64_e32 v[58:59], s[34:35], v[70:71]
	s_delay_alu instid0(VALU_DEP_2) | instskip(NEXT) | instid1(VALU_DEP_1)
	v_add_nc_u64_e32 v[56:57], v[72:73], v[52:53]
	v_add_nc_u64_e32 v[56:57], 0x80, v[56:57]
	s_delay_alu instid0(VALU_DEP_1)
	v_dual_cndmask_b32 v57, v67, v57, s0 :: v_dual_cndmask_b32 v56, v66, v56, s0
	global_load_b32 v53, v[56:57], off
	s_wait_xcnt 0x0
	v_add_nc_u64_e32 v[56:57], s[38:39], v[70:71]
	global_store_b32 v[56:57], v82, off offset:128
	s_wait_loadcnt 0x0
	global_store_b32 v[58:59], v53, off offset:128
.LBB129_25:                             ;   in Loop: Header=BB129_21 Depth=1
	s_wait_xcnt 0x0
	s_or_b32 exec_lo, exec_lo, s92
	v_add_nc_u32_e32 v83, s15, v75
	v_lshl_add_u64 v[64:65], v[10:11], 2, v[54:55]
	s_and_saveexec_b32 s92, s23
	s_cbranch_execz .LBB129_27
; %bb.26:                               ;   in Loop: Header=BB129_21 Depth=1
	v_mov_b32_e32 v53, v3
	v_add_nc_u64_e32 v[58:59], s[34:35], v[70:71]
	s_delay_alu instid0(VALU_DEP_2) | instskip(NEXT) | instid1(VALU_DEP_1)
	v_add_nc_u64_e32 v[56:57], v[72:73], v[52:53]
	v_add_nc_u64_e32 v[56:57], 0x100, v[56:57]
	s_delay_alu instid0(VALU_DEP_1)
	v_dual_cndmask_b32 v57, v65, v57, s0 :: v_dual_cndmask_b32 v56, v64, v56, s0
	global_load_b32 v53, v[56:57], off
	s_wait_xcnt 0x0
	v_add_nc_u64_e32 v[56:57], s[38:39], v[70:71]
	global_store_b32 v[56:57], v83, off offset:256
	s_wait_loadcnt 0x0
	global_store_b32 v[58:59], v53, off offset:256
.LBB129_27:                             ;   in Loop: Header=BB129_21 Depth=1
	;; [unrolled: 21-line block ×6, first 2 shown]
	s_wait_xcnt 0x0
	s_or_b32 exec_lo, exec_lo, s92
	v_add_nc_u32_e32 v88, s15, v80
	v_lshl_add_u64 v[54:55], v[20:21], 2, v[54:55]
	s_and_saveexec_b32 s15, s45
	s_cbranch_execz .LBB129_37
; %bb.36:                               ;   in Loop: Header=BB129_21 Depth=1
	v_mov_b32_e32 v53, v3
	s_delay_alu instid0(VALU_DEP_1) | instskip(NEXT) | instid1(VALU_DEP_1)
	v_add_nc_u64_e32 v[72:73], v[72:73], v[52:53]
	v_add_nc_u64_e32 v[72:73], 0x380, v[72:73]
	s_delay_alu instid0(VALU_DEP_1)
	v_dual_cndmask_b32 v73, v55, v73, s0 :: v_dual_cndmask_b32 v72, v54, v72, s0
	global_load_b32 v53, v[72:73], off
	s_wait_xcnt 0x0
	v_add_nc_u64_e32 v[72:73], s[38:39], v[70:71]
	v_add_nc_u64_e32 v[70:71], s[34:35], v[70:71]
	global_store_b32 v[72:73], v88, off offset:896
	s_wait_loadcnt 0x0
	global_store_b32 v[70:71], v53, off offset:896
.LBB129_37:                             ;   in Loop: Header=BB129_21 Depth=1
	s_wait_xcnt 0x0
	s_or_b32 exec_lo, exec_lo, s15
	v_add_nc_u64_e32 v[70:71], s[4:5], v[24:25]
	s_delay_alu instid0(VALU_DEP_1) | instskip(NEXT) | instid1(VALU_DEP_1)
	v_mad_nc_u64_u32 v[72:73], v70, s16, s[28:29]
	v_mad_u32 v73, v71, s16, v73
	s_delay_alu instid0(VALU_DEP_1) | instskip(SKIP_1) | instid1(VALU_DEP_2)
	v_add_nc_u64_e32 v[70:71], v[72:73], v[0:1]
	v_lshl_add_u64 v[72:73], v[26:27], 2, s[6:7]
	v_lshlrev_b64_e32 v[70:71], 2, v[70:71]
	s_and_saveexec_b32 s15, s46
	s_cbranch_execnz .LBB129_99
; %bb.38:                               ;   in Loop: Header=BB129_21 Depth=1
	s_or_b32 exec_lo, exec_lo, s15
	s_and_saveexec_b32 s15, s47
	s_cbranch_execnz .LBB129_100
.LBB129_39:                             ;   in Loop: Header=BB129_21 Depth=1
	s_or_b32 exec_lo, exec_lo, s15
	s_and_saveexec_b32 s15, s48
	s_cbranch_execnz .LBB129_101
.LBB129_40:                             ;   in Loop: Header=BB129_21 Depth=1
	s_or_b32 exec_lo, exec_lo, s15
	s_and_saveexec_b32 s15, s49
	s_cbranch_execnz .LBB129_102
.LBB129_41:                             ;   in Loop: Header=BB129_21 Depth=1
	s_or_b32 exec_lo, exec_lo, s15
	s_and_saveexec_b32 s15, s50
	s_cbranch_execnz .LBB129_103
.LBB129_42:                             ;   in Loop: Header=BB129_21 Depth=1
	s_or_b32 exec_lo, exec_lo, s15
	s_and_saveexec_b32 s15, s51
	s_cbranch_execnz .LBB129_104
.LBB129_43:                             ;   in Loop: Header=BB129_21 Depth=1
	s_or_b32 exec_lo, exec_lo, s15
	s_and_saveexec_b32 s15, s52
	s_cbranch_execnz .LBB129_105
.LBB129_44:                             ;   in Loop: Header=BB129_21 Depth=1
	s_or_b32 exec_lo, exec_lo, s15
	s_and_saveexec_b32 s15, s53
	s_cbranch_execz .LBB129_46
.LBB129_45:                             ;   in Loop: Header=BB129_21 Depth=1
	v_add_nc_u64_e32 v[90:91], 0x80, v[54:55]
	v_mov_b32_e32 v53, v3
	s_delay_alu instid0(VALU_DEP_1) | instskip(NEXT) | instid1(VALU_DEP_1)
	v_add_nc_u64_e32 v[72:73], v[72:73], v[52:53]
	v_add_nc_u64_e32 v[72:73], 0x380, v[72:73]
	s_delay_alu instid0(VALU_DEP_1)
	v_dual_cndmask_b32 v73, v91, v73, s0 :: v_dual_cndmask_b32 v72, v90, v72, s0
	global_load_b32 v53, v[72:73], off
	s_wait_xcnt 0x0
	v_add_nc_u64_e32 v[72:73], s[38:39], v[70:71]
	v_add_nc_u64_e32 v[70:71], s[34:35], v[70:71]
	global_store_b32 v[72:73], v88, off offset:896
	s_wait_loadcnt 0x0
	global_store_b32 v[70:71], v53, off offset:896
.LBB129_46:                             ;   in Loop: Header=BB129_21 Depth=1
	s_wait_xcnt 0x0
	s_or_b32 exec_lo, exec_lo, s15
	v_add_nc_u64_e32 v[70:71], s[4:5], v[28:29]
	s_delay_alu instid0(VALU_DEP_1) | instskip(NEXT) | instid1(VALU_DEP_1)
	v_mad_nc_u64_u32 v[72:73], v70, s16, s[28:29]
	v_mad_u32 v73, v71, s16, v73
	s_delay_alu instid0(VALU_DEP_1) | instskip(SKIP_1) | instid1(VALU_DEP_2)
	v_add_nc_u64_e32 v[70:71], v[72:73], v[0:1]
	v_lshl_add_u64 v[72:73], v[30:31], 2, s[6:7]
	v_lshlrev_b64_e32 v[70:71], 2, v[70:71]
	s_and_saveexec_b32 s15, s54
	s_cbranch_execnz .LBB129_106
; %bb.47:                               ;   in Loop: Header=BB129_21 Depth=1
	s_or_b32 exec_lo, exec_lo, s15
	s_and_saveexec_b32 s15, s55
	s_cbranch_execnz .LBB129_107
.LBB129_48:                             ;   in Loop: Header=BB129_21 Depth=1
	s_or_b32 exec_lo, exec_lo, s15
	s_and_saveexec_b32 s15, s56
	s_cbranch_execnz .LBB129_108
.LBB129_49:                             ;   in Loop: Header=BB129_21 Depth=1
	s_or_b32 exec_lo, exec_lo, s15
	s_and_saveexec_b32 s15, s57
	s_cbranch_execnz .LBB129_109
.LBB129_50:                             ;   in Loop: Header=BB129_21 Depth=1
	s_or_b32 exec_lo, exec_lo, s15
	s_and_saveexec_b32 s15, s58
	s_cbranch_execnz .LBB129_110
.LBB129_51:                             ;   in Loop: Header=BB129_21 Depth=1
	s_or_b32 exec_lo, exec_lo, s15
	s_and_saveexec_b32 s15, s59
	s_cbranch_execnz .LBB129_111
.LBB129_52:                             ;   in Loop: Header=BB129_21 Depth=1
	s_or_b32 exec_lo, exec_lo, s15
	s_and_saveexec_b32 s15, s60
	s_cbranch_execnz .LBB129_112
.LBB129_53:                             ;   in Loop: Header=BB129_21 Depth=1
	s_or_b32 exec_lo, exec_lo, s15
	s_and_saveexec_b32 s15, s61
	s_cbranch_execz .LBB129_55
.LBB129_54:                             ;   in Loop: Header=BB129_21 Depth=1
	v_add_nc_u64_e32 v[90:91], 0x100, v[54:55]
	v_mov_b32_e32 v53, v3
	s_delay_alu instid0(VALU_DEP_1) | instskip(NEXT) | instid1(VALU_DEP_1)
	v_add_nc_u64_e32 v[72:73], v[72:73], v[52:53]
	v_add_nc_u64_e32 v[72:73], 0x380, v[72:73]
	s_delay_alu instid0(VALU_DEP_1)
	v_dual_cndmask_b32 v73, v91, v73, s0 :: v_dual_cndmask_b32 v72, v90, v72, s0
	global_load_b32 v53, v[72:73], off
	s_wait_xcnt 0x0
	v_add_nc_u64_e32 v[72:73], s[38:39], v[70:71]
	v_add_nc_u64_e32 v[70:71], s[34:35], v[70:71]
	global_store_b32 v[72:73], v88, off offset:896
	s_wait_loadcnt 0x0
	global_store_b32 v[70:71], v53, off offset:896
.LBB129_55:                             ;   in Loop: Header=BB129_21 Depth=1
	s_wait_xcnt 0x0
	s_or_b32 exec_lo, exec_lo, s15
	v_add_nc_u64_e32 v[70:71], s[4:5], v[32:33]
	s_delay_alu instid0(VALU_DEP_1) | instskip(NEXT) | instid1(VALU_DEP_1)
	v_mad_nc_u64_u32 v[72:73], v70, s16, s[28:29]
	v_mad_u32 v73, v71, s16, v73
	s_delay_alu instid0(VALU_DEP_1) | instskip(SKIP_1) | instid1(VALU_DEP_2)
	v_add_nc_u64_e32 v[70:71], v[72:73], v[0:1]
	v_lshl_add_u64 v[72:73], v[34:35], 2, s[6:7]
	v_lshlrev_b64_e32 v[70:71], 2, v[70:71]
	s_and_saveexec_b32 s15, s62
	s_cbranch_execnz .LBB129_113
; %bb.56:                               ;   in Loop: Header=BB129_21 Depth=1
	s_or_b32 exec_lo, exec_lo, s15
	s_and_saveexec_b32 s15, s63
	s_cbranch_execnz .LBB129_114
.LBB129_57:                             ;   in Loop: Header=BB129_21 Depth=1
	s_or_b32 exec_lo, exec_lo, s15
	s_and_saveexec_b32 s15, s64
	s_cbranch_execnz .LBB129_115
.LBB129_58:                             ;   in Loop: Header=BB129_21 Depth=1
	s_or_b32 exec_lo, exec_lo, s15
	s_and_saveexec_b32 s15, s65
	s_cbranch_execnz .LBB129_116
.LBB129_59:                             ;   in Loop: Header=BB129_21 Depth=1
	s_or_b32 exec_lo, exec_lo, s15
	s_and_saveexec_b32 s15, s66
	s_cbranch_execnz .LBB129_117
.LBB129_60:                             ;   in Loop: Header=BB129_21 Depth=1
	s_or_b32 exec_lo, exec_lo, s15
	s_and_saveexec_b32 s15, s67
	s_cbranch_execnz .LBB129_118
.LBB129_61:                             ;   in Loop: Header=BB129_21 Depth=1
	s_or_b32 exec_lo, exec_lo, s15
	s_and_saveexec_b32 s15, s68
	s_cbranch_execnz .LBB129_119
.LBB129_62:                             ;   in Loop: Header=BB129_21 Depth=1
	s_or_b32 exec_lo, exec_lo, s15
	s_and_saveexec_b32 s15, s69
	s_cbranch_execz .LBB129_64
.LBB129_63:                             ;   in Loop: Header=BB129_21 Depth=1
	v_add_nc_u64_e32 v[90:91], 0x180, v[54:55]
	v_mov_b32_e32 v53, v3
	s_delay_alu instid0(VALU_DEP_1) | instskip(NEXT) | instid1(VALU_DEP_1)
	v_add_nc_u64_e32 v[72:73], v[72:73], v[52:53]
	v_add_nc_u64_e32 v[72:73], 0x380, v[72:73]
	s_delay_alu instid0(VALU_DEP_1)
	v_dual_cndmask_b32 v73, v91, v73, s0 :: v_dual_cndmask_b32 v72, v90, v72, s0
	global_load_b32 v53, v[72:73], off
	s_wait_xcnt 0x0
	v_add_nc_u64_e32 v[72:73], s[38:39], v[70:71]
	v_add_nc_u64_e32 v[70:71], s[34:35], v[70:71]
	global_store_b32 v[72:73], v88, off offset:896
	s_wait_loadcnt 0x0
	global_store_b32 v[70:71], v53, off offset:896
.LBB129_64:                             ;   in Loop: Header=BB129_21 Depth=1
	s_wait_xcnt 0x0
	s_or_b32 exec_lo, exec_lo, s15
	v_add_nc_u64_e32 v[70:71], s[4:5], v[36:37]
	s_delay_alu instid0(VALU_DEP_1) | instskip(NEXT) | instid1(VALU_DEP_1)
	v_mad_nc_u64_u32 v[72:73], v70, s16, s[28:29]
	v_mad_u32 v73, v71, s16, v73
	s_delay_alu instid0(VALU_DEP_1) | instskip(SKIP_1) | instid1(VALU_DEP_2)
	v_add_nc_u64_e32 v[70:71], v[72:73], v[0:1]
	v_lshl_add_u64 v[72:73], v[38:39], 2, s[6:7]
	v_lshlrev_b64_e32 v[70:71], 2, v[70:71]
	s_and_saveexec_b32 s15, s70
	s_cbranch_execnz .LBB129_120
; %bb.65:                               ;   in Loop: Header=BB129_21 Depth=1
	s_or_b32 exec_lo, exec_lo, s15
	s_and_saveexec_b32 s15, s71
	s_cbranch_execnz .LBB129_121
.LBB129_66:                             ;   in Loop: Header=BB129_21 Depth=1
	s_or_b32 exec_lo, exec_lo, s15
	s_and_saveexec_b32 s15, s72
	s_cbranch_execnz .LBB129_122
.LBB129_67:                             ;   in Loop: Header=BB129_21 Depth=1
	s_or_b32 exec_lo, exec_lo, s15
	s_and_saveexec_b32 s15, s73
	s_cbranch_execnz .LBB129_123
.LBB129_68:                             ;   in Loop: Header=BB129_21 Depth=1
	s_or_b32 exec_lo, exec_lo, s15
	s_and_saveexec_b32 s15, s74
	s_cbranch_execnz .LBB129_124
.LBB129_69:                             ;   in Loop: Header=BB129_21 Depth=1
	s_or_b32 exec_lo, exec_lo, s15
	s_and_saveexec_b32 s15, s75
	s_cbranch_execnz .LBB129_125
.LBB129_70:                             ;   in Loop: Header=BB129_21 Depth=1
	s_or_b32 exec_lo, exec_lo, s15
	s_and_saveexec_b32 s15, s76
	s_cbranch_execnz .LBB129_126
.LBB129_71:                             ;   in Loop: Header=BB129_21 Depth=1
	s_or_b32 exec_lo, exec_lo, s15
	s_and_saveexec_b32 s15, s8
	s_cbranch_execz .LBB129_73
.LBB129_72:                             ;   in Loop: Header=BB129_21 Depth=1
	v_add_nc_u64_e32 v[90:91], 0x200, v[54:55]
	v_mov_b32_e32 v53, v3
	s_delay_alu instid0(VALU_DEP_1) | instskip(NEXT) | instid1(VALU_DEP_1)
	v_add_nc_u64_e32 v[72:73], v[72:73], v[52:53]
	v_add_nc_u64_e32 v[72:73], 0x380, v[72:73]
	s_delay_alu instid0(VALU_DEP_1)
	v_dual_cndmask_b32 v73, v91, v73, s0 :: v_dual_cndmask_b32 v72, v90, v72, s0
	global_load_b32 v53, v[72:73], off
	s_wait_xcnt 0x0
	v_add_nc_u64_e32 v[72:73], s[38:39], v[70:71]
	v_add_nc_u64_e32 v[70:71], s[34:35], v[70:71]
	global_store_b32 v[72:73], v88, off offset:896
	s_wait_loadcnt 0x0
	global_store_b32 v[70:71], v53, off offset:896
.LBB129_73:                             ;   in Loop: Header=BB129_21 Depth=1
	s_wait_xcnt 0x0
	s_or_b32 exec_lo, exec_lo, s15
	v_add_nc_u64_e32 v[70:71], s[4:5], v[40:41]
	s_delay_alu instid0(VALU_DEP_1) | instskip(NEXT) | instid1(VALU_DEP_1)
	v_mad_nc_u64_u32 v[72:73], v70, s16, s[28:29]
	v_mad_u32 v73, v71, s16, v73
	s_delay_alu instid0(VALU_DEP_1) | instskip(SKIP_1) | instid1(VALU_DEP_2)
	v_add_nc_u64_e32 v[70:71], v[72:73], v[0:1]
	v_lshl_add_u64 v[72:73], v[42:43], 2, s[6:7]
	v_lshlrev_b64_e32 v[70:71], 2, v[70:71]
	s_and_saveexec_b32 s15, s40
	s_cbranch_execnz .LBB129_127
; %bb.74:                               ;   in Loop: Header=BB129_21 Depth=1
	s_or_b32 exec_lo, exec_lo, s15
	s_and_saveexec_b32 s15, s41
	s_cbranch_execnz .LBB129_128
.LBB129_75:                             ;   in Loop: Header=BB129_21 Depth=1
	s_or_b32 exec_lo, exec_lo, s15
	s_and_saveexec_b32 s15, s77
	s_cbranch_execnz .LBB129_129
.LBB129_76:                             ;   in Loop: Header=BB129_21 Depth=1
	s_or_b32 exec_lo, exec_lo, s15
	s_and_saveexec_b32 s15, s78
	s_cbranch_execnz .LBB129_130
.LBB129_77:                             ;   in Loop: Header=BB129_21 Depth=1
	s_or_b32 exec_lo, exec_lo, s15
	s_and_saveexec_b32 s15, s79
	s_cbranch_execnz .LBB129_131
.LBB129_78:                             ;   in Loop: Header=BB129_21 Depth=1
	s_or_b32 exec_lo, exec_lo, s15
	s_and_saveexec_b32 s15, s80
	s_cbranch_execnz .LBB129_132
.LBB129_79:                             ;   in Loop: Header=BB129_21 Depth=1
	s_or_b32 exec_lo, exec_lo, s15
	s_and_saveexec_b32 s15, s81
	s_cbranch_execnz .LBB129_133
.LBB129_80:                             ;   in Loop: Header=BB129_21 Depth=1
	s_or_b32 exec_lo, exec_lo, s15
	s_and_saveexec_b32 s15, s82
	s_cbranch_execz .LBB129_82
.LBB129_81:                             ;   in Loop: Header=BB129_21 Depth=1
	v_add_nc_u64_e32 v[90:91], 0x280, v[54:55]
	v_mov_b32_e32 v53, v3
	s_delay_alu instid0(VALU_DEP_1) | instskip(NEXT) | instid1(VALU_DEP_1)
	v_add_nc_u64_e32 v[72:73], v[72:73], v[52:53]
	v_add_nc_u64_e32 v[72:73], 0x380, v[72:73]
	s_delay_alu instid0(VALU_DEP_1)
	v_dual_cndmask_b32 v73, v91, v73, s0 :: v_dual_cndmask_b32 v72, v90, v72, s0
	global_load_b32 v53, v[72:73], off
	s_wait_xcnt 0x0
	v_add_nc_u64_e32 v[72:73], s[38:39], v[70:71]
	v_add_nc_u64_e32 v[70:71], s[34:35], v[70:71]
	global_store_b32 v[72:73], v88, off offset:896
	s_wait_loadcnt 0x0
	global_store_b32 v[70:71], v53, off offset:896
.LBB129_82:                             ;   in Loop: Header=BB129_21 Depth=1
	s_wait_xcnt 0x0
	s_or_b32 exec_lo, exec_lo, s15
	v_add_nc_u64_e32 v[70:71], s[4:5], v[44:45]
	s_delay_alu instid0(VALU_DEP_1) | instskip(NEXT) | instid1(VALU_DEP_1)
	v_mad_nc_u64_u32 v[72:73], v70, s16, s[28:29]
	v_mad_u32 v73, v71, s16, v73
	s_delay_alu instid0(VALU_DEP_1) | instskip(SKIP_1) | instid1(VALU_DEP_2)
	v_add_nc_u64_e32 v[70:71], v[72:73], v[0:1]
	v_lshl_add_u64 v[72:73], v[48:49], 2, s[6:7]
	v_lshlrev_b64_e32 v[70:71], 2, v[70:71]
	s_and_saveexec_b32 s15, s83
	s_cbranch_execnz .LBB129_134
; %bb.83:                               ;   in Loop: Header=BB129_21 Depth=1
	s_or_b32 exec_lo, exec_lo, s15
	s_and_saveexec_b32 s15, s84
	s_cbranch_execnz .LBB129_135
.LBB129_84:                             ;   in Loop: Header=BB129_21 Depth=1
	s_or_b32 exec_lo, exec_lo, s15
	s_and_saveexec_b32 s15, s85
	s_cbranch_execnz .LBB129_136
.LBB129_85:                             ;   in Loop: Header=BB129_21 Depth=1
	s_or_b32 exec_lo, exec_lo, s15
	s_and_saveexec_b32 s15, s86
	s_cbranch_execnz .LBB129_137
.LBB129_86:                             ;   in Loop: Header=BB129_21 Depth=1
	s_or_b32 exec_lo, exec_lo, s15
	s_and_saveexec_b32 s15, s87
	s_cbranch_execnz .LBB129_138
.LBB129_87:                             ;   in Loop: Header=BB129_21 Depth=1
	s_or_b32 exec_lo, exec_lo, s15
	s_and_saveexec_b32 s15, s88
	s_cbranch_execnz .LBB129_139
.LBB129_88:                             ;   in Loop: Header=BB129_21 Depth=1
	s_or_b32 exec_lo, exec_lo, s15
	s_and_saveexec_b32 s15, s89
	s_cbranch_execnz .LBB129_140
.LBB129_89:                             ;   in Loop: Header=BB129_21 Depth=1
	s_or_b32 exec_lo, exec_lo, s15
	s_and_saveexec_b32 s15, s90
	s_cbranch_execz .LBB129_91
.LBB129_90:                             ;   in Loop: Header=BB129_21 Depth=1
	v_add_nc_u64_e32 v[90:91], 0x300, v[54:55]
	v_mov_b32_e32 v53, v3
	s_delay_alu instid0(VALU_DEP_1) | instskip(NEXT) | instid1(VALU_DEP_1)
	v_add_nc_u64_e32 v[72:73], v[72:73], v[52:53]
	v_add_nc_u64_e32 v[72:73], 0x380, v[72:73]
	s_delay_alu instid0(VALU_DEP_1)
	v_dual_cndmask_b32 v73, v91, v73, s0 :: v_dual_cndmask_b32 v72, v90, v72, s0
	global_load_b32 v53, v[72:73], off
	s_wait_xcnt 0x0
	v_add_nc_u64_e32 v[72:73], s[38:39], v[70:71]
	v_add_nc_u64_e32 v[70:71], s[34:35], v[70:71]
	global_store_b32 v[72:73], v88, off offset:896
	s_wait_loadcnt 0x0
	global_store_b32 v[70:71], v53, off offset:896
.LBB129_91:                             ;   in Loop: Header=BB129_21 Depth=1
	s_wait_xcnt 0x0
	s_or_b32 exec_lo, exec_lo, s15
	v_add_nc_u64_e32 v[70:71], s[4:5], v[46:47]
	s_delay_alu instid0(VALU_DEP_1) | instskip(NEXT) | instid1(VALU_DEP_1)
	v_mad_nc_u64_u32 v[72:73], v70, s16, s[28:29]
	v_mad_u32 v73, v71, s16, v73
	s_delay_alu instid0(VALU_DEP_1) | instskip(SKIP_1) | instid1(VALU_DEP_2)
	v_add_nc_u64_e32 v[70:71], v[72:73], v[0:1]
	v_lshl_add_u64 v[72:73], v[50:51], 2, s[6:7]
	v_lshlrev_b64_e32 v[70:71], 2, v[70:71]
	s_and_saveexec_b32 s4, s91
	s_cbranch_execnz .LBB129_141
; %bb.92:                               ;   in Loop: Header=BB129_21 Depth=1
	s_or_b32 exec_lo, exec_lo, s4
	s_and_saveexec_b32 s4, s1
	s_cbranch_execnz .LBB129_142
.LBB129_93:                             ;   in Loop: Header=BB129_21 Depth=1
	s_or_b32 exec_lo, exec_lo, s4
	s_and_saveexec_b32 s4, s10
	s_cbranch_execnz .LBB129_143
.LBB129_94:                             ;   in Loop: Header=BB129_21 Depth=1
	s_or_b32 exec_lo, exec_lo, s4
	s_and_saveexec_b32 s4, s11
	s_cbranch_execnz .LBB129_144
.LBB129_95:                             ;   in Loop: Header=BB129_21 Depth=1
	s_or_b32 exec_lo, exec_lo, s4
	s_and_saveexec_b32 s4, s12
	s_cbranch_execnz .LBB129_145
.LBB129_96:                             ;   in Loop: Header=BB129_21 Depth=1
	s_or_b32 exec_lo, exec_lo, s4
	s_and_saveexec_b32 s4, s13
	s_cbranch_execnz .LBB129_146
.LBB129_97:                             ;   in Loop: Header=BB129_21 Depth=1
	s_or_b32 exec_lo, exec_lo, s4
	s_and_saveexec_b32 s4, s14
	s_cbranch_execnz .LBB129_147
.LBB129_98:                             ;   in Loop: Header=BB129_21 Depth=1
	s_or_b32 exec_lo, exec_lo, s4
	s_and_saveexec_b32 s4, s9
	s_cbranch_execz .LBB129_20
	s_branch .LBB129_148
.LBB129_99:                             ;   in Loop: Header=BB129_21 Depth=1
	v_add_nc_u64_e32 v[90:91], 0x80, v[68:69]
	v_mov_b32_e32 v53, v3
	s_delay_alu instid0(VALU_DEP_1) | instskip(NEXT) | instid1(VALU_DEP_1)
	v_add_nc_u64_e32 v[92:93], v[72:73], v[52:53]
	v_dual_cndmask_b32 v91, v91, v93, s0 :: v_dual_cndmask_b32 v90, v90, v92, s0
	v_add_nc_u64_e32 v[92:93], s[34:35], v[70:71]
	global_load_b32 v53, v[90:91], off
	s_wait_xcnt 0x0
	v_add_nc_u64_e32 v[90:91], s[38:39], v[70:71]
	global_store_b32 v[90:91], v81, off
	s_wait_loadcnt 0x0
	global_store_b32 v[92:93], v53, off
	s_wait_xcnt 0x0
	s_or_b32 exec_lo, exec_lo, s15
	s_and_saveexec_b32 s15, s47
	s_cbranch_execz .LBB129_39
.LBB129_100:                            ;   in Loop: Header=BB129_21 Depth=1
	v_mov_b32_e32 v53, v3
	v_add_nc_u64_e32 v[92:93], s[34:35], v[70:71]
	s_delay_alu instid0(VALU_DEP_2) | instskip(NEXT) | instid1(VALU_DEP_1)
	v_add_nc_u64_e32 v[90:91], v[72:73], v[52:53]
	v_dual_cndmask_b32 v91, v67, v91, s0 :: v_dual_cndmask_b32 v90, v66, v90, s0
	global_load_b32 v53, v[90:91], off offset:128
	s_wait_xcnt 0x0
	v_add_nc_u64_e32 v[90:91], s[38:39], v[70:71]
	global_store_b32 v[90:91], v82, off offset:128
	s_wait_loadcnt 0x0
	global_store_b32 v[92:93], v53, off offset:128
	s_wait_xcnt 0x0
	s_or_b32 exec_lo, exec_lo, s15
	s_and_saveexec_b32 s15, s48
	s_cbranch_execz .LBB129_40
.LBB129_101:                            ;   in Loop: Header=BB129_21 Depth=1
	v_add_nc_u64_e32 v[92:93], 0x80, v[64:65]
	v_mov_b32_e32 v53, v3
	s_delay_alu instid0(VALU_DEP_1) | instskip(NEXT) | instid1(VALU_DEP_1)
	v_add_nc_u64_e32 v[90:91], v[72:73], v[52:53]
	v_add_nc_u64_e32 v[90:91], 0x100, v[90:91]
	s_delay_alu instid0(VALU_DEP_1)
	v_dual_cndmask_b32 v91, v93, v91, s0 :: v_dual_cndmask_b32 v90, v92, v90, s0
	v_add_nc_u64_e32 v[92:93], s[34:35], v[70:71]
	global_load_b32 v53, v[90:91], off
	s_wait_xcnt 0x0
	v_add_nc_u64_e32 v[90:91], s[38:39], v[70:71]
	global_store_b32 v[90:91], v83, off offset:256
	s_wait_loadcnt 0x0
	global_store_b32 v[92:93], v53, off offset:256
	s_wait_xcnt 0x0
	s_or_b32 exec_lo, exec_lo, s15
	s_and_saveexec_b32 s15, s49
	s_cbranch_execz .LBB129_41
.LBB129_102:                            ;   in Loop: Header=BB129_21 Depth=1
	v_add_nc_u64_e32 v[92:93], 0x80, v[62:63]
	v_mov_b32_e32 v53, v3
	s_delay_alu instid0(VALU_DEP_1) | instskip(NEXT) | instid1(VALU_DEP_1)
	v_add_nc_u64_e32 v[90:91], v[72:73], v[52:53]
	v_add_nc_u64_e32 v[90:91], 0x180, v[90:91]
	s_delay_alu instid0(VALU_DEP_1)
	v_dual_cndmask_b32 v91, v93, v91, s0 :: v_dual_cndmask_b32 v90, v92, v90, s0
	v_add_nc_u64_e32 v[92:93], s[34:35], v[70:71]
	global_load_b32 v53, v[90:91], off
	s_wait_xcnt 0x0
	v_add_nc_u64_e32 v[90:91], s[38:39], v[70:71]
	global_store_b32 v[90:91], v84, off offset:384
	s_wait_loadcnt 0x0
	global_store_b32 v[92:93], v53, off offset:384
	s_wait_xcnt 0x0
	s_or_b32 exec_lo, exec_lo, s15
	s_and_saveexec_b32 s15, s50
	s_cbranch_execz .LBB129_42
.LBB129_103:                            ;   in Loop: Header=BB129_21 Depth=1
	v_add_nc_u64_e32 v[92:93], 0x80, v[60:61]
	v_mov_b32_e32 v53, v3
	s_delay_alu instid0(VALU_DEP_1) | instskip(NEXT) | instid1(VALU_DEP_1)
	v_add_nc_u64_e32 v[90:91], v[72:73], v[52:53]
	v_add_nc_u64_e32 v[90:91], 0x200, v[90:91]
	s_delay_alu instid0(VALU_DEP_1)
	v_dual_cndmask_b32 v91, v93, v91, s0 :: v_dual_cndmask_b32 v90, v92, v90, s0
	v_add_nc_u64_e32 v[92:93], s[34:35], v[70:71]
	global_load_b32 v53, v[90:91], off
	s_wait_xcnt 0x0
	v_add_nc_u64_e32 v[90:91], s[38:39], v[70:71]
	global_store_b32 v[90:91], v85, off offset:512
	s_wait_loadcnt 0x0
	global_store_b32 v[92:93], v53, off offset:512
	s_wait_xcnt 0x0
	s_or_b32 exec_lo, exec_lo, s15
	s_and_saveexec_b32 s15, s51
	s_cbranch_execz .LBB129_43
.LBB129_104:                            ;   in Loop: Header=BB129_21 Depth=1
	v_add_nc_u64_e32 v[92:93], 0x80, v[58:59]
	v_mov_b32_e32 v53, v3
	s_delay_alu instid0(VALU_DEP_1) | instskip(NEXT) | instid1(VALU_DEP_1)
	v_add_nc_u64_e32 v[90:91], v[72:73], v[52:53]
	v_add_nc_u64_e32 v[90:91], 0x280, v[90:91]
	s_delay_alu instid0(VALU_DEP_1)
	v_dual_cndmask_b32 v91, v93, v91, s0 :: v_dual_cndmask_b32 v90, v92, v90, s0
	v_add_nc_u64_e32 v[92:93], s[34:35], v[70:71]
	global_load_b32 v53, v[90:91], off
	s_wait_xcnt 0x0
	v_add_nc_u64_e32 v[90:91], s[38:39], v[70:71]
	global_store_b32 v[90:91], v86, off offset:640
	s_wait_loadcnt 0x0
	global_store_b32 v[92:93], v53, off offset:640
	s_wait_xcnt 0x0
	s_or_b32 exec_lo, exec_lo, s15
	s_and_saveexec_b32 s15, s52
	s_cbranch_execz .LBB129_44
.LBB129_105:                            ;   in Loop: Header=BB129_21 Depth=1
	v_add_nc_u64_e32 v[92:93], 0x80, v[56:57]
	v_mov_b32_e32 v53, v3
	s_delay_alu instid0(VALU_DEP_1) | instskip(NEXT) | instid1(VALU_DEP_1)
	v_add_nc_u64_e32 v[90:91], v[72:73], v[52:53]
	v_add_nc_u64_e32 v[90:91], 0x300, v[90:91]
	s_delay_alu instid0(VALU_DEP_1)
	v_dual_cndmask_b32 v91, v93, v91, s0 :: v_dual_cndmask_b32 v90, v92, v90, s0
	v_add_nc_u64_e32 v[92:93], s[34:35], v[70:71]
	global_load_b32 v53, v[90:91], off
	s_wait_xcnt 0x0
	v_add_nc_u64_e32 v[90:91], s[38:39], v[70:71]
	global_store_b32 v[90:91], v87, off offset:768
	s_wait_loadcnt 0x0
	global_store_b32 v[92:93], v53, off offset:768
	s_wait_xcnt 0x0
	s_or_b32 exec_lo, exec_lo, s15
	s_and_saveexec_b32 s15, s53
	s_cbranch_execnz .LBB129_45
	s_branch .LBB129_46
.LBB129_106:                            ;   in Loop: Header=BB129_21 Depth=1
	v_add_nc_u64_e32 v[90:91], 0x100, v[68:69]
	v_mov_b32_e32 v53, v3
	s_delay_alu instid0(VALU_DEP_1) | instskip(NEXT) | instid1(VALU_DEP_1)
	v_add_nc_u64_e32 v[92:93], v[72:73], v[52:53]
	v_dual_cndmask_b32 v91, v91, v93, s0 :: v_dual_cndmask_b32 v90, v90, v92, s0
	v_add_nc_u64_e32 v[92:93], s[34:35], v[70:71]
	global_load_b32 v53, v[90:91], off
	s_wait_xcnt 0x0
	v_add_nc_u64_e32 v[90:91], s[38:39], v[70:71]
	global_store_b32 v[90:91], v81, off
	s_wait_loadcnt 0x0
	global_store_b32 v[92:93], v53, off
	s_wait_xcnt 0x0
	s_or_b32 exec_lo, exec_lo, s15
	s_and_saveexec_b32 s15, s55
	s_cbranch_execz .LBB129_48
.LBB129_107:                            ;   in Loop: Header=BB129_21 Depth=1
	v_add_nc_u64_e32 v[92:93], 0x100, v[66:67]
	v_mov_b32_e32 v53, v3
	s_delay_alu instid0(VALU_DEP_1) | instskip(NEXT) | instid1(VALU_DEP_1)
	v_add_nc_u64_e32 v[90:91], v[72:73], v[52:53]
	v_add_nc_u64_e32 v[90:91], 0x80, v[90:91]
	s_delay_alu instid0(VALU_DEP_1)
	v_dual_cndmask_b32 v91, v93, v91, s0 :: v_dual_cndmask_b32 v90, v92, v90, s0
	v_add_nc_u64_e32 v[92:93], s[34:35], v[70:71]
	global_load_b32 v53, v[90:91], off
	s_wait_xcnt 0x0
	v_add_nc_u64_e32 v[90:91], s[38:39], v[70:71]
	global_store_b32 v[90:91], v82, off offset:128
	s_wait_loadcnt 0x0
	global_store_b32 v[92:93], v53, off offset:128
	s_wait_xcnt 0x0
	s_or_b32 exec_lo, exec_lo, s15
	s_and_saveexec_b32 s15, s56
	s_cbranch_execz .LBB129_49
.LBB129_108:                            ;   in Loop: Header=BB129_21 Depth=1
	v_mov_b32_e32 v53, v3
	v_add_nc_u64_e32 v[92:93], s[34:35], v[70:71]
	s_delay_alu instid0(VALU_DEP_2) | instskip(NEXT) | instid1(VALU_DEP_1)
	v_add_nc_u64_e32 v[90:91], v[72:73], v[52:53]
	v_dual_cndmask_b32 v91, v65, v91, s0 :: v_dual_cndmask_b32 v90, v64, v90, s0
	global_load_b32 v53, v[90:91], off offset:256
	s_wait_xcnt 0x0
	v_add_nc_u64_e32 v[90:91], s[38:39], v[70:71]
	global_store_b32 v[90:91], v83, off offset:256
	s_wait_loadcnt 0x0
	global_store_b32 v[92:93], v53, off offset:256
	s_wait_xcnt 0x0
	s_or_b32 exec_lo, exec_lo, s15
	s_and_saveexec_b32 s15, s57
	s_cbranch_execz .LBB129_50
.LBB129_109:                            ;   in Loop: Header=BB129_21 Depth=1
	v_add_nc_u64_e32 v[92:93], 0x100, v[62:63]
	v_mov_b32_e32 v53, v3
	s_delay_alu instid0(VALU_DEP_1) | instskip(NEXT) | instid1(VALU_DEP_1)
	v_add_nc_u64_e32 v[90:91], v[72:73], v[52:53]
	v_add_nc_u64_e32 v[90:91], 0x180, v[90:91]
	s_delay_alu instid0(VALU_DEP_1)
	v_dual_cndmask_b32 v91, v93, v91, s0 :: v_dual_cndmask_b32 v90, v92, v90, s0
	v_add_nc_u64_e32 v[92:93], s[34:35], v[70:71]
	global_load_b32 v53, v[90:91], off
	s_wait_xcnt 0x0
	v_add_nc_u64_e32 v[90:91], s[38:39], v[70:71]
	global_store_b32 v[90:91], v84, off offset:384
	s_wait_loadcnt 0x0
	global_store_b32 v[92:93], v53, off offset:384
	s_wait_xcnt 0x0
	s_or_b32 exec_lo, exec_lo, s15
	s_and_saveexec_b32 s15, s58
	s_cbranch_execz .LBB129_51
.LBB129_110:                            ;   in Loop: Header=BB129_21 Depth=1
	v_add_nc_u64_e32 v[92:93], 0x100, v[60:61]
	v_mov_b32_e32 v53, v3
	s_delay_alu instid0(VALU_DEP_1) | instskip(NEXT) | instid1(VALU_DEP_1)
	v_add_nc_u64_e32 v[90:91], v[72:73], v[52:53]
	v_add_nc_u64_e32 v[90:91], 0x200, v[90:91]
	s_delay_alu instid0(VALU_DEP_1)
	v_dual_cndmask_b32 v91, v93, v91, s0 :: v_dual_cndmask_b32 v90, v92, v90, s0
	v_add_nc_u64_e32 v[92:93], s[34:35], v[70:71]
	global_load_b32 v53, v[90:91], off
	s_wait_xcnt 0x0
	v_add_nc_u64_e32 v[90:91], s[38:39], v[70:71]
	global_store_b32 v[90:91], v85, off offset:512
	s_wait_loadcnt 0x0
	global_store_b32 v[92:93], v53, off offset:512
	s_wait_xcnt 0x0
	s_or_b32 exec_lo, exec_lo, s15
	s_and_saveexec_b32 s15, s59
	s_cbranch_execz .LBB129_52
.LBB129_111:                            ;   in Loop: Header=BB129_21 Depth=1
	v_add_nc_u64_e32 v[92:93], 0x100, v[58:59]
	v_mov_b32_e32 v53, v3
	s_delay_alu instid0(VALU_DEP_1) | instskip(NEXT) | instid1(VALU_DEP_1)
	v_add_nc_u64_e32 v[90:91], v[72:73], v[52:53]
	v_add_nc_u64_e32 v[90:91], 0x280, v[90:91]
	s_delay_alu instid0(VALU_DEP_1)
	v_dual_cndmask_b32 v91, v93, v91, s0 :: v_dual_cndmask_b32 v90, v92, v90, s0
	v_add_nc_u64_e32 v[92:93], s[34:35], v[70:71]
	global_load_b32 v53, v[90:91], off
	s_wait_xcnt 0x0
	v_add_nc_u64_e32 v[90:91], s[38:39], v[70:71]
	global_store_b32 v[90:91], v86, off offset:640
	s_wait_loadcnt 0x0
	global_store_b32 v[92:93], v53, off offset:640
	s_wait_xcnt 0x0
	s_or_b32 exec_lo, exec_lo, s15
	s_and_saveexec_b32 s15, s60
	s_cbranch_execz .LBB129_53
.LBB129_112:                            ;   in Loop: Header=BB129_21 Depth=1
	v_add_nc_u64_e32 v[92:93], 0x100, v[56:57]
	v_mov_b32_e32 v53, v3
	s_delay_alu instid0(VALU_DEP_1) | instskip(NEXT) | instid1(VALU_DEP_1)
	v_add_nc_u64_e32 v[90:91], v[72:73], v[52:53]
	v_add_nc_u64_e32 v[90:91], 0x300, v[90:91]
	s_delay_alu instid0(VALU_DEP_1)
	v_dual_cndmask_b32 v91, v93, v91, s0 :: v_dual_cndmask_b32 v90, v92, v90, s0
	v_add_nc_u64_e32 v[92:93], s[34:35], v[70:71]
	global_load_b32 v53, v[90:91], off
	s_wait_xcnt 0x0
	v_add_nc_u64_e32 v[90:91], s[38:39], v[70:71]
	global_store_b32 v[90:91], v87, off offset:768
	s_wait_loadcnt 0x0
	global_store_b32 v[92:93], v53, off offset:768
	s_wait_xcnt 0x0
	s_or_b32 exec_lo, exec_lo, s15
	s_and_saveexec_b32 s15, s61
	s_cbranch_execnz .LBB129_54
	s_branch .LBB129_55
.LBB129_113:                            ;   in Loop: Header=BB129_21 Depth=1
	v_add_nc_u64_e32 v[90:91], 0x180, v[68:69]
	v_mov_b32_e32 v53, v3
	s_delay_alu instid0(VALU_DEP_1) | instskip(NEXT) | instid1(VALU_DEP_1)
	v_add_nc_u64_e32 v[92:93], v[72:73], v[52:53]
	v_dual_cndmask_b32 v91, v91, v93, s0 :: v_dual_cndmask_b32 v90, v90, v92, s0
	v_add_nc_u64_e32 v[92:93], s[34:35], v[70:71]
	global_load_b32 v53, v[90:91], off
	s_wait_xcnt 0x0
	v_add_nc_u64_e32 v[90:91], s[38:39], v[70:71]
	global_store_b32 v[90:91], v81, off
	s_wait_loadcnt 0x0
	global_store_b32 v[92:93], v53, off
	s_wait_xcnt 0x0
	s_or_b32 exec_lo, exec_lo, s15
	s_and_saveexec_b32 s15, s63
	s_cbranch_execz .LBB129_57
.LBB129_114:                            ;   in Loop: Header=BB129_21 Depth=1
	v_add_nc_u64_e32 v[92:93], 0x180, v[66:67]
	v_mov_b32_e32 v53, v3
	s_delay_alu instid0(VALU_DEP_1) | instskip(NEXT) | instid1(VALU_DEP_1)
	v_add_nc_u64_e32 v[90:91], v[72:73], v[52:53]
	v_add_nc_u64_e32 v[90:91], 0x80, v[90:91]
	s_delay_alu instid0(VALU_DEP_1)
	v_dual_cndmask_b32 v91, v93, v91, s0 :: v_dual_cndmask_b32 v90, v92, v90, s0
	v_add_nc_u64_e32 v[92:93], s[34:35], v[70:71]
	global_load_b32 v53, v[90:91], off
	s_wait_xcnt 0x0
	v_add_nc_u64_e32 v[90:91], s[38:39], v[70:71]
	global_store_b32 v[90:91], v82, off offset:128
	s_wait_loadcnt 0x0
	global_store_b32 v[92:93], v53, off offset:128
	s_wait_xcnt 0x0
	s_or_b32 exec_lo, exec_lo, s15
	s_and_saveexec_b32 s15, s64
	s_cbranch_execz .LBB129_58
.LBB129_115:                            ;   in Loop: Header=BB129_21 Depth=1
	v_add_nc_u64_e32 v[92:93], 0x180, v[64:65]
	v_mov_b32_e32 v53, v3
	s_delay_alu instid0(VALU_DEP_1) | instskip(NEXT) | instid1(VALU_DEP_1)
	v_add_nc_u64_e32 v[90:91], v[72:73], v[52:53]
	v_add_nc_u64_e32 v[90:91], 0x100, v[90:91]
	s_delay_alu instid0(VALU_DEP_1)
	v_dual_cndmask_b32 v91, v93, v91, s0 :: v_dual_cndmask_b32 v90, v92, v90, s0
	v_add_nc_u64_e32 v[92:93], s[34:35], v[70:71]
	global_load_b32 v53, v[90:91], off
	s_wait_xcnt 0x0
	v_add_nc_u64_e32 v[90:91], s[38:39], v[70:71]
	global_store_b32 v[90:91], v83, off offset:256
	s_wait_loadcnt 0x0
	global_store_b32 v[92:93], v53, off offset:256
	s_wait_xcnt 0x0
	s_or_b32 exec_lo, exec_lo, s15
	s_and_saveexec_b32 s15, s65
	s_cbranch_execz .LBB129_59
.LBB129_116:                            ;   in Loop: Header=BB129_21 Depth=1
	v_mov_b32_e32 v53, v3
	v_add_nc_u64_e32 v[92:93], s[34:35], v[70:71]
	s_delay_alu instid0(VALU_DEP_2) | instskip(NEXT) | instid1(VALU_DEP_1)
	v_add_nc_u64_e32 v[90:91], v[72:73], v[52:53]
	v_dual_cndmask_b32 v91, v63, v91, s0 :: v_dual_cndmask_b32 v90, v62, v90, s0
	global_load_b32 v53, v[90:91], off offset:384
	s_wait_xcnt 0x0
	v_add_nc_u64_e32 v[90:91], s[38:39], v[70:71]
	global_store_b32 v[90:91], v84, off offset:384
	s_wait_loadcnt 0x0
	global_store_b32 v[92:93], v53, off offset:384
	s_wait_xcnt 0x0
	s_or_b32 exec_lo, exec_lo, s15
	s_and_saveexec_b32 s15, s66
	s_cbranch_execz .LBB129_60
.LBB129_117:                            ;   in Loop: Header=BB129_21 Depth=1
	v_add_nc_u64_e32 v[92:93], 0x180, v[60:61]
	v_mov_b32_e32 v53, v3
	s_delay_alu instid0(VALU_DEP_1) | instskip(NEXT) | instid1(VALU_DEP_1)
	v_add_nc_u64_e32 v[90:91], v[72:73], v[52:53]
	v_add_nc_u64_e32 v[90:91], 0x200, v[90:91]
	s_delay_alu instid0(VALU_DEP_1)
	v_dual_cndmask_b32 v91, v93, v91, s0 :: v_dual_cndmask_b32 v90, v92, v90, s0
	v_add_nc_u64_e32 v[92:93], s[34:35], v[70:71]
	global_load_b32 v53, v[90:91], off
	s_wait_xcnt 0x0
	v_add_nc_u64_e32 v[90:91], s[38:39], v[70:71]
	global_store_b32 v[90:91], v85, off offset:512
	s_wait_loadcnt 0x0
	global_store_b32 v[92:93], v53, off offset:512
	s_wait_xcnt 0x0
	s_or_b32 exec_lo, exec_lo, s15
	s_and_saveexec_b32 s15, s67
	s_cbranch_execz .LBB129_61
.LBB129_118:                            ;   in Loop: Header=BB129_21 Depth=1
	v_add_nc_u64_e32 v[92:93], 0x180, v[58:59]
	v_mov_b32_e32 v53, v3
	s_delay_alu instid0(VALU_DEP_1) | instskip(NEXT) | instid1(VALU_DEP_1)
	v_add_nc_u64_e32 v[90:91], v[72:73], v[52:53]
	v_add_nc_u64_e32 v[90:91], 0x280, v[90:91]
	s_delay_alu instid0(VALU_DEP_1)
	v_dual_cndmask_b32 v91, v93, v91, s0 :: v_dual_cndmask_b32 v90, v92, v90, s0
	v_add_nc_u64_e32 v[92:93], s[34:35], v[70:71]
	global_load_b32 v53, v[90:91], off
	s_wait_xcnt 0x0
	v_add_nc_u64_e32 v[90:91], s[38:39], v[70:71]
	global_store_b32 v[90:91], v86, off offset:640
	s_wait_loadcnt 0x0
	global_store_b32 v[92:93], v53, off offset:640
	s_wait_xcnt 0x0
	s_or_b32 exec_lo, exec_lo, s15
	s_and_saveexec_b32 s15, s68
	s_cbranch_execz .LBB129_62
.LBB129_119:                            ;   in Loop: Header=BB129_21 Depth=1
	v_add_nc_u64_e32 v[92:93], 0x180, v[56:57]
	v_mov_b32_e32 v53, v3
	s_delay_alu instid0(VALU_DEP_1) | instskip(NEXT) | instid1(VALU_DEP_1)
	v_add_nc_u64_e32 v[90:91], v[72:73], v[52:53]
	v_add_nc_u64_e32 v[90:91], 0x300, v[90:91]
	s_delay_alu instid0(VALU_DEP_1)
	v_dual_cndmask_b32 v91, v93, v91, s0 :: v_dual_cndmask_b32 v90, v92, v90, s0
	v_add_nc_u64_e32 v[92:93], s[34:35], v[70:71]
	global_load_b32 v53, v[90:91], off
	s_wait_xcnt 0x0
	v_add_nc_u64_e32 v[90:91], s[38:39], v[70:71]
	global_store_b32 v[90:91], v87, off offset:768
	s_wait_loadcnt 0x0
	global_store_b32 v[92:93], v53, off offset:768
	s_wait_xcnt 0x0
	s_or_b32 exec_lo, exec_lo, s15
	s_and_saveexec_b32 s15, s69
	s_cbranch_execnz .LBB129_63
	s_branch .LBB129_64
.LBB129_120:                            ;   in Loop: Header=BB129_21 Depth=1
	v_add_nc_u64_e32 v[90:91], 0x200, v[68:69]
	v_mov_b32_e32 v53, v3
	s_delay_alu instid0(VALU_DEP_1) | instskip(NEXT) | instid1(VALU_DEP_1)
	v_add_nc_u64_e32 v[92:93], v[72:73], v[52:53]
	v_dual_cndmask_b32 v91, v91, v93, s0 :: v_dual_cndmask_b32 v90, v90, v92, s0
	v_add_nc_u64_e32 v[92:93], s[34:35], v[70:71]
	global_load_b32 v53, v[90:91], off
	s_wait_xcnt 0x0
	v_add_nc_u64_e32 v[90:91], s[38:39], v[70:71]
	global_store_b32 v[90:91], v81, off
	s_wait_loadcnt 0x0
	global_store_b32 v[92:93], v53, off
	s_wait_xcnt 0x0
	s_or_b32 exec_lo, exec_lo, s15
	s_and_saveexec_b32 s15, s71
	s_cbranch_execz .LBB129_66
.LBB129_121:                            ;   in Loop: Header=BB129_21 Depth=1
	v_add_nc_u64_e32 v[92:93], 0x200, v[66:67]
	v_mov_b32_e32 v53, v3
	s_delay_alu instid0(VALU_DEP_1) | instskip(NEXT) | instid1(VALU_DEP_1)
	v_add_nc_u64_e32 v[90:91], v[72:73], v[52:53]
	v_add_nc_u64_e32 v[90:91], 0x80, v[90:91]
	s_delay_alu instid0(VALU_DEP_1)
	v_dual_cndmask_b32 v91, v93, v91, s0 :: v_dual_cndmask_b32 v90, v92, v90, s0
	v_add_nc_u64_e32 v[92:93], s[34:35], v[70:71]
	global_load_b32 v53, v[90:91], off
	s_wait_xcnt 0x0
	v_add_nc_u64_e32 v[90:91], s[38:39], v[70:71]
	global_store_b32 v[90:91], v82, off offset:128
	s_wait_loadcnt 0x0
	global_store_b32 v[92:93], v53, off offset:128
	s_wait_xcnt 0x0
	s_or_b32 exec_lo, exec_lo, s15
	s_and_saveexec_b32 s15, s72
	s_cbranch_execz .LBB129_67
.LBB129_122:                            ;   in Loop: Header=BB129_21 Depth=1
	v_add_nc_u64_e32 v[92:93], 0x200, v[64:65]
	v_mov_b32_e32 v53, v3
	s_delay_alu instid0(VALU_DEP_1) | instskip(NEXT) | instid1(VALU_DEP_1)
	v_add_nc_u64_e32 v[90:91], v[72:73], v[52:53]
	v_add_nc_u64_e32 v[90:91], 0x100, v[90:91]
	s_delay_alu instid0(VALU_DEP_1)
	v_dual_cndmask_b32 v91, v93, v91, s0 :: v_dual_cndmask_b32 v90, v92, v90, s0
	v_add_nc_u64_e32 v[92:93], s[34:35], v[70:71]
	global_load_b32 v53, v[90:91], off
	s_wait_xcnt 0x0
	v_add_nc_u64_e32 v[90:91], s[38:39], v[70:71]
	global_store_b32 v[90:91], v83, off offset:256
	s_wait_loadcnt 0x0
	global_store_b32 v[92:93], v53, off offset:256
	s_wait_xcnt 0x0
	s_or_b32 exec_lo, exec_lo, s15
	s_and_saveexec_b32 s15, s73
	s_cbranch_execz .LBB129_68
.LBB129_123:                            ;   in Loop: Header=BB129_21 Depth=1
	v_add_nc_u64_e32 v[92:93], 0x200, v[62:63]
	v_mov_b32_e32 v53, v3
	s_delay_alu instid0(VALU_DEP_1) | instskip(NEXT) | instid1(VALU_DEP_1)
	v_add_nc_u64_e32 v[90:91], v[72:73], v[52:53]
	v_add_nc_u64_e32 v[90:91], 0x180, v[90:91]
	s_delay_alu instid0(VALU_DEP_1)
	v_dual_cndmask_b32 v91, v93, v91, s0 :: v_dual_cndmask_b32 v90, v92, v90, s0
	v_add_nc_u64_e32 v[92:93], s[34:35], v[70:71]
	global_load_b32 v53, v[90:91], off
	s_wait_xcnt 0x0
	v_add_nc_u64_e32 v[90:91], s[38:39], v[70:71]
	global_store_b32 v[90:91], v84, off offset:384
	s_wait_loadcnt 0x0
	global_store_b32 v[92:93], v53, off offset:384
	s_wait_xcnt 0x0
	s_or_b32 exec_lo, exec_lo, s15
	s_and_saveexec_b32 s15, s74
	s_cbranch_execz .LBB129_69
.LBB129_124:                            ;   in Loop: Header=BB129_21 Depth=1
	v_mov_b32_e32 v53, v3
	v_add_nc_u64_e32 v[92:93], s[34:35], v[70:71]
	s_delay_alu instid0(VALU_DEP_2) | instskip(NEXT) | instid1(VALU_DEP_1)
	v_add_nc_u64_e32 v[90:91], v[72:73], v[52:53]
	v_dual_cndmask_b32 v91, v61, v91, s0 :: v_dual_cndmask_b32 v90, v60, v90, s0
	global_load_b32 v53, v[90:91], off offset:512
	s_wait_xcnt 0x0
	v_add_nc_u64_e32 v[90:91], s[38:39], v[70:71]
	global_store_b32 v[90:91], v85, off offset:512
	s_wait_loadcnt 0x0
	global_store_b32 v[92:93], v53, off offset:512
	s_wait_xcnt 0x0
	s_or_b32 exec_lo, exec_lo, s15
	s_and_saveexec_b32 s15, s75
	s_cbranch_execz .LBB129_70
.LBB129_125:                            ;   in Loop: Header=BB129_21 Depth=1
	v_add_nc_u64_e32 v[92:93], 0x200, v[58:59]
	v_mov_b32_e32 v53, v3
	s_delay_alu instid0(VALU_DEP_1) | instskip(NEXT) | instid1(VALU_DEP_1)
	v_add_nc_u64_e32 v[90:91], v[72:73], v[52:53]
	v_add_nc_u64_e32 v[90:91], 0x280, v[90:91]
	s_delay_alu instid0(VALU_DEP_1)
	v_dual_cndmask_b32 v91, v93, v91, s0 :: v_dual_cndmask_b32 v90, v92, v90, s0
	v_add_nc_u64_e32 v[92:93], s[34:35], v[70:71]
	global_load_b32 v53, v[90:91], off
	s_wait_xcnt 0x0
	v_add_nc_u64_e32 v[90:91], s[38:39], v[70:71]
	global_store_b32 v[90:91], v86, off offset:640
	s_wait_loadcnt 0x0
	global_store_b32 v[92:93], v53, off offset:640
	s_wait_xcnt 0x0
	s_or_b32 exec_lo, exec_lo, s15
	s_and_saveexec_b32 s15, s76
	s_cbranch_execz .LBB129_71
.LBB129_126:                            ;   in Loop: Header=BB129_21 Depth=1
	v_add_nc_u64_e32 v[92:93], 0x200, v[56:57]
	v_mov_b32_e32 v53, v3
	s_delay_alu instid0(VALU_DEP_1) | instskip(NEXT) | instid1(VALU_DEP_1)
	v_add_nc_u64_e32 v[90:91], v[72:73], v[52:53]
	v_add_nc_u64_e32 v[90:91], 0x300, v[90:91]
	s_delay_alu instid0(VALU_DEP_1)
	v_dual_cndmask_b32 v91, v93, v91, s0 :: v_dual_cndmask_b32 v90, v92, v90, s0
	v_add_nc_u64_e32 v[92:93], s[34:35], v[70:71]
	global_load_b32 v53, v[90:91], off
	s_wait_xcnt 0x0
	v_add_nc_u64_e32 v[90:91], s[38:39], v[70:71]
	global_store_b32 v[90:91], v87, off offset:768
	s_wait_loadcnt 0x0
	global_store_b32 v[92:93], v53, off offset:768
	s_wait_xcnt 0x0
	s_or_b32 exec_lo, exec_lo, s15
	s_and_saveexec_b32 s15, s8
	s_cbranch_execnz .LBB129_72
	s_branch .LBB129_73
.LBB129_127:                            ;   in Loop: Header=BB129_21 Depth=1
	v_add_nc_u64_e32 v[90:91], 0x280, v[68:69]
	v_mov_b32_e32 v53, v3
	s_delay_alu instid0(VALU_DEP_1) | instskip(NEXT) | instid1(VALU_DEP_1)
	v_add_nc_u64_e32 v[92:93], v[72:73], v[52:53]
	v_dual_cndmask_b32 v91, v91, v93, s0 :: v_dual_cndmask_b32 v90, v90, v92, s0
	v_add_nc_u64_e32 v[92:93], s[34:35], v[70:71]
	global_load_b32 v53, v[90:91], off
	s_wait_xcnt 0x0
	v_add_nc_u64_e32 v[90:91], s[38:39], v[70:71]
	global_store_b32 v[90:91], v81, off
	s_wait_loadcnt 0x0
	global_store_b32 v[92:93], v53, off
	s_wait_xcnt 0x0
	s_or_b32 exec_lo, exec_lo, s15
	s_and_saveexec_b32 s15, s41
	s_cbranch_execz .LBB129_75
.LBB129_128:                            ;   in Loop: Header=BB129_21 Depth=1
	v_add_nc_u64_e32 v[92:93], 0x280, v[66:67]
	v_mov_b32_e32 v53, v3
	s_delay_alu instid0(VALU_DEP_1) | instskip(NEXT) | instid1(VALU_DEP_1)
	v_add_nc_u64_e32 v[90:91], v[72:73], v[52:53]
	v_add_nc_u64_e32 v[90:91], 0x80, v[90:91]
	s_delay_alu instid0(VALU_DEP_1)
	v_dual_cndmask_b32 v91, v93, v91, s0 :: v_dual_cndmask_b32 v90, v92, v90, s0
	v_add_nc_u64_e32 v[92:93], s[34:35], v[70:71]
	global_load_b32 v53, v[90:91], off
	s_wait_xcnt 0x0
	v_add_nc_u64_e32 v[90:91], s[38:39], v[70:71]
	global_store_b32 v[90:91], v82, off offset:128
	s_wait_loadcnt 0x0
	global_store_b32 v[92:93], v53, off offset:128
	s_wait_xcnt 0x0
	s_or_b32 exec_lo, exec_lo, s15
	s_and_saveexec_b32 s15, s77
	s_cbranch_execz .LBB129_76
.LBB129_129:                            ;   in Loop: Header=BB129_21 Depth=1
	v_add_nc_u64_e32 v[92:93], 0x280, v[64:65]
	v_mov_b32_e32 v53, v3
	s_delay_alu instid0(VALU_DEP_1) | instskip(NEXT) | instid1(VALU_DEP_1)
	v_add_nc_u64_e32 v[90:91], v[72:73], v[52:53]
	v_add_nc_u64_e32 v[90:91], 0x100, v[90:91]
	s_delay_alu instid0(VALU_DEP_1)
	v_dual_cndmask_b32 v91, v93, v91, s0 :: v_dual_cndmask_b32 v90, v92, v90, s0
	v_add_nc_u64_e32 v[92:93], s[34:35], v[70:71]
	global_load_b32 v53, v[90:91], off
	s_wait_xcnt 0x0
	v_add_nc_u64_e32 v[90:91], s[38:39], v[70:71]
	global_store_b32 v[90:91], v83, off offset:256
	s_wait_loadcnt 0x0
	global_store_b32 v[92:93], v53, off offset:256
	s_wait_xcnt 0x0
	s_or_b32 exec_lo, exec_lo, s15
	s_and_saveexec_b32 s15, s78
	s_cbranch_execz .LBB129_77
.LBB129_130:                            ;   in Loop: Header=BB129_21 Depth=1
	v_add_nc_u64_e32 v[92:93], 0x280, v[62:63]
	v_mov_b32_e32 v53, v3
	s_delay_alu instid0(VALU_DEP_1) | instskip(NEXT) | instid1(VALU_DEP_1)
	v_add_nc_u64_e32 v[90:91], v[72:73], v[52:53]
	v_add_nc_u64_e32 v[90:91], 0x180, v[90:91]
	s_delay_alu instid0(VALU_DEP_1)
	v_dual_cndmask_b32 v91, v93, v91, s0 :: v_dual_cndmask_b32 v90, v92, v90, s0
	v_add_nc_u64_e32 v[92:93], s[34:35], v[70:71]
	global_load_b32 v53, v[90:91], off
	s_wait_xcnt 0x0
	v_add_nc_u64_e32 v[90:91], s[38:39], v[70:71]
	global_store_b32 v[90:91], v84, off offset:384
	s_wait_loadcnt 0x0
	global_store_b32 v[92:93], v53, off offset:384
	s_wait_xcnt 0x0
	s_or_b32 exec_lo, exec_lo, s15
	s_and_saveexec_b32 s15, s79
	s_cbranch_execz .LBB129_78
.LBB129_131:                            ;   in Loop: Header=BB129_21 Depth=1
	v_add_nc_u64_e32 v[92:93], 0x280, v[60:61]
	v_mov_b32_e32 v53, v3
	s_delay_alu instid0(VALU_DEP_1) | instskip(NEXT) | instid1(VALU_DEP_1)
	v_add_nc_u64_e32 v[90:91], v[72:73], v[52:53]
	v_add_nc_u64_e32 v[90:91], 0x200, v[90:91]
	s_delay_alu instid0(VALU_DEP_1)
	v_dual_cndmask_b32 v91, v93, v91, s0 :: v_dual_cndmask_b32 v90, v92, v90, s0
	v_add_nc_u64_e32 v[92:93], s[34:35], v[70:71]
	global_load_b32 v53, v[90:91], off
	s_wait_xcnt 0x0
	v_add_nc_u64_e32 v[90:91], s[38:39], v[70:71]
	global_store_b32 v[90:91], v85, off offset:512
	s_wait_loadcnt 0x0
	global_store_b32 v[92:93], v53, off offset:512
	s_wait_xcnt 0x0
	s_or_b32 exec_lo, exec_lo, s15
	s_and_saveexec_b32 s15, s80
	s_cbranch_execz .LBB129_79
.LBB129_132:                            ;   in Loop: Header=BB129_21 Depth=1
	v_mov_b32_e32 v53, v3
	v_add_nc_u64_e32 v[92:93], s[34:35], v[70:71]
	s_delay_alu instid0(VALU_DEP_2) | instskip(NEXT) | instid1(VALU_DEP_1)
	v_add_nc_u64_e32 v[90:91], v[72:73], v[52:53]
	v_dual_cndmask_b32 v91, v59, v91, s0 :: v_dual_cndmask_b32 v90, v58, v90, s0
	global_load_b32 v53, v[90:91], off offset:640
	s_wait_xcnt 0x0
	v_add_nc_u64_e32 v[90:91], s[38:39], v[70:71]
	global_store_b32 v[90:91], v86, off offset:640
	s_wait_loadcnt 0x0
	global_store_b32 v[92:93], v53, off offset:640
	s_wait_xcnt 0x0
	s_or_b32 exec_lo, exec_lo, s15
	s_and_saveexec_b32 s15, s81
	s_cbranch_execz .LBB129_80
.LBB129_133:                            ;   in Loop: Header=BB129_21 Depth=1
	v_add_nc_u64_e32 v[92:93], 0x280, v[56:57]
	v_mov_b32_e32 v53, v3
	s_delay_alu instid0(VALU_DEP_1) | instskip(NEXT) | instid1(VALU_DEP_1)
	v_add_nc_u64_e32 v[90:91], v[72:73], v[52:53]
	v_add_nc_u64_e32 v[90:91], 0x300, v[90:91]
	s_delay_alu instid0(VALU_DEP_1)
	v_dual_cndmask_b32 v91, v93, v91, s0 :: v_dual_cndmask_b32 v90, v92, v90, s0
	v_add_nc_u64_e32 v[92:93], s[34:35], v[70:71]
	global_load_b32 v53, v[90:91], off
	s_wait_xcnt 0x0
	v_add_nc_u64_e32 v[90:91], s[38:39], v[70:71]
	global_store_b32 v[90:91], v87, off offset:768
	s_wait_loadcnt 0x0
	global_store_b32 v[92:93], v53, off offset:768
	s_wait_xcnt 0x0
	s_or_b32 exec_lo, exec_lo, s15
	s_and_saveexec_b32 s15, s82
	s_cbranch_execnz .LBB129_81
	s_branch .LBB129_82
.LBB129_134:                            ;   in Loop: Header=BB129_21 Depth=1
	v_add_nc_u64_e32 v[90:91], 0x300, v[68:69]
	v_mov_b32_e32 v53, v3
	s_delay_alu instid0(VALU_DEP_1) | instskip(NEXT) | instid1(VALU_DEP_1)
	v_add_nc_u64_e32 v[92:93], v[72:73], v[52:53]
	v_dual_cndmask_b32 v91, v91, v93, s0 :: v_dual_cndmask_b32 v90, v90, v92, s0
	v_add_nc_u64_e32 v[92:93], s[34:35], v[70:71]
	global_load_b32 v53, v[90:91], off
	s_wait_xcnt 0x0
	v_add_nc_u64_e32 v[90:91], s[38:39], v[70:71]
	global_store_b32 v[90:91], v81, off
	s_wait_loadcnt 0x0
	global_store_b32 v[92:93], v53, off
	s_wait_xcnt 0x0
	s_or_b32 exec_lo, exec_lo, s15
	s_and_saveexec_b32 s15, s84
	s_cbranch_execz .LBB129_84
.LBB129_135:                            ;   in Loop: Header=BB129_21 Depth=1
	v_add_nc_u64_e32 v[92:93], 0x300, v[66:67]
	v_mov_b32_e32 v53, v3
	s_delay_alu instid0(VALU_DEP_1) | instskip(NEXT) | instid1(VALU_DEP_1)
	v_add_nc_u64_e32 v[90:91], v[72:73], v[52:53]
	v_add_nc_u64_e32 v[90:91], 0x80, v[90:91]
	s_delay_alu instid0(VALU_DEP_1)
	v_dual_cndmask_b32 v91, v93, v91, s0 :: v_dual_cndmask_b32 v90, v92, v90, s0
	v_add_nc_u64_e32 v[92:93], s[34:35], v[70:71]
	global_load_b32 v53, v[90:91], off
	s_wait_xcnt 0x0
	v_add_nc_u64_e32 v[90:91], s[38:39], v[70:71]
	global_store_b32 v[90:91], v82, off offset:128
	s_wait_loadcnt 0x0
	global_store_b32 v[92:93], v53, off offset:128
	s_wait_xcnt 0x0
	s_or_b32 exec_lo, exec_lo, s15
	s_and_saveexec_b32 s15, s85
	s_cbranch_execz .LBB129_85
.LBB129_136:                            ;   in Loop: Header=BB129_21 Depth=1
	v_add_nc_u64_e32 v[92:93], 0x300, v[64:65]
	v_mov_b32_e32 v53, v3
	s_delay_alu instid0(VALU_DEP_1) | instskip(NEXT) | instid1(VALU_DEP_1)
	v_add_nc_u64_e32 v[90:91], v[72:73], v[52:53]
	v_add_nc_u64_e32 v[90:91], 0x100, v[90:91]
	s_delay_alu instid0(VALU_DEP_1)
	v_dual_cndmask_b32 v91, v93, v91, s0 :: v_dual_cndmask_b32 v90, v92, v90, s0
	v_add_nc_u64_e32 v[92:93], s[34:35], v[70:71]
	global_load_b32 v53, v[90:91], off
	s_wait_xcnt 0x0
	v_add_nc_u64_e32 v[90:91], s[38:39], v[70:71]
	global_store_b32 v[90:91], v83, off offset:256
	s_wait_loadcnt 0x0
	global_store_b32 v[92:93], v53, off offset:256
	s_wait_xcnt 0x0
	s_or_b32 exec_lo, exec_lo, s15
	s_and_saveexec_b32 s15, s86
	s_cbranch_execz .LBB129_86
.LBB129_137:                            ;   in Loop: Header=BB129_21 Depth=1
	v_add_nc_u64_e32 v[92:93], 0x300, v[62:63]
	v_mov_b32_e32 v53, v3
	s_delay_alu instid0(VALU_DEP_1) | instskip(NEXT) | instid1(VALU_DEP_1)
	v_add_nc_u64_e32 v[90:91], v[72:73], v[52:53]
	v_add_nc_u64_e32 v[90:91], 0x180, v[90:91]
	s_delay_alu instid0(VALU_DEP_1)
	v_dual_cndmask_b32 v91, v93, v91, s0 :: v_dual_cndmask_b32 v90, v92, v90, s0
	v_add_nc_u64_e32 v[92:93], s[34:35], v[70:71]
	global_load_b32 v53, v[90:91], off
	s_wait_xcnt 0x0
	v_add_nc_u64_e32 v[90:91], s[38:39], v[70:71]
	global_store_b32 v[90:91], v84, off offset:384
	s_wait_loadcnt 0x0
	global_store_b32 v[92:93], v53, off offset:384
	s_wait_xcnt 0x0
	s_or_b32 exec_lo, exec_lo, s15
	s_and_saveexec_b32 s15, s87
	s_cbranch_execz .LBB129_87
.LBB129_138:                            ;   in Loop: Header=BB129_21 Depth=1
	v_add_nc_u64_e32 v[92:93], 0x300, v[60:61]
	v_mov_b32_e32 v53, v3
	s_delay_alu instid0(VALU_DEP_1) | instskip(NEXT) | instid1(VALU_DEP_1)
	v_add_nc_u64_e32 v[90:91], v[72:73], v[52:53]
	v_add_nc_u64_e32 v[90:91], 0x200, v[90:91]
	s_delay_alu instid0(VALU_DEP_1)
	v_dual_cndmask_b32 v91, v93, v91, s0 :: v_dual_cndmask_b32 v90, v92, v90, s0
	v_add_nc_u64_e32 v[92:93], s[34:35], v[70:71]
	global_load_b32 v53, v[90:91], off
	s_wait_xcnt 0x0
	v_add_nc_u64_e32 v[90:91], s[38:39], v[70:71]
	global_store_b32 v[90:91], v85, off offset:512
	s_wait_loadcnt 0x0
	global_store_b32 v[92:93], v53, off offset:512
	s_wait_xcnt 0x0
	s_or_b32 exec_lo, exec_lo, s15
	s_and_saveexec_b32 s15, s88
	s_cbranch_execz .LBB129_88
.LBB129_139:                            ;   in Loop: Header=BB129_21 Depth=1
	v_add_nc_u64_e32 v[92:93], 0x300, v[58:59]
	v_mov_b32_e32 v53, v3
	s_delay_alu instid0(VALU_DEP_1) | instskip(NEXT) | instid1(VALU_DEP_1)
	v_add_nc_u64_e32 v[90:91], v[72:73], v[52:53]
	v_add_nc_u64_e32 v[90:91], 0x280, v[90:91]
	s_delay_alu instid0(VALU_DEP_1)
	v_dual_cndmask_b32 v91, v93, v91, s0 :: v_dual_cndmask_b32 v90, v92, v90, s0
	v_add_nc_u64_e32 v[92:93], s[34:35], v[70:71]
	global_load_b32 v53, v[90:91], off
	s_wait_xcnt 0x0
	v_add_nc_u64_e32 v[90:91], s[38:39], v[70:71]
	global_store_b32 v[90:91], v86, off offset:640
	s_wait_loadcnt 0x0
	global_store_b32 v[92:93], v53, off offset:640
	s_wait_xcnt 0x0
	s_or_b32 exec_lo, exec_lo, s15
	s_and_saveexec_b32 s15, s89
	s_cbranch_execz .LBB129_89
.LBB129_140:                            ;   in Loop: Header=BB129_21 Depth=1
	v_mov_b32_e32 v53, v3
	v_add_nc_u64_e32 v[92:93], s[34:35], v[70:71]
	s_delay_alu instid0(VALU_DEP_2) | instskip(NEXT) | instid1(VALU_DEP_1)
	v_add_nc_u64_e32 v[90:91], v[72:73], v[52:53]
	v_dual_cndmask_b32 v91, v57, v91, s0 :: v_dual_cndmask_b32 v90, v56, v90, s0
	global_load_b32 v53, v[90:91], off offset:768
	s_wait_xcnt 0x0
	v_add_nc_u64_e32 v[90:91], s[38:39], v[70:71]
	global_store_b32 v[90:91], v87, off offset:768
	s_wait_loadcnt 0x0
	global_store_b32 v[92:93], v53, off offset:768
	s_wait_xcnt 0x0
	s_or_b32 exec_lo, exec_lo, s15
	s_and_saveexec_b32 s15, s90
	s_cbranch_execnz .LBB129_90
	s_branch .LBB129_91
.LBB129_141:                            ;   in Loop: Header=BB129_21 Depth=1
	v_add_nc_u64_e32 v[68:69], 0x380, v[68:69]
	v_mov_b32_e32 v53, v3
	s_delay_alu instid0(VALU_DEP_1) | instskip(NEXT) | instid1(VALU_DEP_1)
	v_add_nc_u64_e32 v[90:91], v[72:73], v[52:53]
	v_dual_cndmask_b32 v69, v69, v91, s0 :: v_dual_cndmask_b32 v68, v68, v90, s0
	v_add_nc_u64_e32 v[90:91], s[34:35], v[70:71]
	global_load_b32 v53, v[68:69], off
	s_wait_xcnt 0x0
	v_add_nc_u64_e32 v[68:69], s[38:39], v[70:71]
	global_store_b32 v[68:69], v81, off
	s_wait_loadcnt 0x0
	global_store_b32 v[90:91], v53, off
	s_wait_xcnt 0x0
	s_or_b32 exec_lo, exec_lo, s4
	s_and_saveexec_b32 s4, s1
	s_cbranch_execz .LBB129_93
.LBB129_142:                            ;   in Loop: Header=BB129_21 Depth=1
	v_add_nc_u64_e32 v[66:67], 0x380, v[66:67]
	v_mov_b32_e32 v53, v3
	s_delay_alu instid0(VALU_DEP_1) | instskip(NEXT) | instid1(VALU_DEP_1)
	v_add_nc_u64_e32 v[68:69], v[72:73], v[52:53]
	v_add_nc_u64_e32 v[68:69], 0x80, v[68:69]
	s_delay_alu instid0(VALU_DEP_1)
	v_dual_cndmask_b32 v67, v67, v69, s0 :: v_dual_cndmask_b32 v66, v66, v68, s0
	v_add_nc_u64_e32 v[68:69], s[34:35], v[70:71]
	global_load_b32 v53, v[66:67], off
	s_wait_xcnt 0x0
	v_add_nc_u64_e32 v[66:67], s[38:39], v[70:71]
	global_store_b32 v[66:67], v82, off offset:128
	s_wait_loadcnt 0x0
	global_store_b32 v[68:69], v53, off offset:128
	s_wait_xcnt 0x0
	s_or_b32 exec_lo, exec_lo, s4
	s_and_saveexec_b32 s4, s10
	s_cbranch_execz .LBB129_94
.LBB129_143:                            ;   in Loop: Header=BB129_21 Depth=1
	v_add_nc_u64_e32 v[64:65], 0x380, v[64:65]
	v_mov_b32_e32 v53, v3
	s_delay_alu instid0(VALU_DEP_1) | instskip(NEXT) | instid1(VALU_DEP_1)
	v_add_nc_u64_e32 v[66:67], v[72:73], v[52:53]
	v_add_nc_u64_e32 v[66:67], 0x100, v[66:67]
	s_delay_alu instid0(VALU_DEP_1)
	v_dual_cndmask_b32 v65, v65, v67, s0 :: v_dual_cndmask_b32 v64, v64, v66, s0
	v_add_nc_u64_e32 v[66:67], s[34:35], v[70:71]
	global_load_b32 v53, v[64:65], off
	s_wait_xcnt 0x0
	v_add_nc_u64_e32 v[64:65], s[38:39], v[70:71]
	global_store_b32 v[64:65], v83, off offset:256
	s_wait_loadcnt 0x0
	global_store_b32 v[66:67], v53, off offset:256
	s_wait_xcnt 0x0
	s_or_b32 exec_lo, exec_lo, s4
	s_and_saveexec_b32 s4, s11
	s_cbranch_execz .LBB129_95
.LBB129_144:                            ;   in Loop: Header=BB129_21 Depth=1
	v_add_nc_u64_e32 v[62:63], 0x380, v[62:63]
	v_mov_b32_e32 v53, v3
	s_delay_alu instid0(VALU_DEP_1) | instskip(NEXT) | instid1(VALU_DEP_1)
	v_add_nc_u64_e32 v[64:65], v[72:73], v[52:53]
	v_add_nc_u64_e32 v[64:65], 0x180, v[64:65]
	s_delay_alu instid0(VALU_DEP_1)
	v_dual_cndmask_b32 v63, v63, v65, s0 :: v_dual_cndmask_b32 v62, v62, v64, s0
	v_add_nc_u64_e32 v[64:65], s[34:35], v[70:71]
	global_load_b32 v53, v[62:63], off
	s_wait_xcnt 0x0
	v_add_nc_u64_e32 v[62:63], s[38:39], v[70:71]
	global_store_b32 v[62:63], v84, off offset:384
	s_wait_loadcnt 0x0
	global_store_b32 v[64:65], v53, off offset:384
	s_wait_xcnt 0x0
	s_or_b32 exec_lo, exec_lo, s4
	s_and_saveexec_b32 s4, s12
	s_cbranch_execz .LBB129_96
.LBB129_145:                            ;   in Loop: Header=BB129_21 Depth=1
	v_add_nc_u64_e32 v[60:61], 0x380, v[60:61]
	v_mov_b32_e32 v53, v3
	s_delay_alu instid0(VALU_DEP_1) | instskip(NEXT) | instid1(VALU_DEP_1)
	v_add_nc_u64_e32 v[62:63], v[72:73], v[52:53]
	v_add_nc_u64_e32 v[62:63], 0x200, v[62:63]
	s_delay_alu instid0(VALU_DEP_1)
	v_dual_cndmask_b32 v61, v61, v63, s0 :: v_dual_cndmask_b32 v60, v60, v62, s0
	v_add_nc_u64_e32 v[62:63], s[34:35], v[70:71]
	global_load_b32 v53, v[60:61], off
	s_wait_xcnt 0x0
	v_add_nc_u64_e32 v[60:61], s[38:39], v[70:71]
	global_store_b32 v[60:61], v85, off offset:512
	s_wait_loadcnt 0x0
	global_store_b32 v[62:63], v53, off offset:512
	s_wait_xcnt 0x0
	s_or_b32 exec_lo, exec_lo, s4
	s_and_saveexec_b32 s4, s13
	s_cbranch_execz .LBB129_97
.LBB129_146:                            ;   in Loop: Header=BB129_21 Depth=1
	v_add_nc_u64_e32 v[58:59], 0x380, v[58:59]
	v_mov_b32_e32 v53, v3
	s_delay_alu instid0(VALU_DEP_1) | instskip(NEXT) | instid1(VALU_DEP_1)
	v_add_nc_u64_e32 v[60:61], v[72:73], v[52:53]
	v_add_nc_u64_e32 v[60:61], 0x280, v[60:61]
	s_delay_alu instid0(VALU_DEP_1)
	v_dual_cndmask_b32 v59, v59, v61, s0 :: v_dual_cndmask_b32 v58, v58, v60, s0
	v_add_nc_u64_e32 v[60:61], s[34:35], v[70:71]
	global_load_b32 v53, v[58:59], off
	s_wait_xcnt 0x0
	v_add_nc_u64_e32 v[58:59], s[38:39], v[70:71]
	global_store_b32 v[58:59], v86, off offset:640
	s_wait_loadcnt 0x0
	global_store_b32 v[60:61], v53, off offset:640
	s_wait_xcnt 0x0
	s_or_b32 exec_lo, exec_lo, s4
	s_and_saveexec_b32 s4, s14
	s_cbranch_execz .LBB129_98
.LBB129_147:                            ;   in Loop: Header=BB129_21 Depth=1
	v_add_nc_u64_e32 v[56:57], 0x380, v[56:57]
	v_mov_b32_e32 v53, v3
	s_delay_alu instid0(VALU_DEP_1) | instskip(NEXT) | instid1(VALU_DEP_1)
	v_add_nc_u64_e32 v[58:59], v[72:73], v[52:53]
	v_add_nc_u64_e32 v[58:59], 0x300, v[58:59]
	s_delay_alu instid0(VALU_DEP_1)
	v_dual_cndmask_b32 v57, v57, v59, s0 :: v_dual_cndmask_b32 v56, v56, v58, s0
	v_add_nc_u64_e32 v[58:59], s[34:35], v[70:71]
	global_load_b32 v53, v[56:57], off
	s_wait_xcnt 0x0
	v_add_nc_u64_e32 v[56:57], s[38:39], v[70:71]
	global_store_b32 v[56:57], v87, off offset:768
	s_wait_loadcnt 0x0
	global_store_b32 v[58:59], v53, off offset:768
	s_wait_xcnt 0x0
	s_or_b32 exec_lo, exec_lo, s4
	s_and_saveexec_b32 s4, s9
	s_cbranch_execz .LBB129_20
.LBB129_148:                            ;   in Loop: Header=BB129_21 Depth=1
	v_mov_b32_e32 v53, v3
	s_delay_alu instid0(VALU_DEP_1) | instskip(NEXT) | instid1(VALU_DEP_1)
	v_add_nc_u64_e32 v[52:53], v[72:73], v[52:53]
	v_dual_cndmask_b32 v53, v55, v53, s0 :: v_dual_cndmask_b32 v52, v54, v52, s0
	v_add_nc_u64_e32 v[54:55], s[34:35], v[70:71]
	global_load_b32 v56, v[52:53], off offset:896
	s_wait_xcnt 0x0
	v_add_nc_u64_e32 v[52:53], s[38:39], v[70:71]
	global_store_b32 v[52:53], v88, off offset:896
	s_wait_loadcnt 0x0
	global_store_b32 v[54:55], v56, off offset:896
	s_branch .LBB129_20
.LBB129_149:
	s_sendmsg sendmsg(MSG_DEALLOC_VGPRS)
	s_endpgm
	.section	.rodata,"a",@progbits
	.p2align	6, 0x0
	.amdhsa_kernel _ZN9rocsparseL35bsr2csr_block_per_row_33_256_kernelILj1024ELj256ELj32EfliEEv20rocsparse_direction_T4_S2_21rocsparse_index_base_PKT2_PKT3_PKS2_S2_S3_PS4_PS7_PS2_
		.amdhsa_group_segment_fixed_size 0
		.amdhsa_private_segment_fixed_size 0
		.amdhsa_kernarg_size 72
		.amdhsa_user_sgpr_count 2
		.amdhsa_user_sgpr_dispatch_ptr 0
		.amdhsa_user_sgpr_queue_ptr 0
		.amdhsa_user_sgpr_kernarg_segment_ptr 1
		.amdhsa_user_sgpr_dispatch_id 0
		.amdhsa_user_sgpr_kernarg_preload_length 0
		.amdhsa_user_sgpr_kernarg_preload_offset 0
		.amdhsa_user_sgpr_private_segment_size 0
		.amdhsa_wavefront_size32 1
		.amdhsa_uses_dynamic_stack 0
		.amdhsa_enable_private_segment 0
		.amdhsa_system_sgpr_workgroup_id_x 1
		.amdhsa_system_sgpr_workgroup_id_y 0
		.amdhsa_system_sgpr_workgroup_id_z 0
		.amdhsa_system_sgpr_workgroup_info 0
		.amdhsa_system_vgpr_workitem_id 0
		.amdhsa_next_free_vgpr 94
		.amdhsa_next_free_sgpr 93
		.amdhsa_named_barrier_count 0
		.amdhsa_reserve_vcc 1
		.amdhsa_float_round_mode_32 0
		.amdhsa_float_round_mode_16_64 0
		.amdhsa_float_denorm_mode_32 3
		.amdhsa_float_denorm_mode_16_64 3
		.amdhsa_fp16_overflow 0
		.amdhsa_memory_ordered 1
		.amdhsa_forward_progress 1
		.amdhsa_inst_pref_size 76
		.amdhsa_round_robin_scheduling 0
		.amdhsa_exception_fp_ieee_invalid_op 0
		.amdhsa_exception_fp_denorm_src 0
		.amdhsa_exception_fp_ieee_div_zero 0
		.amdhsa_exception_fp_ieee_overflow 0
		.amdhsa_exception_fp_ieee_underflow 0
		.amdhsa_exception_fp_ieee_inexact 0
		.amdhsa_exception_int_div_zero 0
	.end_amdhsa_kernel
	.section	.text._ZN9rocsparseL35bsr2csr_block_per_row_33_256_kernelILj1024ELj256ELj32EfliEEv20rocsparse_direction_T4_S2_21rocsparse_index_base_PKT2_PKT3_PKS2_S2_S3_PS4_PS7_PS2_,"axG",@progbits,_ZN9rocsparseL35bsr2csr_block_per_row_33_256_kernelILj1024ELj256ELj32EfliEEv20rocsparse_direction_T4_S2_21rocsparse_index_base_PKT2_PKT3_PKS2_S2_S3_PS4_PS7_PS2_,comdat
.Lfunc_end129:
	.size	_ZN9rocsparseL35bsr2csr_block_per_row_33_256_kernelILj1024ELj256ELj32EfliEEv20rocsparse_direction_T4_S2_21rocsparse_index_base_PKT2_PKT3_PKS2_S2_S3_PS4_PS7_PS2_, .Lfunc_end129-_ZN9rocsparseL35bsr2csr_block_per_row_33_256_kernelILj1024ELj256ELj32EfliEEv20rocsparse_direction_T4_S2_21rocsparse_index_base_PKT2_PKT3_PKS2_S2_S3_PS4_PS7_PS2_
                                        ; -- End function
	.set _ZN9rocsparseL35bsr2csr_block_per_row_33_256_kernelILj1024ELj256ELj32EfliEEv20rocsparse_direction_T4_S2_21rocsparse_index_base_PKT2_PKT3_PKS2_S2_S3_PS4_PS7_PS2_.num_vgpr, 94
	.set _ZN9rocsparseL35bsr2csr_block_per_row_33_256_kernelILj1024ELj256ELj32EfliEEv20rocsparse_direction_T4_S2_21rocsparse_index_base_PKT2_PKT3_PKS2_S2_S3_PS4_PS7_PS2_.num_agpr, 0
	.set _ZN9rocsparseL35bsr2csr_block_per_row_33_256_kernelILj1024ELj256ELj32EfliEEv20rocsparse_direction_T4_S2_21rocsparse_index_base_PKT2_PKT3_PKS2_S2_S3_PS4_PS7_PS2_.numbered_sgpr, 93
	.set _ZN9rocsparseL35bsr2csr_block_per_row_33_256_kernelILj1024ELj256ELj32EfliEEv20rocsparse_direction_T4_S2_21rocsparse_index_base_PKT2_PKT3_PKS2_S2_S3_PS4_PS7_PS2_.num_named_barrier, 0
	.set _ZN9rocsparseL35bsr2csr_block_per_row_33_256_kernelILj1024ELj256ELj32EfliEEv20rocsparse_direction_T4_S2_21rocsparse_index_base_PKT2_PKT3_PKS2_S2_S3_PS4_PS7_PS2_.private_seg_size, 0
	.set _ZN9rocsparseL35bsr2csr_block_per_row_33_256_kernelILj1024ELj256ELj32EfliEEv20rocsparse_direction_T4_S2_21rocsparse_index_base_PKT2_PKT3_PKS2_S2_S3_PS4_PS7_PS2_.uses_vcc, 1
	.set _ZN9rocsparseL35bsr2csr_block_per_row_33_256_kernelILj1024ELj256ELj32EfliEEv20rocsparse_direction_T4_S2_21rocsparse_index_base_PKT2_PKT3_PKS2_S2_S3_PS4_PS7_PS2_.uses_flat_scratch, 0
	.set _ZN9rocsparseL35bsr2csr_block_per_row_33_256_kernelILj1024ELj256ELj32EfliEEv20rocsparse_direction_T4_S2_21rocsparse_index_base_PKT2_PKT3_PKS2_S2_S3_PS4_PS7_PS2_.has_dyn_sized_stack, 0
	.set _ZN9rocsparseL35bsr2csr_block_per_row_33_256_kernelILj1024ELj256ELj32EfliEEv20rocsparse_direction_T4_S2_21rocsparse_index_base_PKT2_PKT3_PKS2_S2_S3_PS4_PS7_PS2_.has_recursion, 0
	.set _ZN9rocsparseL35bsr2csr_block_per_row_33_256_kernelILj1024ELj256ELj32EfliEEv20rocsparse_direction_T4_S2_21rocsparse_index_base_PKT2_PKT3_PKS2_S2_S3_PS4_PS7_PS2_.has_indirect_call, 0
	.section	.AMDGPU.csdata,"",@progbits
; Kernel info:
; codeLenInByte = 9688
; TotalNumSgprs: 95
; NumVgprs: 94
; ScratchSize: 0
; MemoryBound: 0
; FloatMode: 240
; IeeeMode: 1
; LDSByteSize: 0 bytes/workgroup (compile time only)
; SGPRBlocks: 0
; VGPRBlocks: 5
; NumSGPRsForWavesPerEU: 95
; NumVGPRsForWavesPerEU: 94
; NamedBarCnt: 0
; Occupancy: 10
; WaveLimiterHint : 1
; COMPUTE_PGM_RSRC2:SCRATCH_EN: 0
; COMPUTE_PGM_RSRC2:USER_SGPR: 2
; COMPUTE_PGM_RSRC2:TRAP_HANDLER: 0
; COMPUTE_PGM_RSRC2:TGID_X_EN: 1
; COMPUTE_PGM_RSRC2:TGID_Y_EN: 0
; COMPUTE_PGM_RSRC2:TGID_Z_EN: 0
; COMPUTE_PGM_RSRC2:TIDIG_COMP_CNT: 0
	.section	.text._ZN9rocsparseL35bsr2csr_block_dim_equals_one_kernelILj1024EfilEEvT2_S1_21rocsparse_index_base_PKT0_PKT1_PKS1_S2_PS3_PS6_PS1_,"axG",@progbits,_ZN9rocsparseL35bsr2csr_block_dim_equals_one_kernelILj1024EfilEEvT2_S1_21rocsparse_index_base_PKT0_PKT1_PKS1_S2_PS3_PS6_PS1_,comdat
	.globl	_ZN9rocsparseL35bsr2csr_block_dim_equals_one_kernelILj1024EfilEEvT2_S1_21rocsparse_index_base_PKT0_PKT1_PKS1_S2_PS3_PS6_PS1_ ; -- Begin function _ZN9rocsparseL35bsr2csr_block_dim_equals_one_kernelILj1024EfilEEvT2_S1_21rocsparse_index_base_PKT0_PKT1_PKS1_S2_PS3_PS6_PS1_
	.p2align	8
	.type	_ZN9rocsparseL35bsr2csr_block_dim_equals_one_kernelILj1024EfilEEvT2_S1_21rocsparse_index_base_PKT0_PKT1_PKS1_S2_PS3_PS6_PS1_,@function
_ZN9rocsparseL35bsr2csr_block_dim_equals_one_kernelILj1024EfilEEvT2_S1_21rocsparse_index_base_PKT0_PKT1_PKS1_S2_PS3_PS6_PS1_: ; @_ZN9rocsparseL35bsr2csr_block_dim_equals_one_kernelILj1024EfilEEvT2_S1_21rocsparse_index_base_PKT0_PKT1_PKS1_S2_PS3_PS6_PS1_
; %bb.0:
	s_clause 0x3
	s_load_b32 s2, s[0:1], 0x10
	s_load_b64 s[16:17], s[0:1], 0x20
	s_load_b32 s4, s[0:1], 0x30
	s_load_b64 s[12:13], s[0:1], 0x0
	s_bfe_u32 s3, ttmp6, 0x4000c
	s_and_b32 s5, ttmp6, 15
	s_add_co_i32 s3, s3, 1
	s_getreg_b32 s6, hwreg(HW_REG_IB_STS2, 6, 4)
	s_mul_i32 s3, ttmp9, s3
	v_mov_b32_e32 v1, 0
	s_add_co_i32 s5, s5, s3
	s_cmp_eq_u32 s6, 0
	s_cselect_b32 s3, ttmp9, s5
	s_delay_alu instid0(SALU_CYCLE_1) | instskip(SKIP_2) | instid1(VALU_DEP_1)
	v_lshl_or_b32 v0, s3, 10, v0
	s_mov_b32 s3, exec_lo
	s_wait_kmcnt 0x0
	v_cmpx_gt_i64_e64 s[12:13], v[0:1]
	s_cbranch_execz .LBB130_6
; %bb.1:
	s_mov_b32 s5, exec_lo
                                        ; implicit-def: $sgpr8
	v_cmpx_ne_u32_e32 0, v0
	s_xor_b32 s5, exec_lo, s5
; %bb.2:
	s_sub_co_i32 s8, s4, s2
; %bb.3:
	s_or_saveexec_b32 s5, s5
	s_load_b64 s[6:7], s[0:1], 0x40
	v_mov_b32_e32 v2, s8
	s_xor_b32 exec_lo, exec_lo, s5
	s_cbranch_execz .LBB130_5
; %bb.4:
	s_load_b32 s8, s[16:17], 0x0
	s_sub_co_i32 s9, s4, s2
	s_delay_alu instid0(SALU_CYCLE_1) | instskip(SKIP_2) | instid1(SALU_CYCLE_1)
	v_mov_b32_e32 v2, s9
	s_wait_kmcnt 0x0
	s_add_co_i32 s8, s9, s8
	v_dual_mov_b32 v3, 0 :: v_dual_mov_b32 v4, s8
	global_store_b32 v3, v4, s[6:7]
.LBB130_5:
	s_wait_xcnt 0x0
	s_or_b32 exec_lo, exec_lo, s5
	v_lshlrev_b64_e32 v[4:5], 2, v[0:1]
	s_delay_alu instid0(VALU_DEP_1)
	v_add_nc_u64_e32 v[6:7], s[16:17], v[4:5]
	s_wait_kmcnt 0x0
	v_add_nc_u64_e32 v[4:5], s[6:7], v[4:5]
	global_load_b32 v3, v[6:7], off offset:4
	s_wait_loadcnt 0x0
	v_add_nc_u32_e32 v2, v2, v3
	global_store_b32 v[4:5], v2, off offset:4
.LBB130_6:
	s_wait_xcnt 0x0
	s_or_b32 exec_lo, exec_lo, s3
	s_lshl_b64 s[12:13], s[12:13], 2
	s_clause 0x3
	s_load_b64 s[6:7], s[0:1], 0x48
	s_load_b64 s[8:9], s[0:1], 0x18
	;; [unrolled: 1-line block ×4, first 2 shown]
	s_add_nc_u64 s[12:13], s[16:17], s[12:13]
	s_clause 0x1
	s_load_b32 s3, s[12:13], 0x0
	s_load_b32 s5, s[16:17], 0x0
	s_wait_kmcnt 0x0
	s_sub_co_i32 s12, s3, s5
	s_mov_b32 s3, exec_lo
	s_ashr_i32 s13, s12, 31
	s_delay_alu instid0(SALU_CYCLE_1)
	v_cmpx_gt_i64_e64 s[12:13], v[0:1]
	s_cbranch_execz .LBB130_9
; %bb.7:
	s_load_b32 s16, s[0:1], 0x50
	s_mov_b32 s3, 0
	v_lshlrev_b64_e32 v[2:3], 2, v[0:1]
	v_lshlrev_b64_e32 v[4:5], 3, v[0:1]
	s_mov_b32 s5, s3
	s_mov_b32 s18, s3
	s_wait_xcnt 0x0
	s_sub_nc_u64 s[0:1], s[4:5], s[2:3]
	s_wait_kmcnt 0x0
	s_lshl_b32 s2, s16, 10
	s_delay_alu instid0(SALU_CYCLE_1)
	s_lshl_b64 s[4:5], s[2:3], 2
	s_lshl_b64 s[16:17], s[2:3], 3
.LBB130_8:                              ; =>This Inner Loop Header: Depth=1
	v_add_nc_u64_e32 v[6:7], s[10:11], v[4:5]
	v_add_nc_u64_e32 v[8:9], s[8:9], v[2:3]
	;; [unrolled: 1-line block ×3, first 2 shown]
	global_load_b64 v[10:11], v[6:7], off
	global_load_b32 v12, v[8:9], off
	s_wait_xcnt 0x1
	v_add_nc_u64_e32 v[6:7], s[6:7], v[4:5]
	v_cmp_le_i64_e32 vcc_lo, s[12:13], v[0:1]
	s_wait_xcnt 0x0
	v_add_nc_u64_e32 v[8:9], s[14:15], v[2:3]
	v_add_nc_u64_e32 v[2:3], s[4:5], v[2:3]
	;; [unrolled: 1-line block ×3, first 2 shown]
	s_or_b32 s18, vcc_lo, s18
	s_wait_loadcnt 0x1
	v_add_nc_u64_e32 v[10:11], s[0:1], v[10:11]
	s_wait_loadcnt 0x0
	global_store_b32 v[8:9], v12, off
	global_store_b64 v[6:7], v[10:11], off
	s_wait_xcnt 0x0
	s_and_not1_b32 exec_lo, exec_lo, s18
	s_cbranch_execnz .LBB130_8
.LBB130_9:
	s_endpgm
	.section	.rodata,"a",@progbits
	.p2align	6, 0x0
	.amdhsa_kernel _ZN9rocsparseL35bsr2csr_block_dim_equals_one_kernelILj1024EfilEEvT2_S1_21rocsparse_index_base_PKT0_PKT1_PKS1_S2_PS3_PS6_PS1_
		.amdhsa_group_segment_fixed_size 0
		.amdhsa_private_segment_fixed_size 0
		.amdhsa_kernarg_size 336
		.amdhsa_user_sgpr_count 2
		.amdhsa_user_sgpr_dispatch_ptr 0
		.amdhsa_user_sgpr_queue_ptr 0
		.amdhsa_user_sgpr_kernarg_segment_ptr 1
		.amdhsa_user_sgpr_dispatch_id 0
		.amdhsa_user_sgpr_kernarg_preload_length 0
		.amdhsa_user_sgpr_kernarg_preload_offset 0
		.amdhsa_user_sgpr_private_segment_size 0
		.amdhsa_wavefront_size32 1
		.amdhsa_uses_dynamic_stack 0
		.amdhsa_enable_private_segment 0
		.amdhsa_system_sgpr_workgroup_id_x 1
		.amdhsa_system_sgpr_workgroup_id_y 0
		.amdhsa_system_sgpr_workgroup_id_z 0
		.amdhsa_system_sgpr_workgroup_info 0
		.amdhsa_system_vgpr_workitem_id 0
		.amdhsa_next_free_vgpr 13
		.amdhsa_next_free_sgpr 19
		.amdhsa_named_barrier_count 0
		.amdhsa_reserve_vcc 1
		.amdhsa_float_round_mode_32 0
		.amdhsa_float_round_mode_16_64 0
		.amdhsa_float_denorm_mode_32 3
		.amdhsa_float_denorm_mode_16_64 3
		.amdhsa_fp16_overflow 0
		.amdhsa_memory_ordered 1
		.amdhsa_forward_progress 1
		.amdhsa_inst_pref_size 5
		.amdhsa_round_robin_scheduling 0
		.amdhsa_exception_fp_ieee_invalid_op 0
		.amdhsa_exception_fp_denorm_src 0
		.amdhsa_exception_fp_ieee_div_zero 0
		.amdhsa_exception_fp_ieee_overflow 0
		.amdhsa_exception_fp_ieee_underflow 0
		.amdhsa_exception_fp_ieee_inexact 0
		.amdhsa_exception_int_div_zero 0
	.end_amdhsa_kernel
	.section	.text._ZN9rocsparseL35bsr2csr_block_dim_equals_one_kernelILj1024EfilEEvT2_S1_21rocsparse_index_base_PKT0_PKT1_PKS1_S2_PS3_PS6_PS1_,"axG",@progbits,_ZN9rocsparseL35bsr2csr_block_dim_equals_one_kernelILj1024EfilEEvT2_S1_21rocsparse_index_base_PKT0_PKT1_PKS1_S2_PS3_PS6_PS1_,comdat
.Lfunc_end130:
	.size	_ZN9rocsparseL35bsr2csr_block_dim_equals_one_kernelILj1024EfilEEvT2_S1_21rocsparse_index_base_PKT0_PKT1_PKS1_S2_PS3_PS6_PS1_, .Lfunc_end130-_ZN9rocsparseL35bsr2csr_block_dim_equals_one_kernelILj1024EfilEEvT2_S1_21rocsparse_index_base_PKT0_PKT1_PKS1_S2_PS3_PS6_PS1_
                                        ; -- End function
	.set _ZN9rocsparseL35bsr2csr_block_dim_equals_one_kernelILj1024EfilEEvT2_S1_21rocsparse_index_base_PKT0_PKT1_PKS1_S2_PS3_PS6_PS1_.num_vgpr, 13
	.set _ZN9rocsparseL35bsr2csr_block_dim_equals_one_kernelILj1024EfilEEvT2_S1_21rocsparse_index_base_PKT0_PKT1_PKS1_S2_PS3_PS6_PS1_.num_agpr, 0
	.set _ZN9rocsparseL35bsr2csr_block_dim_equals_one_kernelILj1024EfilEEvT2_S1_21rocsparse_index_base_PKT0_PKT1_PKS1_S2_PS3_PS6_PS1_.numbered_sgpr, 19
	.set _ZN9rocsparseL35bsr2csr_block_dim_equals_one_kernelILj1024EfilEEvT2_S1_21rocsparse_index_base_PKT0_PKT1_PKS1_S2_PS3_PS6_PS1_.num_named_barrier, 0
	.set _ZN9rocsparseL35bsr2csr_block_dim_equals_one_kernelILj1024EfilEEvT2_S1_21rocsparse_index_base_PKT0_PKT1_PKS1_S2_PS3_PS6_PS1_.private_seg_size, 0
	.set _ZN9rocsparseL35bsr2csr_block_dim_equals_one_kernelILj1024EfilEEvT2_S1_21rocsparse_index_base_PKT0_PKT1_PKS1_S2_PS3_PS6_PS1_.uses_vcc, 1
	.set _ZN9rocsparseL35bsr2csr_block_dim_equals_one_kernelILj1024EfilEEvT2_S1_21rocsparse_index_base_PKT0_PKT1_PKS1_S2_PS3_PS6_PS1_.uses_flat_scratch, 0
	.set _ZN9rocsparseL35bsr2csr_block_dim_equals_one_kernelILj1024EfilEEvT2_S1_21rocsparse_index_base_PKT0_PKT1_PKS1_S2_PS3_PS6_PS1_.has_dyn_sized_stack, 0
	.set _ZN9rocsparseL35bsr2csr_block_dim_equals_one_kernelILj1024EfilEEvT2_S1_21rocsparse_index_base_PKT0_PKT1_PKS1_S2_PS3_PS6_PS1_.has_recursion, 0
	.set _ZN9rocsparseL35bsr2csr_block_dim_equals_one_kernelILj1024EfilEEvT2_S1_21rocsparse_index_base_PKT0_PKT1_PKS1_S2_PS3_PS6_PS1_.has_indirect_call, 0
	.section	.AMDGPU.csdata,"",@progbits
; Kernel info:
; codeLenInByte = 536
; TotalNumSgprs: 21
; NumVgprs: 13
; ScratchSize: 0
; MemoryBound: 0
; FloatMode: 240
; IeeeMode: 1
; LDSByteSize: 0 bytes/workgroup (compile time only)
; SGPRBlocks: 0
; VGPRBlocks: 0
; NumSGPRsForWavesPerEU: 21
; NumVGPRsForWavesPerEU: 13
; NamedBarCnt: 0
; Occupancy: 16
; WaveLimiterHint : 0
; COMPUTE_PGM_RSRC2:SCRATCH_EN: 0
; COMPUTE_PGM_RSRC2:USER_SGPR: 2
; COMPUTE_PGM_RSRC2:TRAP_HANDLER: 0
; COMPUTE_PGM_RSRC2:TGID_X_EN: 1
; COMPUTE_PGM_RSRC2:TGID_Y_EN: 0
; COMPUTE_PGM_RSRC2:TGID_Z_EN: 0
; COMPUTE_PGM_RSRC2:TIDIG_COMP_CNT: 0
	.section	.text._ZN9rocsparseL32bsr2csr_block_per_row_2_7_kernelILj256ELj2EfilEEv20rocsparse_direction_T3_S2_21rocsparse_index_base_PKT1_PKT2_PKS2_S2_S3_PS4_PS7_PS2_,"axG",@progbits,_ZN9rocsparseL32bsr2csr_block_per_row_2_7_kernelILj256ELj2EfilEEv20rocsparse_direction_T3_S2_21rocsparse_index_base_PKT1_PKT2_PKS2_S2_S3_PS4_PS7_PS2_,comdat
	.globl	_ZN9rocsparseL32bsr2csr_block_per_row_2_7_kernelILj256ELj2EfilEEv20rocsparse_direction_T3_S2_21rocsparse_index_base_PKT1_PKT2_PKS2_S2_S3_PS4_PS7_PS2_ ; -- Begin function _ZN9rocsparseL32bsr2csr_block_per_row_2_7_kernelILj256ELj2EfilEEv20rocsparse_direction_T3_S2_21rocsparse_index_base_PKT1_PKT2_PKS2_S2_S3_PS4_PS7_PS2_
	.p2align	8
	.type	_ZN9rocsparseL32bsr2csr_block_per_row_2_7_kernelILj256ELj2EfilEEv20rocsparse_direction_T3_S2_21rocsparse_index_base_PKT1_PKT2_PKS2_S2_S3_PS4_PS7_PS2_,@function
_ZN9rocsparseL32bsr2csr_block_per_row_2_7_kernelILj256ELj2EfilEEv20rocsparse_direction_T3_S2_21rocsparse_index_base_PKT1_PKT2_PKS2_S2_S3_PS4_PS7_PS2_: ; @_ZN9rocsparseL32bsr2csr_block_per_row_2_7_kernelILj256ELj2EfilEEv20rocsparse_direction_T3_S2_21rocsparse_index_base_PKT1_PKT2_PKS2_S2_S3_PS4_PS7_PS2_
; %bb.0:
	s_load_b64 s[4:5], s[0:1], 0x28
	s_bfe_u32 s2, ttmp6, 0x4000c
	s_and_b32 s3, ttmp6, 15
	s_add_co_i32 s2, s2, 1
	s_getreg_b32 s6, hwreg(HW_REG_IB_STS2, 6, 4)
	s_mul_i32 s2, ttmp9, s2
	s_mov_b32 s7, 0
	s_add_co_i32 s3, s3, s2
	s_cmp_eq_u32 s6, 0
	s_clause 0x1
	s_load_b32 s2, s[0:1], 0x40
	s_load_b64 s[8:9], s[0:1], 0x50
	s_cselect_b32 s6, ttmp9, s3
	s_mov_b32 s3, exec_lo
	s_lshl_b64 s[10:11], s[6:7], 2
	v_or_b32_e32 v1, s6, v0
	s_wait_kmcnt 0x0
	s_add_nc_u64 s[4:5], s[4:5], s[10:11]
	s_load_b64 s[14:15], s[4:5], 0x0
	s_delay_alu instid0(VALU_DEP_1)
	v_cmpx_eq_u32_e32 0, v1
	s_cbranch_execz .LBB131_2
; %bb.1:
	v_dual_mov_b32 v1, 0 :: v_dual_mov_b32 v2, s2
	global_store_b32 v1, v2, s[8:9]
.LBB131_2:
	s_wait_xcnt 0x0
	s_or_b32 exec_lo, exec_lo, s3
	s_load_b32 s4, s[0:1], 0x18
	v_dual_lshrrev_b32 v0, 1, v0 :: v_dual_bitop2_b32 v8, 1, v0 bitop3:0x40
	s_lshl_b64 s[6:7], s[6:7], 3
	s_delay_alu instid0(SALU_CYCLE_1)
	s_add_nc_u64 s[6:7], s[8:9], s[6:7]
	s_wait_kmcnt 0x0
	s_sub_co_i32 s3, s14, s4
	s_sub_co_i32 s15, s15, s4
	s_lshl_b32 s10, s3, 2
	s_sub_co_i32 s5, s15, s3
	v_add_nc_u32_e32 v9, s3, v0
	s_lshl_b32 s5, s5, 1
	s_mov_b32 s3, exec_lo
	v_mul_lo_u32 v2, s5, v8
	s_add_co_i32 s5, s5, s2
	s_delay_alu instid0(VALU_DEP_1) | instid1(SALU_CYCLE_1)
	v_add3_u32 v1, s5, s10, v2
	global_store_b32 v8, v1, s[6:7] offset:4 scale_offset
	s_wait_xcnt 0x0
	v_cmpx_gt_i32_e64 s15, v9
	s_cbranch_execz .LBB131_5
; %bb.3:
	s_clause 0x4
	s_load_b64 s[6:7], s[0:1], 0x30
	s_load_b64 s[8:9], s[0:1], 0x48
	s_load_b32 s3, s[0:1], 0x0
	s_load_b64 s[10:11], s[0:1], 0x20
	s_load_b64 s[12:13], s[0:1], 0x58
	v_dual_lshlrev_b32 v3, 1, v0 :: v_dual_mov_b32 v1, 0
	v_dual_lshlrev_b32 v0, 3, v8 :: v_dual_lshlrev_b32 v6, 2, v9
	s_mov_b32 s5, 0
	s_wait_xcnt 0x0
	s_mov_b32 s1, s5
	s_wait_kmcnt 0x0
	s_cmp_eq_u32 s3, 0
	s_mov_b32 s3, s5
	s_cselect_b32 vcc_lo, -1, 0
	s_lshl_b32 s0, s14, 2
	s_delay_alu instid0(SALU_CYCLE_1) | instskip(SKIP_2) | instid1(VALU_DEP_2)
	v_add3_u32 v4, v2, s0, v3
	s_lshl_b32 s0, s4, 2
	v_add_nc_u64_e32 v[2:3], s[10:11], v[0:1]
	v_subrev_nc_u32_e32 v4, s0, v4
.LBB131_4:                              ; =>This Inner Loop Header: Depth=1
	v_dual_mov_b32 v7, v1 :: v_dual_add_nc_u32 v0, v8, v6
	global_load_b64 v[10:11], v9, s[6:7] scale_offset
	s_wait_xcnt 0x0
	v_add_nc_u32_e32 v9, 0x80, v9
	v_ashrrev_i32_e32 v5, 31, v4
	v_lshl_add_u64 v[14:15], v[0:1], 2, s[10:11]
	v_lshl_add_u64 v[12:13], v[6:7], 2, v[2:3]
	v_add_nc_u32_e32 v6, 0x200, v6
	v_cmp_le_i32_e64 s0, s15, v9
	s_delay_alu instid0(VALU_DEP_4) | instskip(NEXT) | instid1(VALU_DEP_4)
	v_add_nc_u64_e32 v[18:19], 8, v[14:15]
	v_add_nc_u64_e32 v[16:17], 4, v[12:13]
	v_dual_cndmask_b32 v13, v15, v13 :: v_dual_cndmask_b32 v12, v14, v12
	s_or_b32 s1, s0, s1
	s_delay_alu instid0(VALU_DEP_2)
	v_dual_cndmask_b32 v15, v19, v17 :: v_dual_cndmask_b32 v14, v18, v16
	v_lshl_add_u64 v[18:19], v[4:5], 2, s[8:9]
	global_load_b32 v16, v[12:13], off
	global_load_b32 v17, v[14:15], off
	s_wait_xcnt 0x0
	v_lshl_add_u64 v[14:15], v[4:5], 3, s[12:13]
	v_add_nc_u32_e32 v4, 0x100, v4
	s_wait_loadcnt 0x2
	v_sub_nc_u64_e64 v[10:11], v[10:11], s[4:5]
	s_delay_alu instid0(VALU_DEP_1) | instskip(NEXT) | instid1(VALU_DEP_1)
	v_lshl_add_u64 v[10:11], v[10:11], 1, s[2:3]
	v_add_nc_u64_e32 v[12:13], 1, v[10:11]
	global_store_b128 v[14:15], v[10:13], off
	s_wait_loadcnt 0x0
	global_store_b64 v[18:19], v[16:17], off
	s_wait_xcnt 0x0
	s_and_not1_b32 exec_lo, exec_lo, s1
	s_cbranch_execnz .LBB131_4
.LBB131_5:
	s_endpgm
	.section	.rodata,"a",@progbits
	.p2align	6, 0x0
	.amdhsa_kernel _ZN9rocsparseL32bsr2csr_block_per_row_2_7_kernelILj256ELj2EfilEEv20rocsparse_direction_T3_S2_21rocsparse_index_base_PKT1_PKT2_PKS2_S2_S3_PS4_PS7_PS2_
		.amdhsa_group_segment_fixed_size 0
		.amdhsa_private_segment_fixed_size 0
		.amdhsa_kernarg_size 96
		.amdhsa_user_sgpr_count 2
		.amdhsa_user_sgpr_dispatch_ptr 0
		.amdhsa_user_sgpr_queue_ptr 0
		.amdhsa_user_sgpr_kernarg_segment_ptr 1
		.amdhsa_user_sgpr_dispatch_id 0
		.amdhsa_user_sgpr_kernarg_preload_length 0
		.amdhsa_user_sgpr_kernarg_preload_offset 0
		.amdhsa_user_sgpr_private_segment_size 0
		.amdhsa_wavefront_size32 1
		.amdhsa_uses_dynamic_stack 0
		.amdhsa_enable_private_segment 0
		.amdhsa_system_sgpr_workgroup_id_x 1
		.amdhsa_system_sgpr_workgroup_id_y 0
		.amdhsa_system_sgpr_workgroup_id_z 0
		.amdhsa_system_sgpr_workgroup_info 0
		.amdhsa_system_vgpr_workitem_id 0
		.amdhsa_next_free_vgpr 20
		.amdhsa_next_free_sgpr 16
		.amdhsa_named_barrier_count 0
		.amdhsa_reserve_vcc 1
		.amdhsa_float_round_mode_32 0
		.amdhsa_float_round_mode_16_64 0
		.amdhsa_float_denorm_mode_32 3
		.amdhsa_float_denorm_mode_16_64 3
		.amdhsa_fp16_overflow 0
		.amdhsa_memory_ordered 1
		.amdhsa_forward_progress 1
		.amdhsa_inst_pref_size 5
		.amdhsa_round_robin_scheduling 0
		.amdhsa_exception_fp_ieee_invalid_op 0
		.amdhsa_exception_fp_denorm_src 0
		.amdhsa_exception_fp_ieee_div_zero 0
		.amdhsa_exception_fp_ieee_overflow 0
		.amdhsa_exception_fp_ieee_underflow 0
		.amdhsa_exception_fp_ieee_inexact 0
		.amdhsa_exception_int_div_zero 0
	.end_amdhsa_kernel
	.section	.text._ZN9rocsparseL32bsr2csr_block_per_row_2_7_kernelILj256ELj2EfilEEv20rocsparse_direction_T3_S2_21rocsparse_index_base_PKT1_PKT2_PKS2_S2_S3_PS4_PS7_PS2_,"axG",@progbits,_ZN9rocsparseL32bsr2csr_block_per_row_2_7_kernelILj256ELj2EfilEEv20rocsparse_direction_T3_S2_21rocsparse_index_base_PKT1_PKT2_PKS2_S2_S3_PS4_PS7_PS2_,comdat
.Lfunc_end131:
	.size	_ZN9rocsparseL32bsr2csr_block_per_row_2_7_kernelILj256ELj2EfilEEv20rocsparse_direction_T3_S2_21rocsparse_index_base_PKT1_PKT2_PKS2_S2_S3_PS4_PS7_PS2_, .Lfunc_end131-_ZN9rocsparseL32bsr2csr_block_per_row_2_7_kernelILj256ELj2EfilEEv20rocsparse_direction_T3_S2_21rocsparse_index_base_PKT1_PKT2_PKS2_S2_S3_PS4_PS7_PS2_
                                        ; -- End function
	.set _ZN9rocsparseL32bsr2csr_block_per_row_2_7_kernelILj256ELj2EfilEEv20rocsparse_direction_T3_S2_21rocsparse_index_base_PKT1_PKT2_PKS2_S2_S3_PS4_PS7_PS2_.num_vgpr, 20
	.set _ZN9rocsparseL32bsr2csr_block_per_row_2_7_kernelILj256ELj2EfilEEv20rocsparse_direction_T3_S2_21rocsparse_index_base_PKT1_PKT2_PKS2_S2_S3_PS4_PS7_PS2_.num_agpr, 0
	.set _ZN9rocsparseL32bsr2csr_block_per_row_2_7_kernelILj256ELj2EfilEEv20rocsparse_direction_T3_S2_21rocsparse_index_base_PKT1_PKT2_PKS2_S2_S3_PS4_PS7_PS2_.numbered_sgpr, 16
	.set _ZN9rocsparseL32bsr2csr_block_per_row_2_7_kernelILj256ELj2EfilEEv20rocsparse_direction_T3_S2_21rocsparse_index_base_PKT1_PKT2_PKS2_S2_S3_PS4_PS7_PS2_.num_named_barrier, 0
	.set _ZN9rocsparseL32bsr2csr_block_per_row_2_7_kernelILj256ELj2EfilEEv20rocsparse_direction_T3_S2_21rocsparse_index_base_PKT1_PKT2_PKS2_S2_S3_PS4_PS7_PS2_.private_seg_size, 0
	.set _ZN9rocsparseL32bsr2csr_block_per_row_2_7_kernelILj256ELj2EfilEEv20rocsparse_direction_T3_S2_21rocsparse_index_base_PKT1_PKT2_PKS2_S2_S3_PS4_PS7_PS2_.uses_vcc, 1
	.set _ZN9rocsparseL32bsr2csr_block_per_row_2_7_kernelILj256ELj2EfilEEv20rocsparse_direction_T3_S2_21rocsparse_index_base_PKT1_PKT2_PKS2_S2_S3_PS4_PS7_PS2_.uses_flat_scratch, 0
	.set _ZN9rocsparseL32bsr2csr_block_per_row_2_7_kernelILj256ELj2EfilEEv20rocsparse_direction_T3_S2_21rocsparse_index_base_PKT1_PKT2_PKS2_S2_S3_PS4_PS7_PS2_.has_dyn_sized_stack, 0
	.set _ZN9rocsparseL32bsr2csr_block_per_row_2_7_kernelILj256ELj2EfilEEv20rocsparse_direction_T3_S2_21rocsparse_index_base_PKT1_PKT2_PKS2_S2_S3_PS4_PS7_PS2_.has_recursion, 0
	.set _ZN9rocsparseL32bsr2csr_block_per_row_2_7_kernelILj256ELj2EfilEEv20rocsparse_direction_T3_S2_21rocsparse_index_base_PKT1_PKT2_PKS2_S2_S3_PS4_PS7_PS2_.has_indirect_call, 0
	.section	.AMDGPU.csdata,"",@progbits
; Kernel info:
; codeLenInByte = 604
; TotalNumSgprs: 18
; NumVgprs: 20
; ScratchSize: 0
; MemoryBound: 0
; FloatMode: 240
; IeeeMode: 1
; LDSByteSize: 0 bytes/workgroup (compile time only)
; SGPRBlocks: 0
; VGPRBlocks: 1
; NumSGPRsForWavesPerEU: 18
; NumVGPRsForWavesPerEU: 20
; NamedBarCnt: 0
; Occupancy: 16
; WaveLimiterHint : 0
; COMPUTE_PGM_RSRC2:SCRATCH_EN: 0
; COMPUTE_PGM_RSRC2:USER_SGPR: 2
; COMPUTE_PGM_RSRC2:TRAP_HANDLER: 0
; COMPUTE_PGM_RSRC2:TGID_X_EN: 1
; COMPUTE_PGM_RSRC2:TGID_Y_EN: 0
; COMPUTE_PGM_RSRC2:TGID_Z_EN: 0
; COMPUTE_PGM_RSRC2:TIDIG_COMP_CNT: 0
	.section	.text._ZN9rocsparseL32bsr2csr_block_per_row_2_7_kernelILj256ELj3EfilEEv20rocsparse_direction_T3_S2_21rocsparse_index_base_PKT1_PKT2_PKS2_S2_S3_PS4_PS7_PS2_,"axG",@progbits,_ZN9rocsparseL32bsr2csr_block_per_row_2_7_kernelILj256ELj3EfilEEv20rocsparse_direction_T3_S2_21rocsparse_index_base_PKT1_PKT2_PKS2_S2_S3_PS4_PS7_PS2_,comdat
	.globl	_ZN9rocsparseL32bsr2csr_block_per_row_2_7_kernelILj256ELj3EfilEEv20rocsparse_direction_T3_S2_21rocsparse_index_base_PKT1_PKT2_PKS2_S2_S3_PS4_PS7_PS2_ ; -- Begin function _ZN9rocsparseL32bsr2csr_block_per_row_2_7_kernelILj256ELj3EfilEEv20rocsparse_direction_T3_S2_21rocsparse_index_base_PKT1_PKT2_PKS2_S2_S3_PS4_PS7_PS2_
	.p2align	8
	.type	_ZN9rocsparseL32bsr2csr_block_per_row_2_7_kernelILj256ELj3EfilEEv20rocsparse_direction_T3_S2_21rocsparse_index_base_PKT1_PKT2_PKS2_S2_S3_PS4_PS7_PS2_,@function
_ZN9rocsparseL32bsr2csr_block_per_row_2_7_kernelILj256ELj3EfilEEv20rocsparse_direction_T3_S2_21rocsparse_index_base_PKT1_PKT2_PKS2_S2_S3_PS4_PS7_PS2_: ; @_ZN9rocsparseL32bsr2csr_block_per_row_2_7_kernelILj256ELj3EfilEEv20rocsparse_direction_T3_S2_21rocsparse_index_base_PKT1_PKT2_PKS2_S2_S3_PS4_PS7_PS2_
; %bb.0:
	s_clause 0x1
	s_load_b32 s2, s[0:1], 0x40
	s_load_b64 s[6:7], s[0:1], 0x50
	s_bfe_u32 s3, ttmp6, 0x4000c
	s_and_b32 s4, ttmp6, 15
	s_add_co_i32 s3, s3, 1
	s_getreg_b32 s5, hwreg(HW_REG_IB_STS2, 6, 4)
	s_mul_i32 s3, ttmp9, s3
	s_mov_b32 s9, 0
	s_add_co_i32 s4, s4, s3
	s_cmp_eq_u32 s5, 0
	s_mov_b32 s3, exec_lo
	s_cselect_b32 s8, ttmp9, s4
	s_delay_alu instid0(SALU_CYCLE_1) | instskip(NEXT) | instid1(VALU_DEP_1)
	v_or_b32_e32 v1, s8, v0
	v_cmpx_eq_u32_e32 0, v1
	s_cbranch_execz .LBB132_2
; %bb.1:
	s_wait_kmcnt 0x0
	v_dual_mov_b32 v1, 0 :: v_dual_mov_b32 v2, s2
	global_store_b32 v1, v2, s[6:7]
.LBB132_2:
	s_wait_xcnt 0x0
	s_or_b32 exec_lo, exec_lo, s3
	v_and_b32_e32 v4, 3, v0
	s_mov_b32 s3, exec_lo
	s_delay_alu instid0(VALU_DEP_1)
	v_cmpx_ne_u32_e32 3, v4
	s_cbranch_execz .LBB132_6
; %bb.3:
	s_clause 0x1
	s_load_b64 s[10:11], s[0:1], 0x28
	s_load_b32 s4, s[0:1], 0x18
	s_lshl_b64 s[12:13], s[8:9], 2
	v_lshrrev_b32_e32 v2, 2, v0
	s_mul_u64 s[8:9], s[8:9], 12
	s_wait_kmcnt 0x0
	s_add_nc_u64 s[6:7], s[6:7], s[8:9]
	s_add_nc_u64 s[10:11], s[10:11], s[12:13]
	s_load_b64 s[12:13], s[10:11], 0x0
	s_wait_kmcnt 0x0
	s_sub_co_i32 s3, s12, s4
	s_sub_co_i32 s13, s13, s4
	v_add_nc_u32_e32 v8, s3, v2
	s_sub_co_i32 s5, s13, s3
	s_mul_i32 s10, s3, 9
	s_mul_i32 s5, s5, 3
	s_delay_alu instid0(SALU_CYCLE_1) | instskip(SKIP_2) | instid1(VALU_DEP_2)
	v_mul_lo_u32 v5, s5, v4
	s_add_co_i32 s5, s5, s2
	v_cmp_gt_i32_e32 vcc_lo, s13, v8
	v_add3_u32 v0, s5, s10, v5
	global_store_b32 v4, v0, s[6:7] offset:4 scale_offset
	s_wait_xcnt 0x0
	s_and_b32 exec_lo, exec_lo, vcc_lo
	s_cbranch_execz .LBB132_6
; %bb.4:
	s_clause 0x4
	s_load_b64 s[6:7], s[0:1], 0x48
	s_load_b64 s[14:15], s[0:1], 0x20
	s_load_b32 s3, s[0:1], 0x0
	s_load_b64 s[8:9], s[0:1], 0x30
	s_load_b64 s[10:11], s[0:1], 0x58
	v_dual_mov_b32 v1, 0 :: v_dual_lshlrev_b32 v0, 2, v4
	v_mul_u32_u24_e32 v6, 3, v2
	s_wait_xcnt 0x0
	s_mul_i32 s0, s12, 9
	s_mov_b32 s5, 0
	s_delay_alu instid0(SALU_CYCLE_1)
	s_mov_b32 s1, s5
	v_add3_u32 v6, v5, s0, v6
	s_mul_i32 s0, s4, 9
	s_delay_alu instid0(VALU_DEP_1) | instid1(SALU_CYCLE_1)
	v_subrev_nc_u32_e32 v6, s0, v6
	s_wait_kmcnt 0x0
	v_add_nc_u64_e32 v[2:3], s[14:15], v[0:1]
	v_lshlrev_b32_e32 v0, 3, v4
	s_cmp_eq_u32 s3, 0
	s_mov_b32 s3, s5
	s_cselect_b32 vcc_lo, -1, 0
	s_delay_alu instid0(VALU_DEP_1)
	v_add_nc_u64_e32 v[4:5], v[2:3], v[0:1]
	v_lshl_add_u32 v0, v8, 3, v8
.LBB132_5:                              ; =>This Inner Loop Header: Depth=1
	global_load_b64 v[10:11], v8, s[8:9] scale_offset
	v_lshlrev_b64_e32 v[12:13], 2, v[0:1]
	s_wait_xcnt 0x0
	v_dual_ashrrev_i32 v7, 31, v6 :: v_dual_add_nc_u32 v8, 64, v8
	v_add_nc_u32_e32 v0, 0x240, v0
	s_delay_alu instid0(VALU_DEP_2) | instskip(NEXT) | instid1(VALU_DEP_4)
	v_cmp_le_i32_e64 s0, s13, v8
	v_add_nc_u64_e32 v[14:15], v[4:5], v[12:13]
	v_add_nc_u64_e32 v[12:13], v[2:3], v[12:13]
	s_or_b32 s1, s0, s1
	s_delay_alu instid0(VALU_DEP_2) | instskip(NEXT) | instid1(VALU_DEP_2)
	v_add_nc_u64_e32 v[16:17], 4, v[14:15]
	v_add_nc_u64_e32 v[18:19], 12, v[12:13]
	;; [unrolled: 1-line block ×4, first 2 shown]
	v_dual_cndmask_b32 v13, v13, v15 :: v_dual_cndmask_b32 v12, v12, v14
	s_delay_alu instid0(VALU_DEP_4) | instskip(NEXT) | instid1(VALU_DEP_3)
	v_dual_cndmask_b32 v19, v19, v17 :: v_dual_cndmask_b32 v18, v18, v16
	v_dual_cndmask_b32 v21, v23, v21 :: v_dual_cndmask_b32 v20, v22, v20
	global_load_b32 v14, v[12:13], off
	global_load_b32 v15, v[18:19], off
	;; [unrolled: 1-line block ×3, first 2 shown]
	s_wait_xcnt 0x0
	v_lshl_add_u64 v[20:21], v[6:7], 3, s[10:11]
	v_lshl_add_u64 v[22:23], v[6:7], 2, s[6:7]
	s_wait_loadcnt 0x3
	v_sub_nc_u64_e64 v[12:13], v[10:11], s[4:5]
	s_delay_alu instid0(VALU_DEP_1) | instskip(NEXT) | instid1(VALU_DEP_1)
	v_mad_nc_u64_u32 v[10:11], v12, 3, s[2:3]
	v_mad_u32 v11, v13, 3, v11
	s_delay_alu instid0(VALU_DEP_1)
	v_add_nc_u64_e32 v[18:19], 2, v[10:11]
	v_add_nc_u64_e32 v[12:13], 1, v[10:11]
	s_wait_loadcnt 0x0
	global_store_b96 v[22:23], v[14:16], off
	s_clause 0x1
	global_store_b64 v6, v[18:19], s[10:11] offset:16 scale_offset
	global_store_b128 v[20:21], v[10:13], off
	s_wait_xcnt 0x1
	v_add_nc_u32_e32 v6, 0xc0, v6
	s_wait_xcnt 0x0
	s_and_not1_b32 exec_lo, exec_lo, s1
	s_cbranch_execnz .LBB132_5
.LBB132_6:
	s_endpgm
	.section	.rodata,"a",@progbits
	.p2align	6, 0x0
	.amdhsa_kernel _ZN9rocsparseL32bsr2csr_block_per_row_2_7_kernelILj256ELj3EfilEEv20rocsparse_direction_T3_S2_21rocsparse_index_base_PKT1_PKT2_PKS2_S2_S3_PS4_PS7_PS2_
		.amdhsa_group_segment_fixed_size 0
		.amdhsa_private_segment_fixed_size 0
		.amdhsa_kernarg_size 96
		.amdhsa_user_sgpr_count 2
		.amdhsa_user_sgpr_dispatch_ptr 0
		.amdhsa_user_sgpr_queue_ptr 0
		.amdhsa_user_sgpr_kernarg_segment_ptr 1
		.amdhsa_user_sgpr_dispatch_id 0
		.amdhsa_user_sgpr_kernarg_preload_length 0
		.amdhsa_user_sgpr_kernarg_preload_offset 0
		.amdhsa_user_sgpr_private_segment_size 0
		.amdhsa_wavefront_size32 1
		.amdhsa_uses_dynamic_stack 0
		.amdhsa_enable_private_segment 0
		.amdhsa_system_sgpr_workgroup_id_x 1
		.amdhsa_system_sgpr_workgroup_id_y 0
		.amdhsa_system_sgpr_workgroup_id_z 0
		.amdhsa_system_sgpr_workgroup_info 0
		.amdhsa_system_vgpr_workitem_id 0
		.amdhsa_next_free_vgpr 24
		.amdhsa_next_free_sgpr 16
		.amdhsa_named_barrier_count 0
		.amdhsa_reserve_vcc 1
		.amdhsa_float_round_mode_32 0
		.amdhsa_float_round_mode_16_64 0
		.amdhsa_float_denorm_mode_32 3
		.amdhsa_float_denorm_mode_16_64 3
		.amdhsa_fp16_overflow 0
		.amdhsa_memory_ordered 1
		.amdhsa_forward_progress 1
		.amdhsa_inst_pref_size 6
		.amdhsa_round_robin_scheduling 0
		.amdhsa_exception_fp_ieee_invalid_op 0
		.amdhsa_exception_fp_denorm_src 0
		.amdhsa_exception_fp_ieee_div_zero 0
		.amdhsa_exception_fp_ieee_overflow 0
		.amdhsa_exception_fp_ieee_underflow 0
		.amdhsa_exception_fp_ieee_inexact 0
		.amdhsa_exception_int_div_zero 0
	.end_amdhsa_kernel
	.section	.text._ZN9rocsparseL32bsr2csr_block_per_row_2_7_kernelILj256ELj3EfilEEv20rocsparse_direction_T3_S2_21rocsparse_index_base_PKT1_PKT2_PKS2_S2_S3_PS4_PS7_PS2_,"axG",@progbits,_ZN9rocsparseL32bsr2csr_block_per_row_2_7_kernelILj256ELj3EfilEEv20rocsparse_direction_T3_S2_21rocsparse_index_base_PKT1_PKT2_PKS2_S2_S3_PS4_PS7_PS2_,comdat
.Lfunc_end132:
	.size	_ZN9rocsparseL32bsr2csr_block_per_row_2_7_kernelILj256ELj3EfilEEv20rocsparse_direction_T3_S2_21rocsparse_index_base_PKT1_PKT2_PKS2_S2_S3_PS4_PS7_PS2_, .Lfunc_end132-_ZN9rocsparseL32bsr2csr_block_per_row_2_7_kernelILj256ELj3EfilEEv20rocsparse_direction_T3_S2_21rocsparse_index_base_PKT1_PKT2_PKS2_S2_S3_PS4_PS7_PS2_
                                        ; -- End function
	.set _ZN9rocsparseL32bsr2csr_block_per_row_2_7_kernelILj256ELj3EfilEEv20rocsparse_direction_T3_S2_21rocsparse_index_base_PKT1_PKT2_PKS2_S2_S3_PS4_PS7_PS2_.num_vgpr, 24
	.set _ZN9rocsparseL32bsr2csr_block_per_row_2_7_kernelILj256ELj3EfilEEv20rocsparse_direction_T3_S2_21rocsparse_index_base_PKT1_PKT2_PKS2_S2_S3_PS4_PS7_PS2_.num_agpr, 0
	.set _ZN9rocsparseL32bsr2csr_block_per_row_2_7_kernelILj256ELj3EfilEEv20rocsparse_direction_T3_S2_21rocsparse_index_base_PKT1_PKT2_PKS2_S2_S3_PS4_PS7_PS2_.numbered_sgpr, 16
	.set _ZN9rocsparseL32bsr2csr_block_per_row_2_7_kernelILj256ELj3EfilEEv20rocsparse_direction_T3_S2_21rocsparse_index_base_PKT1_PKT2_PKS2_S2_S3_PS4_PS7_PS2_.num_named_barrier, 0
	.set _ZN9rocsparseL32bsr2csr_block_per_row_2_7_kernelILj256ELj3EfilEEv20rocsparse_direction_T3_S2_21rocsparse_index_base_PKT1_PKT2_PKS2_S2_S3_PS4_PS7_PS2_.private_seg_size, 0
	.set _ZN9rocsparseL32bsr2csr_block_per_row_2_7_kernelILj256ELj3EfilEEv20rocsparse_direction_T3_S2_21rocsparse_index_base_PKT1_PKT2_PKS2_S2_S3_PS4_PS7_PS2_.uses_vcc, 1
	.set _ZN9rocsparseL32bsr2csr_block_per_row_2_7_kernelILj256ELj3EfilEEv20rocsparse_direction_T3_S2_21rocsparse_index_base_PKT1_PKT2_PKS2_S2_S3_PS4_PS7_PS2_.uses_flat_scratch, 0
	.set _ZN9rocsparseL32bsr2csr_block_per_row_2_7_kernelILj256ELj3EfilEEv20rocsparse_direction_T3_S2_21rocsparse_index_base_PKT1_PKT2_PKS2_S2_S3_PS4_PS7_PS2_.has_dyn_sized_stack, 0
	.set _ZN9rocsparseL32bsr2csr_block_per_row_2_7_kernelILj256ELj3EfilEEv20rocsparse_direction_T3_S2_21rocsparse_index_base_PKT1_PKT2_PKS2_S2_S3_PS4_PS7_PS2_.has_recursion, 0
	.set _ZN9rocsparseL32bsr2csr_block_per_row_2_7_kernelILj256ELj3EfilEEv20rocsparse_direction_T3_S2_21rocsparse_index_base_PKT1_PKT2_PKS2_S2_S3_PS4_PS7_PS2_.has_indirect_call, 0
	.section	.AMDGPU.csdata,"",@progbits
; Kernel info:
; codeLenInByte = 684
; TotalNumSgprs: 18
; NumVgprs: 24
; ScratchSize: 0
; MemoryBound: 0
; FloatMode: 240
; IeeeMode: 1
; LDSByteSize: 0 bytes/workgroup (compile time only)
; SGPRBlocks: 0
; VGPRBlocks: 1
; NumSGPRsForWavesPerEU: 18
; NumVGPRsForWavesPerEU: 24
; NamedBarCnt: 0
; Occupancy: 16
; WaveLimiterHint : 0
; COMPUTE_PGM_RSRC2:SCRATCH_EN: 0
; COMPUTE_PGM_RSRC2:USER_SGPR: 2
; COMPUTE_PGM_RSRC2:TRAP_HANDLER: 0
; COMPUTE_PGM_RSRC2:TGID_X_EN: 1
; COMPUTE_PGM_RSRC2:TGID_Y_EN: 0
; COMPUTE_PGM_RSRC2:TGID_Z_EN: 0
; COMPUTE_PGM_RSRC2:TIDIG_COMP_CNT: 0
	.section	.text._ZN9rocsparseL32bsr2csr_block_per_row_2_7_kernelILj256ELj4EfilEEv20rocsparse_direction_T3_S2_21rocsparse_index_base_PKT1_PKT2_PKS2_S2_S3_PS4_PS7_PS2_,"axG",@progbits,_ZN9rocsparseL32bsr2csr_block_per_row_2_7_kernelILj256ELj4EfilEEv20rocsparse_direction_T3_S2_21rocsparse_index_base_PKT1_PKT2_PKS2_S2_S3_PS4_PS7_PS2_,comdat
	.globl	_ZN9rocsparseL32bsr2csr_block_per_row_2_7_kernelILj256ELj4EfilEEv20rocsparse_direction_T3_S2_21rocsparse_index_base_PKT1_PKT2_PKS2_S2_S3_PS4_PS7_PS2_ ; -- Begin function _ZN9rocsparseL32bsr2csr_block_per_row_2_7_kernelILj256ELj4EfilEEv20rocsparse_direction_T3_S2_21rocsparse_index_base_PKT1_PKT2_PKS2_S2_S3_PS4_PS7_PS2_
	.p2align	8
	.type	_ZN9rocsparseL32bsr2csr_block_per_row_2_7_kernelILj256ELj4EfilEEv20rocsparse_direction_T3_S2_21rocsparse_index_base_PKT1_PKT2_PKS2_S2_S3_PS4_PS7_PS2_,@function
_ZN9rocsparseL32bsr2csr_block_per_row_2_7_kernelILj256ELj4EfilEEv20rocsparse_direction_T3_S2_21rocsparse_index_base_PKT1_PKT2_PKS2_S2_S3_PS4_PS7_PS2_: ; @_ZN9rocsparseL32bsr2csr_block_per_row_2_7_kernelILj256ELj4EfilEEv20rocsparse_direction_T3_S2_21rocsparse_index_base_PKT1_PKT2_PKS2_S2_S3_PS4_PS7_PS2_
; %bb.0:
	s_load_b64 s[4:5], s[0:1], 0x28
	s_bfe_u32 s2, ttmp6, 0x4000c
	s_and_b32 s3, ttmp6, 15
	s_add_co_i32 s2, s2, 1
	s_getreg_b32 s6, hwreg(HW_REG_IB_STS2, 6, 4)
	s_mul_i32 s2, ttmp9, s2
	s_mov_b32 s7, 0
	s_add_co_i32 s3, s3, s2
	s_cmp_eq_u32 s6, 0
	s_clause 0x1
	s_load_b32 s2, s[0:1], 0x40
	s_load_b64 s[8:9], s[0:1], 0x50
	s_cselect_b32 s6, ttmp9, s3
	s_mov_b32 s3, exec_lo
	s_lshl_b64 s[10:11], s[6:7], 2
	v_or_b32_e32 v1, s6, v0
	s_wait_kmcnt 0x0
	s_add_nc_u64 s[4:5], s[4:5], s[10:11]
	s_load_b64 s[14:15], s[4:5], 0x0
	s_delay_alu instid0(VALU_DEP_1)
	v_cmpx_eq_u32_e32 0, v1
	s_cbranch_execz .LBB133_2
; %bb.1:
	v_dual_mov_b32 v1, 0 :: v_dual_mov_b32 v2, s2
	global_store_b32 v1, v2, s[8:9]
.LBB133_2:
	s_wait_xcnt 0x0
	s_or_b32 exec_lo, exec_lo, s3
	s_load_b32 s4, s[0:1], 0x18
	v_dual_lshrrev_b32 v0, 2, v0 :: v_dual_bitop2_b32 v8, 3, v0 bitop3:0x40
	s_lshl_b64 s[6:7], s[6:7], 4
	s_delay_alu instid0(SALU_CYCLE_1)
	s_add_nc_u64 s[6:7], s[8:9], s[6:7]
	s_wait_kmcnt 0x0
	s_sub_co_i32 s3, s14, s4
	s_sub_co_i32 s15, s15, s4
	s_lshl_b32 s10, s3, 4
	s_sub_co_i32 s5, s15, s3
	v_add_nc_u32_e32 v9, s3, v0
	s_lshl_b32 s5, s5, 2
	s_mov_b32 s3, exec_lo
	v_mul_lo_u32 v2, s5, v8
	s_add_co_i32 s5, s5, s2
	s_delay_alu instid0(VALU_DEP_1) | instid1(SALU_CYCLE_1)
	v_add3_u32 v1, s5, s10, v2
	global_store_b32 v8, v1, s[6:7] offset:4 scale_offset
	s_wait_xcnt 0x0
	v_cmpx_gt_i32_e64 s15, v9
	s_cbranch_execz .LBB133_5
; %bb.3:
	s_clause 0x4
	s_load_b64 s[6:7], s[0:1], 0x30
	s_load_b64 s[8:9], s[0:1], 0x48
	s_load_b32 s3, s[0:1], 0x0
	s_load_b64 s[10:11], s[0:1], 0x20
	s_load_b64 s[12:13], s[0:1], 0x58
	v_dual_lshlrev_b32 v3, 2, v0 :: v_dual_mov_b32 v1, 0
	v_dual_lshlrev_b32 v0, 4, v8 :: v_dual_lshlrev_b32 v6, 4, v9
	s_mov_b32 s5, 0
	s_wait_xcnt 0x0
	s_mov_b32 s1, s5
	s_wait_kmcnt 0x0
	s_cmp_eq_u32 s3, 0
	s_mov_b32 s3, s5
	s_cselect_b32 vcc_lo, -1, 0
	s_lshl_b32 s0, s14, 4
	s_delay_alu instid0(SALU_CYCLE_1) | instskip(SKIP_2) | instid1(VALU_DEP_2)
	v_add3_u32 v4, v2, s0, v3
	s_lshl_b32 s0, s4, 4
	v_add_nc_u64_e32 v[2:3], s[10:11], v[0:1]
	v_subrev_nc_u32_e32 v4, s0, v4
.LBB133_4:                              ; =>This Inner Loop Header: Depth=1
	v_dual_mov_b32 v7, v1 :: v_dual_add_nc_u32 v0, v8, v6
	global_load_b64 v[14:15], v9, s[6:7] scale_offset
	s_wait_xcnt 0x0
	v_dual_ashrrev_i32 v5, 31, v4 :: v_dual_add_nc_u32 v9, 64, v9
	v_lshl_add_u64 v[10:11], v[6:7], 2, v[2:3]
	v_lshl_add_u64 v[12:13], v[0:1], 2, s[10:11]
	v_add_nc_u32_e32 v6, 0x400, v6
	s_delay_alu instid0(VALU_DEP_4) | instskip(NEXT) | instid1(VALU_DEP_4)
	v_cmp_le_i32_e64 s0, s15, v9
	v_add_nc_u64_e32 v[16:17], 4, v[10:11]
	s_delay_alu instid0(VALU_DEP_4)
	v_add_nc_u64_e32 v[18:19], 16, v[12:13]
	v_add_nc_u64_e32 v[20:21], 8, v[10:11]
	;; [unrolled: 1-line block ×5, first 2 shown]
	v_dual_cndmask_b32 v29, v13, v11 :: v_dual_cndmask_b32 v28, v12, v10
	v_dual_cndmask_b32 v17, v19, v17 :: v_dual_cndmask_b32 v16, v18, v16
	;; [unrolled: 1-line block ×3, first 2 shown]
	s_delay_alu instid0(VALU_DEP_4)
	v_dual_cndmask_b32 v21, v27, v25 :: v_dual_cndmask_b32 v20, v26, v24
	global_load_b32 v10, v[28:29], off
	global_load_b32 v11, v[16:17], off
	;; [unrolled: 1-line block ×4, first 2 shown]
	v_lshl_add_u64 v[22:23], v[4:5], 3, s[12:13]
	v_lshl_add_u64 v[24:25], v[4:5], 2, s[8:9]
	v_add_nc_u32_e32 v4, 0x100, v4
	s_or_b32 s1, s0, s1
	s_wait_loadcnt 0x4
	v_sub_nc_u64_e64 v[14:15], v[14:15], s[4:5]
	s_delay_alu instid0(VALU_DEP_1) | instskip(SKIP_1) | instid1(VALU_DEP_1)
	v_lshl_add_u64 v[14:15], v[14:15], 2, s[2:3]
	s_wait_xcnt 0x2
	v_add_nc_u64_e32 v[16:17], 1, v[14:15]
	s_wait_xcnt 0x1
	v_add_nc_u64_e32 v[18:19], 2, v[14:15]
	s_wait_xcnt 0x0
	v_add_nc_u64_e32 v[20:21], 3, v[14:15]
	s_clause 0x1
	global_store_b128 v[22:23], v[14:17], off
	global_store_b128 v[22:23], v[18:21], off offset:16
	s_wait_loadcnt 0x0
	global_store_b128 v[24:25], v[10:13], off
	s_wait_xcnt 0x0
	s_and_not1_b32 exec_lo, exec_lo, s1
	s_cbranch_execnz .LBB133_4
.LBB133_5:
	s_endpgm
	.section	.rodata,"a",@progbits
	.p2align	6, 0x0
	.amdhsa_kernel _ZN9rocsparseL32bsr2csr_block_per_row_2_7_kernelILj256ELj4EfilEEv20rocsparse_direction_T3_S2_21rocsparse_index_base_PKT1_PKT2_PKS2_S2_S3_PS4_PS7_PS2_
		.amdhsa_group_segment_fixed_size 0
		.amdhsa_private_segment_fixed_size 0
		.amdhsa_kernarg_size 96
		.amdhsa_user_sgpr_count 2
		.amdhsa_user_sgpr_dispatch_ptr 0
		.amdhsa_user_sgpr_queue_ptr 0
		.amdhsa_user_sgpr_kernarg_segment_ptr 1
		.amdhsa_user_sgpr_dispatch_id 0
		.amdhsa_user_sgpr_kernarg_preload_length 0
		.amdhsa_user_sgpr_kernarg_preload_offset 0
		.amdhsa_user_sgpr_private_segment_size 0
		.amdhsa_wavefront_size32 1
		.amdhsa_uses_dynamic_stack 0
		.amdhsa_enable_private_segment 0
		.amdhsa_system_sgpr_workgroup_id_x 1
		.amdhsa_system_sgpr_workgroup_id_y 0
		.amdhsa_system_sgpr_workgroup_id_z 0
		.amdhsa_system_sgpr_workgroup_info 0
		.amdhsa_system_vgpr_workitem_id 0
		.amdhsa_next_free_vgpr 30
		.amdhsa_next_free_sgpr 16
		.amdhsa_named_barrier_count 0
		.amdhsa_reserve_vcc 1
		.amdhsa_float_round_mode_32 0
		.amdhsa_float_round_mode_16_64 0
		.amdhsa_float_denorm_mode_32 3
		.amdhsa_float_denorm_mode_16_64 3
		.amdhsa_fp16_overflow 0
		.amdhsa_memory_ordered 1
		.amdhsa_forward_progress 1
		.amdhsa_inst_pref_size 6
		.amdhsa_round_robin_scheduling 0
		.amdhsa_exception_fp_ieee_invalid_op 0
		.amdhsa_exception_fp_denorm_src 0
		.amdhsa_exception_fp_ieee_div_zero 0
		.amdhsa_exception_fp_ieee_overflow 0
		.amdhsa_exception_fp_ieee_underflow 0
		.amdhsa_exception_fp_ieee_inexact 0
		.amdhsa_exception_int_div_zero 0
	.end_amdhsa_kernel
	.section	.text._ZN9rocsparseL32bsr2csr_block_per_row_2_7_kernelILj256ELj4EfilEEv20rocsparse_direction_T3_S2_21rocsparse_index_base_PKT1_PKT2_PKS2_S2_S3_PS4_PS7_PS2_,"axG",@progbits,_ZN9rocsparseL32bsr2csr_block_per_row_2_7_kernelILj256ELj4EfilEEv20rocsparse_direction_T3_S2_21rocsparse_index_base_PKT1_PKT2_PKS2_S2_S3_PS4_PS7_PS2_,comdat
.Lfunc_end133:
	.size	_ZN9rocsparseL32bsr2csr_block_per_row_2_7_kernelILj256ELj4EfilEEv20rocsparse_direction_T3_S2_21rocsparse_index_base_PKT1_PKT2_PKS2_S2_S3_PS4_PS7_PS2_, .Lfunc_end133-_ZN9rocsparseL32bsr2csr_block_per_row_2_7_kernelILj256ELj4EfilEEv20rocsparse_direction_T3_S2_21rocsparse_index_base_PKT1_PKT2_PKS2_S2_S3_PS4_PS7_PS2_
                                        ; -- End function
	.set _ZN9rocsparseL32bsr2csr_block_per_row_2_7_kernelILj256ELj4EfilEEv20rocsparse_direction_T3_S2_21rocsparse_index_base_PKT1_PKT2_PKS2_S2_S3_PS4_PS7_PS2_.num_vgpr, 30
	.set _ZN9rocsparseL32bsr2csr_block_per_row_2_7_kernelILj256ELj4EfilEEv20rocsparse_direction_T3_S2_21rocsparse_index_base_PKT1_PKT2_PKS2_S2_S3_PS4_PS7_PS2_.num_agpr, 0
	.set _ZN9rocsparseL32bsr2csr_block_per_row_2_7_kernelILj256ELj4EfilEEv20rocsparse_direction_T3_S2_21rocsparse_index_base_PKT1_PKT2_PKS2_S2_S3_PS4_PS7_PS2_.numbered_sgpr, 16
	.set _ZN9rocsparseL32bsr2csr_block_per_row_2_7_kernelILj256ELj4EfilEEv20rocsparse_direction_T3_S2_21rocsparse_index_base_PKT1_PKT2_PKS2_S2_S3_PS4_PS7_PS2_.num_named_barrier, 0
	.set _ZN9rocsparseL32bsr2csr_block_per_row_2_7_kernelILj256ELj4EfilEEv20rocsparse_direction_T3_S2_21rocsparse_index_base_PKT1_PKT2_PKS2_S2_S3_PS4_PS7_PS2_.private_seg_size, 0
	.set _ZN9rocsparseL32bsr2csr_block_per_row_2_7_kernelILj256ELj4EfilEEv20rocsparse_direction_T3_S2_21rocsparse_index_base_PKT1_PKT2_PKS2_S2_S3_PS4_PS7_PS2_.uses_vcc, 1
	.set _ZN9rocsparseL32bsr2csr_block_per_row_2_7_kernelILj256ELj4EfilEEv20rocsparse_direction_T3_S2_21rocsparse_index_base_PKT1_PKT2_PKS2_S2_S3_PS4_PS7_PS2_.uses_flat_scratch, 0
	.set _ZN9rocsparseL32bsr2csr_block_per_row_2_7_kernelILj256ELj4EfilEEv20rocsparse_direction_T3_S2_21rocsparse_index_base_PKT1_PKT2_PKS2_S2_S3_PS4_PS7_PS2_.has_dyn_sized_stack, 0
	.set _ZN9rocsparseL32bsr2csr_block_per_row_2_7_kernelILj256ELj4EfilEEv20rocsparse_direction_T3_S2_21rocsparse_index_base_PKT1_PKT2_PKS2_S2_S3_PS4_PS7_PS2_.has_recursion, 0
	.set _ZN9rocsparseL32bsr2csr_block_per_row_2_7_kernelILj256ELj4EfilEEv20rocsparse_direction_T3_S2_21rocsparse_index_base_PKT1_PKT2_PKS2_S2_S3_PS4_PS7_PS2_.has_indirect_call, 0
	.section	.AMDGPU.csdata,"",@progbits
; Kernel info:
; codeLenInByte = 696
; TotalNumSgprs: 18
; NumVgprs: 30
; ScratchSize: 0
; MemoryBound: 0
; FloatMode: 240
; IeeeMode: 1
; LDSByteSize: 0 bytes/workgroup (compile time only)
; SGPRBlocks: 0
; VGPRBlocks: 1
; NumSGPRsForWavesPerEU: 18
; NumVGPRsForWavesPerEU: 30
; NamedBarCnt: 0
; Occupancy: 16
; WaveLimiterHint : 0
; COMPUTE_PGM_RSRC2:SCRATCH_EN: 0
; COMPUTE_PGM_RSRC2:USER_SGPR: 2
; COMPUTE_PGM_RSRC2:TRAP_HANDLER: 0
; COMPUTE_PGM_RSRC2:TGID_X_EN: 1
; COMPUTE_PGM_RSRC2:TGID_Y_EN: 0
; COMPUTE_PGM_RSRC2:TGID_Z_EN: 0
; COMPUTE_PGM_RSRC2:TIDIG_COMP_CNT: 0
	.section	.text._ZN9rocsparseL32bsr2csr_block_per_row_2_7_kernelILj256ELj5EfilEEv20rocsparse_direction_T3_S2_21rocsparse_index_base_PKT1_PKT2_PKS2_S2_S3_PS4_PS7_PS2_,"axG",@progbits,_ZN9rocsparseL32bsr2csr_block_per_row_2_7_kernelILj256ELj5EfilEEv20rocsparse_direction_T3_S2_21rocsparse_index_base_PKT1_PKT2_PKS2_S2_S3_PS4_PS7_PS2_,comdat
	.globl	_ZN9rocsparseL32bsr2csr_block_per_row_2_7_kernelILj256ELj5EfilEEv20rocsparse_direction_T3_S2_21rocsparse_index_base_PKT1_PKT2_PKS2_S2_S3_PS4_PS7_PS2_ ; -- Begin function _ZN9rocsparseL32bsr2csr_block_per_row_2_7_kernelILj256ELj5EfilEEv20rocsparse_direction_T3_S2_21rocsparse_index_base_PKT1_PKT2_PKS2_S2_S3_PS4_PS7_PS2_
	.p2align	8
	.type	_ZN9rocsparseL32bsr2csr_block_per_row_2_7_kernelILj256ELj5EfilEEv20rocsparse_direction_T3_S2_21rocsparse_index_base_PKT1_PKT2_PKS2_S2_S3_PS4_PS7_PS2_,@function
_ZN9rocsparseL32bsr2csr_block_per_row_2_7_kernelILj256ELj5EfilEEv20rocsparse_direction_T3_S2_21rocsparse_index_base_PKT1_PKT2_PKS2_S2_S3_PS4_PS7_PS2_: ; @_ZN9rocsparseL32bsr2csr_block_per_row_2_7_kernelILj256ELj5EfilEEv20rocsparse_direction_T3_S2_21rocsparse_index_base_PKT1_PKT2_PKS2_S2_S3_PS4_PS7_PS2_
; %bb.0:
	s_clause 0x1
	s_load_b32 s2, s[0:1], 0x40
	s_load_b64 s[6:7], s[0:1], 0x50
	s_bfe_u32 s3, ttmp6, 0x4000c
	s_and_b32 s4, ttmp6, 15
	s_add_co_i32 s3, s3, 1
	s_getreg_b32 s5, hwreg(HW_REG_IB_STS2, 6, 4)
	s_mul_i32 s3, ttmp9, s3
	s_mov_b32 s9, 0
	s_add_co_i32 s4, s4, s3
	s_cmp_eq_u32 s5, 0
	s_mov_b32 s3, exec_lo
	s_cselect_b32 s8, ttmp9, s4
	s_delay_alu instid0(SALU_CYCLE_1) | instskip(NEXT) | instid1(VALU_DEP_1)
	v_or_b32_e32 v1, s8, v0
	v_cmpx_eq_u32_e32 0, v1
	s_cbranch_execz .LBB134_2
; %bb.1:
	s_wait_kmcnt 0x0
	v_dual_mov_b32 v1, 0 :: v_dual_mov_b32 v2, s2
	global_store_b32 v1, v2, s[6:7]
.LBB134_2:
	s_wait_xcnt 0x0
	s_or_b32 exec_lo, exec_lo, s3
	v_and_b32_e32 v4, 7, v0
	s_mov_b32 s3, exec_lo
	s_delay_alu instid0(VALU_DEP_1)
	v_cmpx_gt_u32_e32 5, v4
	s_cbranch_execz .LBB134_6
; %bb.3:
	s_clause 0x1
	s_load_b64 s[10:11], s[0:1], 0x28
	s_load_b32 s4, s[0:1], 0x18
	s_lshl_b64 s[12:13], s[8:9], 2
	v_lshrrev_b32_e32 v5, 3, v0
	s_mul_u64 s[8:9], s[8:9], 20
	s_wait_kmcnt 0x0
	s_add_nc_u64 s[6:7], s[6:7], s[8:9]
	s_add_nc_u64 s[10:11], s[10:11], s[12:13]
	s_load_b64 s[12:13], s[10:11], 0x0
	s_wait_kmcnt 0x0
	s_sub_co_i32 s3, s12, s4
	s_sub_co_i32 s13, s13, s4
	v_add_nc_u32_e32 v8, s3, v5
	s_sub_co_i32 s5, s13, s3
	s_mul_i32 s10, s3, 25
	s_mul_i32 s5, s5, 5
	s_delay_alu instid0(SALU_CYCLE_1) | instskip(SKIP_2) | instid1(VALU_DEP_2)
	v_mul_lo_u32 v6, s5, v4
	s_add_co_i32 s5, s5, s2
	v_cmp_gt_i32_e32 vcc_lo, s13, v8
	v_add3_u32 v0, s5, s10, v6
	global_store_b32 v4, v0, s[6:7] offset:4 scale_offset
	s_wait_xcnt 0x0
	s_and_b32 exec_lo, exec_lo, vcc_lo
	s_cbranch_execz .LBB134_6
; %bb.4:
	s_clause 0x2
	s_load_b64 s[6:7], s[0:1], 0x48
	s_load_b64 s[14:15], s[0:1], 0x20
	s_load_b32 s3, s[0:1], 0x0
	v_dual_mov_b32 v1, 0 :: v_dual_lshlrev_b32 v0, 2, v4
	s_clause 0x1
	s_load_b64 s[8:9], s[0:1], 0x30
	s_load_b64 s[10:11], s[0:1], 0x58
	v_mul_u32_u24_e32 v7, 5, v5
	s_wait_xcnt 0x0
	s_mul_i32 s0, s12, 25
	s_mov_b32 s5, 0
	s_delay_alu instid0(SALU_CYCLE_1)
	s_mov_b32 s1, s5
	v_add3_u32 v6, v6, s0, v7
	s_mul_i32 s0, s4, 25
	s_delay_alu instid0(VALU_DEP_1) | instid1(SALU_CYCLE_1)
	v_subrev_nc_u32_e32 v6, s0, v6
	s_wait_kmcnt 0x0
	v_add_nc_u64_e32 v[2:3], s[14:15], v[0:1]
	v_lshlrev_b32_e32 v0, 4, v4
	s_cmp_eq_u32 s3, 0
	s_mov_b32 s3, s5
	s_cselect_b32 vcc_lo, -1, 0
	s_delay_alu instid0(VALU_DEP_1)
	v_add_nc_u64_e32 v[4:5], v[2:3], v[0:1]
	v_mul_lo_u32 v0, v8, 25
.LBB134_5:                              ; =>This Inner Loop Header: Depth=1
	global_load_b64 v[14:15], v8, s[8:9] scale_offset
	v_lshlrev_b64_e32 v[10:11], 2, v[0:1]
	s_wait_xcnt 0x0
	v_dual_ashrrev_i32 v7, 31, v6 :: v_dual_add_nc_u32 v8, 32, v8
	v_add_nc_u32_e32 v0, 0x320, v0
	s_delay_alu instid0(VALU_DEP_2) | instskip(NEXT) | instid1(VALU_DEP_4)
	v_cmp_le_i32_e64 s0, s13, v8
	v_add_nc_u64_e32 v[12:13], v[2:3], v[10:11]
	v_add_nc_u64_e32 v[10:11], v[4:5], v[10:11]
	s_or_b32 s1, s0, s1
	s_delay_alu instid0(VALU_DEP_2) | instskip(NEXT) | instid1(VALU_DEP_2)
	v_add_nc_u64_e32 v[20:21], 20, v[12:13]
	v_add_nc_u64_e32 v[18:19], 4, v[10:11]
	;; [unrolled: 1-line block ×6, first 2 shown]
	v_dual_cndmask_b32 v17, v13, v11 :: v_dual_cndmask_b32 v16, v12, v10
	v_add_nc_u64_e32 v[30:31], 12, v[10:11]
	v_add_nc_u64_e32 v[12:13], 60, v[12:13]
	global_load_b32 v10, v[16:17], off
	s_wait_xcnt 0x0
	v_dual_cndmask_b32 v17, v21, v19 :: v_dual_cndmask_b32 v16, v20, v18
	v_dual_cndmask_b32 v19, v25, v23 :: v_dual_cndmask_b32 v20, v28, v26
	;; [unrolled: 1-line block ×4, first 2 shown]
	global_load_b32 v9, v[20:21], off
	global_load_b32 v11, v[16:17], off
	;; [unrolled: 1-line block ×4, first 2 shown]
	s_wait_xcnt 0x0
	v_lshl_add_u64 v[22:23], v[6:7], 3, s[10:11]
	v_lshl_add_u64 v[24:25], v[6:7], 2, s[6:7]
	s_wait_loadcnt 0x5
	v_sub_nc_u64_e64 v[16:17], v[14:15], s[4:5]
	s_delay_alu instid0(VALU_DEP_1) | instskip(NEXT) | instid1(VALU_DEP_1)
	v_mad_nc_u64_u32 v[14:15], v16, 5, s[2:3]
	v_mad_u32 v15, v17, 5, v15
	s_delay_alu instid0(VALU_DEP_1)
	v_add_nc_u64_e32 v[26:27], 4, v[14:15]
	v_add_nc_u64_e32 v[16:17], 1, v[14:15]
	;; [unrolled: 1-line block ×4, first 2 shown]
	global_store_b64 v6, v[26:27], s[10:11] offset:32 scale_offset
	s_wait_loadcnt 0x3
	global_store_b32 v6, v9, s[6:7] offset:16 scale_offset
	s_wait_xcnt 0x0
	v_add_nc_u32_e32 v6, 0xa0, v6
	s_wait_loadcnt 0x0
	global_store_b128 v[24:25], v[10:13], off
	s_clause 0x1
	global_store_b128 v[22:23], v[14:17], off
	global_store_b128 v[22:23], v[18:21], off offset:16
	s_wait_xcnt 0x0
	s_and_not1_b32 exec_lo, exec_lo, s1
	s_cbranch_execnz .LBB134_5
.LBB134_6:
	s_endpgm
	.section	.rodata,"a",@progbits
	.p2align	6, 0x0
	.amdhsa_kernel _ZN9rocsparseL32bsr2csr_block_per_row_2_7_kernelILj256ELj5EfilEEv20rocsparse_direction_T3_S2_21rocsparse_index_base_PKT1_PKT2_PKS2_S2_S3_PS4_PS7_PS2_
		.amdhsa_group_segment_fixed_size 0
		.amdhsa_private_segment_fixed_size 0
		.amdhsa_kernarg_size 96
		.amdhsa_user_sgpr_count 2
		.amdhsa_user_sgpr_dispatch_ptr 0
		.amdhsa_user_sgpr_queue_ptr 0
		.amdhsa_user_sgpr_kernarg_segment_ptr 1
		.amdhsa_user_sgpr_dispatch_id 0
		.amdhsa_user_sgpr_kernarg_preload_length 0
		.amdhsa_user_sgpr_kernarg_preload_offset 0
		.amdhsa_user_sgpr_private_segment_size 0
		.amdhsa_wavefront_size32 1
		.amdhsa_uses_dynamic_stack 0
		.amdhsa_enable_private_segment 0
		.amdhsa_system_sgpr_workgroup_id_x 1
		.amdhsa_system_sgpr_workgroup_id_y 0
		.amdhsa_system_sgpr_workgroup_id_z 0
		.amdhsa_system_sgpr_workgroup_info 0
		.amdhsa_system_vgpr_workitem_id 0
		.amdhsa_next_free_vgpr 32
		.amdhsa_next_free_sgpr 16
		.amdhsa_named_barrier_count 0
		.amdhsa_reserve_vcc 1
		.amdhsa_float_round_mode_32 0
		.amdhsa_float_round_mode_16_64 0
		.amdhsa_float_denorm_mode_32 3
		.amdhsa_float_denorm_mode_16_64 3
		.amdhsa_fp16_overflow 0
		.amdhsa_memory_ordered 1
		.amdhsa_forward_progress 1
		.amdhsa_inst_pref_size 7
		.amdhsa_round_robin_scheduling 0
		.amdhsa_exception_fp_ieee_invalid_op 0
		.amdhsa_exception_fp_denorm_src 0
		.amdhsa_exception_fp_ieee_div_zero 0
		.amdhsa_exception_fp_ieee_overflow 0
		.amdhsa_exception_fp_ieee_underflow 0
		.amdhsa_exception_fp_ieee_inexact 0
		.amdhsa_exception_int_div_zero 0
	.end_amdhsa_kernel
	.section	.text._ZN9rocsparseL32bsr2csr_block_per_row_2_7_kernelILj256ELj5EfilEEv20rocsparse_direction_T3_S2_21rocsparse_index_base_PKT1_PKT2_PKS2_S2_S3_PS4_PS7_PS2_,"axG",@progbits,_ZN9rocsparseL32bsr2csr_block_per_row_2_7_kernelILj256ELj5EfilEEv20rocsparse_direction_T3_S2_21rocsparse_index_base_PKT1_PKT2_PKS2_S2_S3_PS4_PS7_PS2_,comdat
.Lfunc_end134:
	.size	_ZN9rocsparseL32bsr2csr_block_per_row_2_7_kernelILj256ELj5EfilEEv20rocsparse_direction_T3_S2_21rocsparse_index_base_PKT1_PKT2_PKS2_S2_S3_PS4_PS7_PS2_, .Lfunc_end134-_ZN9rocsparseL32bsr2csr_block_per_row_2_7_kernelILj256ELj5EfilEEv20rocsparse_direction_T3_S2_21rocsparse_index_base_PKT1_PKT2_PKS2_S2_S3_PS4_PS7_PS2_
                                        ; -- End function
	.set _ZN9rocsparseL32bsr2csr_block_per_row_2_7_kernelILj256ELj5EfilEEv20rocsparse_direction_T3_S2_21rocsparse_index_base_PKT1_PKT2_PKS2_S2_S3_PS4_PS7_PS2_.num_vgpr, 32
	.set _ZN9rocsparseL32bsr2csr_block_per_row_2_7_kernelILj256ELj5EfilEEv20rocsparse_direction_T3_S2_21rocsparse_index_base_PKT1_PKT2_PKS2_S2_S3_PS4_PS7_PS2_.num_agpr, 0
	.set _ZN9rocsparseL32bsr2csr_block_per_row_2_7_kernelILj256ELj5EfilEEv20rocsparse_direction_T3_S2_21rocsparse_index_base_PKT1_PKT2_PKS2_S2_S3_PS4_PS7_PS2_.numbered_sgpr, 16
	.set _ZN9rocsparseL32bsr2csr_block_per_row_2_7_kernelILj256ELj5EfilEEv20rocsparse_direction_T3_S2_21rocsparse_index_base_PKT1_PKT2_PKS2_S2_S3_PS4_PS7_PS2_.num_named_barrier, 0
	.set _ZN9rocsparseL32bsr2csr_block_per_row_2_7_kernelILj256ELj5EfilEEv20rocsparse_direction_T3_S2_21rocsparse_index_base_PKT1_PKT2_PKS2_S2_S3_PS4_PS7_PS2_.private_seg_size, 0
	.set _ZN9rocsparseL32bsr2csr_block_per_row_2_7_kernelILj256ELj5EfilEEv20rocsparse_direction_T3_S2_21rocsparse_index_base_PKT1_PKT2_PKS2_S2_S3_PS4_PS7_PS2_.uses_vcc, 1
	.set _ZN9rocsparseL32bsr2csr_block_per_row_2_7_kernelILj256ELj5EfilEEv20rocsparse_direction_T3_S2_21rocsparse_index_base_PKT1_PKT2_PKS2_S2_S3_PS4_PS7_PS2_.uses_flat_scratch, 0
	.set _ZN9rocsparseL32bsr2csr_block_per_row_2_7_kernelILj256ELj5EfilEEv20rocsparse_direction_T3_S2_21rocsparse_index_base_PKT1_PKT2_PKS2_S2_S3_PS4_PS7_PS2_.has_dyn_sized_stack, 0
	.set _ZN9rocsparseL32bsr2csr_block_per_row_2_7_kernelILj256ELj5EfilEEv20rocsparse_direction_T3_S2_21rocsparse_index_base_PKT1_PKT2_PKS2_S2_S3_PS4_PS7_PS2_.has_recursion, 0
	.set _ZN9rocsparseL32bsr2csr_block_per_row_2_7_kernelILj256ELj5EfilEEv20rocsparse_direction_T3_S2_21rocsparse_index_base_PKT1_PKT2_PKS2_S2_S3_PS4_PS7_PS2_.has_indirect_call, 0
	.section	.AMDGPU.csdata,"",@progbits
; Kernel info:
; codeLenInByte = 784
; TotalNumSgprs: 18
; NumVgprs: 32
; ScratchSize: 0
; MemoryBound: 0
; FloatMode: 240
; IeeeMode: 1
; LDSByteSize: 0 bytes/workgroup (compile time only)
; SGPRBlocks: 0
; VGPRBlocks: 1
; NumSGPRsForWavesPerEU: 18
; NumVGPRsForWavesPerEU: 32
; NamedBarCnt: 0
; Occupancy: 16
; WaveLimiterHint : 0
; COMPUTE_PGM_RSRC2:SCRATCH_EN: 0
; COMPUTE_PGM_RSRC2:USER_SGPR: 2
; COMPUTE_PGM_RSRC2:TRAP_HANDLER: 0
; COMPUTE_PGM_RSRC2:TGID_X_EN: 1
; COMPUTE_PGM_RSRC2:TGID_Y_EN: 0
; COMPUTE_PGM_RSRC2:TGID_Z_EN: 0
; COMPUTE_PGM_RSRC2:TIDIG_COMP_CNT: 0
	.section	.text._ZN9rocsparseL32bsr2csr_block_per_row_2_7_kernelILj256ELj6EfilEEv20rocsparse_direction_T3_S2_21rocsparse_index_base_PKT1_PKT2_PKS2_S2_S3_PS4_PS7_PS2_,"axG",@progbits,_ZN9rocsparseL32bsr2csr_block_per_row_2_7_kernelILj256ELj6EfilEEv20rocsparse_direction_T3_S2_21rocsparse_index_base_PKT1_PKT2_PKS2_S2_S3_PS4_PS7_PS2_,comdat
	.globl	_ZN9rocsparseL32bsr2csr_block_per_row_2_7_kernelILj256ELj6EfilEEv20rocsparse_direction_T3_S2_21rocsparse_index_base_PKT1_PKT2_PKS2_S2_S3_PS4_PS7_PS2_ ; -- Begin function _ZN9rocsparseL32bsr2csr_block_per_row_2_7_kernelILj256ELj6EfilEEv20rocsparse_direction_T3_S2_21rocsparse_index_base_PKT1_PKT2_PKS2_S2_S3_PS4_PS7_PS2_
	.p2align	8
	.type	_ZN9rocsparseL32bsr2csr_block_per_row_2_7_kernelILj256ELj6EfilEEv20rocsparse_direction_T3_S2_21rocsparse_index_base_PKT1_PKT2_PKS2_S2_S3_PS4_PS7_PS2_,@function
_ZN9rocsparseL32bsr2csr_block_per_row_2_7_kernelILj256ELj6EfilEEv20rocsparse_direction_T3_S2_21rocsparse_index_base_PKT1_PKT2_PKS2_S2_S3_PS4_PS7_PS2_: ; @_ZN9rocsparseL32bsr2csr_block_per_row_2_7_kernelILj256ELj6EfilEEv20rocsparse_direction_T3_S2_21rocsparse_index_base_PKT1_PKT2_PKS2_S2_S3_PS4_PS7_PS2_
; %bb.0:
	s_clause 0x1
	s_load_b32 s2, s[0:1], 0x40
	s_load_b64 s[6:7], s[0:1], 0x50
	s_bfe_u32 s3, ttmp6, 0x4000c
	s_and_b32 s4, ttmp6, 15
	s_add_co_i32 s3, s3, 1
	s_getreg_b32 s5, hwreg(HW_REG_IB_STS2, 6, 4)
	s_mul_i32 s3, ttmp9, s3
	s_mov_b32 s9, 0
	s_add_co_i32 s4, s4, s3
	s_cmp_eq_u32 s5, 0
	s_mov_b32 s3, exec_lo
	s_cselect_b32 s8, ttmp9, s4
	s_delay_alu instid0(SALU_CYCLE_1) | instskip(NEXT) | instid1(VALU_DEP_1)
	v_or_b32_e32 v1, s8, v0
	v_cmpx_eq_u32_e32 0, v1
	s_cbranch_execz .LBB135_2
; %bb.1:
	s_wait_kmcnt 0x0
	v_dual_mov_b32 v1, 0 :: v_dual_mov_b32 v2, s2
	global_store_b32 v1, v2, s[6:7]
.LBB135_2:
	s_wait_xcnt 0x0
	s_or_b32 exec_lo, exec_lo, s3
	v_and_b32_e32 v4, 7, v0
	s_mov_b32 s3, exec_lo
	s_delay_alu instid0(VALU_DEP_1)
	v_cmpx_gt_u32_e32 6, v4
	s_cbranch_execz .LBB135_6
; %bb.3:
	s_clause 0x1
	s_load_b64 s[10:11], s[0:1], 0x28
	s_load_b32 s4, s[0:1], 0x18
	s_lshl_b64 s[12:13], s[8:9], 2
	v_lshrrev_b32_e32 v5, 3, v0
	s_mul_u64 s[8:9], s[8:9], 24
	s_wait_kmcnt 0x0
	s_add_nc_u64 s[6:7], s[6:7], s[8:9]
	s_add_nc_u64 s[10:11], s[10:11], s[12:13]
	s_load_b64 s[12:13], s[10:11], 0x0
	s_wait_kmcnt 0x0
	s_sub_co_i32 s3, s12, s4
	s_sub_co_i32 s13, s13, s4
	v_add_nc_u32_e32 v8, s3, v5
	s_sub_co_i32 s5, s13, s3
	s_mul_i32 s10, s3, 36
	s_mul_i32 s5, s5, 6
	s_delay_alu instid0(SALU_CYCLE_1) | instskip(SKIP_2) | instid1(VALU_DEP_2)
	v_mul_lo_u32 v6, s5, v4
	s_add_co_i32 s5, s5, s2
	v_cmp_gt_i32_e32 vcc_lo, s13, v8
	v_add3_u32 v0, s5, s10, v6
	global_store_b32 v4, v0, s[6:7] offset:4 scale_offset
	s_wait_xcnt 0x0
	s_and_b32 exec_lo, exec_lo, vcc_lo
	s_cbranch_execz .LBB135_6
; %bb.4:
	s_clause 0x2
	s_load_b64 s[6:7], s[0:1], 0x48
	s_load_b64 s[14:15], s[0:1], 0x20
	s_load_b32 s3, s[0:1], 0x0
	v_dual_mov_b32 v1, 0 :: v_dual_lshlrev_b32 v0, 2, v4
	s_clause 0x1
	s_load_b64 s[8:9], s[0:1], 0x30
	s_load_b64 s[10:11], s[0:1], 0x58
	v_mul_u32_u24_e32 v7, 6, v5
	s_wait_xcnt 0x0
	s_mul_i32 s0, s12, 36
	s_mov_b32 s5, 0
	s_delay_alu instid0(SALU_CYCLE_1)
	s_mov_b32 s1, s5
	v_add3_u32 v6, v6, s0, v7
	s_mul_i32 s0, s4, 36
	s_delay_alu instid0(VALU_DEP_1) | instid1(SALU_CYCLE_1)
	v_subrev_nc_u32_e32 v6, s0, v6
	s_wait_kmcnt 0x0
	v_add_nc_u64_e32 v[2:3], s[14:15], v[0:1]
	v_mul_lo_u32 v0, v8, 36
	s_cmp_eq_u32 s3, 0
	s_mov_b32 s3, s5
	s_cselect_b32 vcc_lo, -1, 0
	s_delay_alu instid0(VALU_DEP_2)
	v_mad_co_u64_u32 v[4:5], null, v4, 20, v[2:3]
.LBB135_5:                              ; =>This Inner Loop Header: Depth=1
	global_load_b64 v[14:15], v8, s[8:9] scale_offset
	v_lshlrev_b64_e32 v[10:11], 2, v[0:1]
	s_wait_xcnt 0x0
	v_dual_ashrrev_i32 v7, 31, v6 :: v_dual_add_nc_u32 v8, 32, v8
	v_add_nc_u32_e32 v0, 0x480, v0
	s_delay_alu instid0(VALU_DEP_2) | instskip(NEXT) | instid1(VALU_DEP_4)
	v_cmp_le_i32_e64 s0, s13, v8
	v_add_nc_u64_e32 v[12:13], v[2:3], v[10:11]
	v_add_nc_u64_e32 v[10:11], v[4:5], v[10:11]
	s_or_b32 s1, s0, s1
	s_delay_alu instid0(VALU_DEP_2) | instskip(NEXT) | instid1(VALU_DEP_2)
	v_add_nc_u64_e32 v[20:21], 24, v[12:13]
	v_add_nc_u64_e32 v[18:19], 4, v[10:11]
	;; [unrolled: 1-line block ×4, first 2 shown]
	v_dual_cndmask_b32 v17, v13, v11 :: v_dual_cndmask_b32 v16, v12, v10
	v_add_nc_u64_e32 v[26:27], 12, v[10:11]
	v_add_nc_u64_e32 v[28:29], 0x48, v[12:13]
	;; [unrolled: 1-line block ×6, first 2 shown]
	global_load_b32 v10, v[16:17], off
	s_wait_xcnt 0x0
	v_dual_cndmask_b32 v17, v21, v19 :: v_dual_cndmask_b32 v16, v20, v18
	v_dual_cndmask_b32 v19, v25, v23 :: v_dual_cndmask_b32 v18, v24, v22
	;; [unrolled: 1-line block ×5, first 2 shown]
	global_load_b32 v11, v[16:17], off
	global_load_b32 v12, v[18:19], off
	;; [unrolled: 1-line block ×5, first 2 shown]
	v_lshl_add_u64 v[28:29], v[6:7], 3, s[10:11]
	v_lshl_add_u64 v[30:31], v[6:7], 2, s[6:7]
	v_add_nc_u32_e32 v6, 0xc0, v6
	s_wait_loadcnt 0x6
	s_wait_xcnt 0x4
	v_sub_nc_u64_e64 v[16:17], v[14:15], s[4:5]
	s_delay_alu instid0(VALU_DEP_1) | instskip(NEXT) | instid1(VALU_DEP_1)
	v_mad_nc_u64_u32 v[14:15], v16, 6, s[2:3]
	v_mad_u32 v15, v17, 6, v15
	s_delay_alu instid0(VALU_DEP_1)
	v_add_nc_u64_e32 v[16:17], 1, v[14:15]
	s_wait_xcnt 0x3
	v_add_nc_u64_e32 v[18:19], 2, v[14:15]
	s_wait_xcnt 0x2
	;; [unrolled: 2-line block ×4, first 2 shown]
	v_add_nc_u64_e32 v[24:25], 5, v[14:15]
	s_wait_loadcnt 0x2
	global_store_b128 v[30:31], v[10:13], off
	s_wait_loadcnt 0x0
	global_store_b64 v[30:31], v[26:27], off offset:16
	s_clause 0x2
	global_store_b128 v[28:29], v[14:17], off
	global_store_b128 v[28:29], v[18:21], off offset:16
	global_store_b128 v[28:29], v[22:25], off offset:32
	s_wait_xcnt 0x0
	s_and_not1_b32 exec_lo, exec_lo, s1
	s_cbranch_execnz .LBB135_5
.LBB135_6:
	s_endpgm
	.section	.rodata,"a",@progbits
	.p2align	6, 0x0
	.amdhsa_kernel _ZN9rocsparseL32bsr2csr_block_per_row_2_7_kernelILj256ELj6EfilEEv20rocsparse_direction_T3_S2_21rocsparse_index_base_PKT1_PKT2_PKS2_S2_S3_PS4_PS7_PS2_
		.amdhsa_group_segment_fixed_size 0
		.amdhsa_private_segment_fixed_size 0
		.amdhsa_kernarg_size 96
		.amdhsa_user_sgpr_count 2
		.amdhsa_user_sgpr_dispatch_ptr 0
		.amdhsa_user_sgpr_queue_ptr 0
		.amdhsa_user_sgpr_kernarg_segment_ptr 1
		.amdhsa_user_sgpr_dispatch_id 0
		.amdhsa_user_sgpr_kernarg_preload_length 0
		.amdhsa_user_sgpr_kernarg_preload_offset 0
		.amdhsa_user_sgpr_private_segment_size 0
		.amdhsa_wavefront_size32 1
		.amdhsa_uses_dynamic_stack 0
		.amdhsa_enable_private_segment 0
		.amdhsa_system_sgpr_workgroup_id_x 1
		.amdhsa_system_sgpr_workgroup_id_y 0
		.amdhsa_system_sgpr_workgroup_id_z 0
		.amdhsa_system_sgpr_workgroup_info 0
		.amdhsa_system_vgpr_workitem_id 0
		.amdhsa_next_free_vgpr 36
		.amdhsa_next_free_sgpr 16
		.amdhsa_named_barrier_count 0
		.amdhsa_reserve_vcc 1
		.amdhsa_float_round_mode_32 0
		.amdhsa_float_round_mode_16_64 0
		.amdhsa_float_denorm_mode_32 3
		.amdhsa_float_denorm_mode_16_64 3
		.amdhsa_fp16_overflow 0
		.amdhsa_memory_ordered 1
		.amdhsa_forward_progress 1
		.amdhsa_inst_pref_size 7
		.amdhsa_round_robin_scheduling 0
		.amdhsa_exception_fp_ieee_invalid_op 0
		.amdhsa_exception_fp_denorm_src 0
		.amdhsa_exception_fp_ieee_div_zero 0
		.amdhsa_exception_fp_ieee_overflow 0
		.amdhsa_exception_fp_ieee_underflow 0
		.amdhsa_exception_fp_ieee_inexact 0
		.amdhsa_exception_int_div_zero 0
	.end_amdhsa_kernel
	.section	.text._ZN9rocsparseL32bsr2csr_block_per_row_2_7_kernelILj256ELj6EfilEEv20rocsparse_direction_T3_S2_21rocsparse_index_base_PKT1_PKT2_PKS2_S2_S3_PS4_PS7_PS2_,"axG",@progbits,_ZN9rocsparseL32bsr2csr_block_per_row_2_7_kernelILj256ELj6EfilEEv20rocsparse_direction_T3_S2_21rocsparse_index_base_PKT1_PKT2_PKS2_S2_S3_PS4_PS7_PS2_,comdat
.Lfunc_end135:
	.size	_ZN9rocsparseL32bsr2csr_block_per_row_2_7_kernelILj256ELj6EfilEEv20rocsparse_direction_T3_S2_21rocsparse_index_base_PKT1_PKT2_PKS2_S2_S3_PS4_PS7_PS2_, .Lfunc_end135-_ZN9rocsparseL32bsr2csr_block_per_row_2_7_kernelILj256ELj6EfilEEv20rocsparse_direction_T3_S2_21rocsparse_index_base_PKT1_PKT2_PKS2_S2_S3_PS4_PS7_PS2_
                                        ; -- End function
	.set _ZN9rocsparseL32bsr2csr_block_per_row_2_7_kernelILj256ELj6EfilEEv20rocsparse_direction_T3_S2_21rocsparse_index_base_PKT1_PKT2_PKS2_S2_S3_PS4_PS7_PS2_.num_vgpr, 36
	.set _ZN9rocsparseL32bsr2csr_block_per_row_2_7_kernelILj256ELj6EfilEEv20rocsparse_direction_T3_S2_21rocsparse_index_base_PKT1_PKT2_PKS2_S2_S3_PS4_PS7_PS2_.num_agpr, 0
	.set _ZN9rocsparseL32bsr2csr_block_per_row_2_7_kernelILj256ELj6EfilEEv20rocsparse_direction_T3_S2_21rocsparse_index_base_PKT1_PKT2_PKS2_S2_S3_PS4_PS7_PS2_.numbered_sgpr, 16
	.set _ZN9rocsparseL32bsr2csr_block_per_row_2_7_kernelILj256ELj6EfilEEv20rocsparse_direction_T3_S2_21rocsparse_index_base_PKT1_PKT2_PKS2_S2_S3_PS4_PS7_PS2_.num_named_barrier, 0
	.set _ZN9rocsparseL32bsr2csr_block_per_row_2_7_kernelILj256ELj6EfilEEv20rocsparse_direction_T3_S2_21rocsparse_index_base_PKT1_PKT2_PKS2_S2_S3_PS4_PS7_PS2_.private_seg_size, 0
	.set _ZN9rocsparseL32bsr2csr_block_per_row_2_7_kernelILj256ELj6EfilEEv20rocsparse_direction_T3_S2_21rocsparse_index_base_PKT1_PKT2_PKS2_S2_S3_PS4_PS7_PS2_.uses_vcc, 1
	.set _ZN9rocsparseL32bsr2csr_block_per_row_2_7_kernelILj256ELj6EfilEEv20rocsparse_direction_T3_S2_21rocsparse_index_base_PKT1_PKT2_PKS2_S2_S3_PS4_PS7_PS2_.uses_flat_scratch, 0
	.set _ZN9rocsparseL32bsr2csr_block_per_row_2_7_kernelILj256ELj6EfilEEv20rocsparse_direction_T3_S2_21rocsparse_index_base_PKT1_PKT2_PKS2_S2_S3_PS4_PS7_PS2_.has_dyn_sized_stack, 0
	.set _ZN9rocsparseL32bsr2csr_block_per_row_2_7_kernelILj256ELj6EfilEEv20rocsparse_direction_T3_S2_21rocsparse_index_base_PKT1_PKT2_PKS2_S2_S3_PS4_PS7_PS2_.has_recursion, 0
	.set _ZN9rocsparseL32bsr2csr_block_per_row_2_7_kernelILj256ELj6EfilEEv20rocsparse_direction_T3_S2_21rocsparse_index_base_PKT1_PKT2_PKS2_S2_S3_PS4_PS7_PS2_.has_indirect_call, 0
	.section	.AMDGPU.csdata,"",@progbits
; Kernel info:
; codeLenInByte = 836
; TotalNumSgprs: 18
; NumVgprs: 36
; ScratchSize: 0
; MemoryBound: 0
; FloatMode: 240
; IeeeMode: 1
; LDSByteSize: 0 bytes/workgroup (compile time only)
; SGPRBlocks: 0
; VGPRBlocks: 2
; NumSGPRsForWavesPerEU: 18
; NumVGPRsForWavesPerEU: 36
; NamedBarCnt: 0
; Occupancy: 16
; WaveLimiterHint : 0
; COMPUTE_PGM_RSRC2:SCRATCH_EN: 0
; COMPUTE_PGM_RSRC2:USER_SGPR: 2
; COMPUTE_PGM_RSRC2:TRAP_HANDLER: 0
; COMPUTE_PGM_RSRC2:TGID_X_EN: 1
; COMPUTE_PGM_RSRC2:TGID_Y_EN: 0
; COMPUTE_PGM_RSRC2:TGID_Z_EN: 0
; COMPUTE_PGM_RSRC2:TIDIG_COMP_CNT: 0
	.section	.text._ZN9rocsparseL32bsr2csr_block_per_row_2_7_kernelILj256ELj7EfilEEv20rocsparse_direction_T3_S2_21rocsparse_index_base_PKT1_PKT2_PKS2_S2_S3_PS4_PS7_PS2_,"axG",@progbits,_ZN9rocsparseL32bsr2csr_block_per_row_2_7_kernelILj256ELj7EfilEEv20rocsparse_direction_T3_S2_21rocsparse_index_base_PKT1_PKT2_PKS2_S2_S3_PS4_PS7_PS2_,comdat
	.globl	_ZN9rocsparseL32bsr2csr_block_per_row_2_7_kernelILj256ELj7EfilEEv20rocsparse_direction_T3_S2_21rocsparse_index_base_PKT1_PKT2_PKS2_S2_S3_PS4_PS7_PS2_ ; -- Begin function _ZN9rocsparseL32bsr2csr_block_per_row_2_7_kernelILj256ELj7EfilEEv20rocsparse_direction_T3_S2_21rocsparse_index_base_PKT1_PKT2_PKS2_S2_S3_PS4_PS7_PS2_
	.p2align	8
	.type	_ZN9rocsparseL32bsr2csr_block_per_row_2_7_kernelILj256ELj7EfilEEv20rocsparse_direction_T3_S2_21rocsparse_index_base_PKT1_PKT2_PKS2_S2_S3_PS4_PS7_PS2_,@function
_ZN9rocsparseL32bsr2csr_block_per_row_2_7_kernelILj256ELj7EfilEEv20rocsparse_direction_T3_S2_21rocsparse_index_base_PKT1_PKT2_PKS2_S2_S3_PS4_PS7_PS2_: ; @_ZN9rocsparseL32bsr2csr_block_per_row_2_7_kernelILj256ELj7EfilEEv20rocsparse_direction_T3_S2_21rocsparse_index_base_PKT1_PKT2_PKS2_S2_S3_PS4_PS7_PS2_
; %bb.0:
	s_clause 0x1
	s_load_b32 s2, s[0:1], 0x40
	s_load_b64 s[6:7], s[0:1], 0x50
	s_bfe_u32 s3, ttmp6, 0x4000c
	s_and_b32 s4, ttmp6, 15
	s_add_co_i32 s3, s3, 1
	s_getreg_b32 s5, hwreg(HW_REG_IB_STS2, 6, 4)
	s_mul_i32 s3, ttmp9, s3
	s_mov_b32 s9, 0
	s_add_co_i32 s4, s4, s3
	s_cmp_eq_u32 s5, 0
	s_mov_b32 s3, exec_lo
	s_cselect_b32 s8, ttmp9, s4
	s_delay_alu instid0(SALU_CYCLE_1) | instskip(NEXT) | instid1(VALU_DEP_1)
	v_or_b32_e32 v1, s8, v0
	v_cmpx_eq_u32_e32 0, v1
	s_cbranch_execz .LBB136_2
; %bb.1:
	s_wait_kmcnt 0x0
	v_dual_mov_b32 v1, 0 :: v_dual_mov_b32 v2, s2
	global_store_b32 v1, v2, s[6:7]
.LBB136_2:
	s_wait_xcnt 0x0
	s_or_b32 exec_lo, exec_lo, s3
	v_and_b32_e32 v4, 7, v0
	s_mov_b32 s3, exec_lo
	s_delay_alu instid0(VALU_DEP_1)
	v_cmpx_ne_u32_e32 7, v4
	s_cbranch_execz .LBB136_6
; %bb.3:
	s_clause 0x1
	s_load_b64 s[10:11], s[0:1], 0x28
	s_load_b32 s4, s[0:1], 0x18
	s_lshl_b64 s[12:13], s[8:9], 2
	v_lshrrev_b32_e32 v5, 3, v0
	s_mul_u64 s[8:9], s[8:9], 28
	s_wait_kmcnt 0x0
	s_add_nc_u64 s[6:7], s[6:7], s[8:9]
	s_add_nc_u64 s[10:11], s[10:11], s[12:13]
	s_load_b64 s[12:13], s[10:11], 0x0
	s_wait_kmcnt 0x0
	s_sub_co_i32 s3, s12, s4
	s_sub_co_i32 s13, s13, s4
	v_add_nc_u32_e32 v8, s3, v5
	s_sub_co_i32 s5, s13, s3
	s_mul_i32 s10, s3, 49
	s_mul_i32 s5, s5, 7
	s_delay_alu instid0(SALU_CYCLE_1) | instskip(SKIP_2) | instid1(VALU_DEP_2)
	v_mul_lo_u32 v6, s5, v4
	s_add_co_i32 s5, s5, s2
	v_cmp_gt_i32_e32 vcc_lo, s13, v8
	v_add3_u32 v0, s5, s10, v6
	global_store_b32 v4, v0, s[6:7] offset:4 scale_offset
	s_wait_xcnt 0x0
	s_and_b32 exec_lo, exec_lo, vcc_lo
	s_cbranch_execz .LBB136_6
; %bb.4:
	s_clause 0x2
	s_load_b64 s[6:7], s[0:1], 0x48
	s_load_b64 s[14:15], s[0:1], 0x20
	s_load_b32 s3, s[0:1], 0x0
	v_dual_mov_b32 v1, 0 :: v_dual_lshlrev_b32 v0, 2, v4
	s_clause 0x1
	s_load_b64 s[8:9], s[0:1], 0x30
	s_load_b64 s[10:11], s[0:1], 0x58
	v_mul_u32_u24_e32 v7, 7, v5
	s_wait_xcnt 0x0
	s_mul_i32 s0, s12, 49
	s_mov_b32 s5, 0
	s_delay_alu instid0(SALU_CYCLE_1)
	s_mov_b32 s1, s5
	v_add3_u32 v6, v6, s0, v7
	s_mul_i32 s0, s4, 49
	s_delay_alu instid0(VALU_DEP_1) | instid1(SALU_CYCLE_1)
	v_subrev_nc_u32_e32 v6, s0, v6
	s_wait_kmcnt 0x0
	v_add_nc_u64_e32 v[2:3], s[14:15], v[0:1]
	v_mul_lo_u32 v0, v8, 49
	s_cmp_eq_u32 s3, 0
	s_mov_b32 s3, s5
	s_cselect_b32 vcc_lo, -1, 0
	s_delay_alu instid0(VALU_DEP_2)
	v_mad_co_u64_u32 v[4:5], null, v4, 24, v[2:3]
.LBB136_5:                              ; =>This Inner Loop Header: Depth=1
	global_load_b64 v[14:15], v8, s[8:9] scale_offset
	v_lshlrev_b64_e32 v[10:11], 2, v[0:1]
	s_wait_xcnt 0x0
	v_dual_add_nc_u32 v8, 32, v8 :: v_dual_ashrrev_i32 v7, 31, v6
	v_add_nc_u32_e32 v0, 0x620, v0
	s_delay_alu instid0(VALU_DEP_2) | instskip(NEXT) | instid1(VALU_DEP_4)
	v_cmp_le_i32_e64 s0, s13, v8
	v_add_nc_u64_e32 v[12:13], v[2:3], v[10:11]
	v_add_nc_u64_e32 v[10:11], v[4:5], v[10:11]
	s_or_b32 s1, s0, s1
	s_delay_alu instid0(VALU_DEP_2) | instskip(NEXT) | instid1(VALU_DEP_2)
	v_add_nc_u64_e32 v[20:21], 28, v[12:13]
	v_add_nc_u64_e32 v[18:19], 4, v[10:11]
	;; [unrolled: 1-line block ×4, first 2 shown]
	v_dual_cndmask_b32 v17, v13, v11 :: v_dual_cndmask_b32 v16, v12, v10
	v_add_nc_u64_e32 v[26:27], 12, v[10:11]
	v_add_nc_u64_e32 v[28:29], 0x54, v[12:13]
	;; [unrolled: 1-line block ×8, first 2 shown]
	global_load_b32 v10, v[16:17], off
	s_wait_xcnt 0x0
	v_dual_cndmask_b32 v17, v21, v19 :: v_dual_cndmask_b32 v16, v20, v18
	v_dual_cndmask_b32 v19, v25, v23 :: v_dual_cndmask_b32 v18, v24, v22
	v_dual_cndmask_b32 v21, v29, v27 :: v_dual_cndmask_b32 v20, v28, v26
	v_dual_cndmask_b32 v23, v33, v31 :: v_dual_cndmask_b32 v22, v32, v30
	v_dual_cndmask_b32 v25, v37, v35 :: v_dual_cndmask_b32 v24, v36, v34
	v_dual_cndmask_b32 v31, v13, v39 :: v_dual_cndmask_b32 v30, v12, v38
	global_load_b32 v11, v[16:17], off
	global_load_b32 v12, v[18:19], off
	global_load_b32 v13, v[20:21], off
	global_load_b32 v26, v[22:23], off
	global_load_b32 v27, v[24:25], off
	global_load_b32 v28, v[30:31], off
	s_wait_xcnt 0x0
	v_lshl_add_u64 v[30:31], v[6:7], 3, s[10:11]
	v_lshl_add_u64 v[32:33], v[6:7], 2, s[6:7]
	s_wait_loadcnt 0x7
	v_sub_nc_u64_e64 v[16:17], v[14:15], s[4:5]
	s_delay_alu instid0(VALU_DEP_1) | instskip(NEXT) | instid1(VALU_DEP_1)
	v_mad_nc_u64_u32 v[14:15], v16, 7, s[2:3]
	v_mad_u32 v15, v17, 7, v15
	s_delay_alu instid0(VALU_DEP_1)
	v_add_nc_u64_e32 v[16:17], 1, v[14:15]
	v_add_nc_u64_e32 v[34:35], 6, v[14:15]
	;; [unrolled: 1-line block ×6, first 2 shown]
	s_clause 0x1
	global_store_b128 v[30:31], v[14:17], off
	global_store_b64 v6, v[34:35], s[10:11] offset:48 scale_offset
	s_wait_xcnt 0x0
	v_add_nc_u32_e32 v6, 0xe0, v6
	s_wait_loadcnt 0x3
	global_store_b128 v[32:33], v[10:13], off
	s_wait_loadcnt 0x0
	global_store_b96 v[32:33], v[26:28], off offset:16
	s_clause 0x1
	global_store_b128 v[30:31], v[18:21], off offset:16
	global_store_b128 v[30:31], v[22:25], off offset:32
	s_wait_xcnt 0x0
	s_and_not1_b32 exec_lo, exec_lo, s1
	s_cbranch_execnz .LBB136_5
.LBB136_6:
	s_endpgm
	.section	.rodata,"a",@progbits
	.p2align	6, 0x0
	.amdhsa_kernel _ZN9rocsparseL32bsr2csr_block_per_row_2_7_kernelILj256ELj7EfilEEv20rocsparse_direction_T3_S2_21rocsparse_index_base_PKT1_PKT2_PKS2_S2_S3_PS4_PS7_PS2_
		.amdhsa_group_segment_fixed_size 0
		.amdhsa_private_segment_fixed_size 0
		.amdhsa_kernarg_size 96
		.amdhsa_user_sgpr_count 2
		.amdhsa_user_sgpr_dispatch_ptr 0
		.amdhsa_user_sgpr_queue_ptr 0
		.amdhsa_user_sgpr_kernarg_segment_ptr 1
		.amdhsa_user_sgpr_dispatch_id 0
		.amdhsa_user_sgpr_kernarg_preload_length 0
		.amdhsa_user_sgpr_kernarg_preload_offset 0
		.amdhsa_user_sgpr_private_segment_size 0
		.amdhsa_wavefront_size32 1
		.amdhsa_uses_dynamic_stack 0
		.amdhsa_enable_private_segment 0
		.amdhsa_system_sgpr_workgroup_id_x 1
		.amdhsa_system_sgpr_workgroup_id_y 0
		.amdhsa_system_sgpr_workgroup_id_z 0
		.amdhsa_system_sgpr_workgroup_info 0
		.amdhsa_system_vgpr_workitem_id 0
		.amdhsa_next_free_vgpr 40
		.amdhsa_next_free_sgpr 16
		.amdhsa_named_barrier_count 0
		.amdhsa_reserve_vcc 1
		.amdhsa_float_round_mode_32 0
		.amdhsa_float_round_mode_16_64 0
		.amdhsa_float_denorm_mode_32 3
		.amdhsa_float_denorm_mode_16_64 3
		.amdhsa_fp16_overflow 0
		.amdhsa_memory_ordered 1
		.amdhsa_forward_progress 1
		.amdhsa_inst_pref_size 7
		.amdhsa_round_robin_scheduling 0
		.amdhsa_exception_fp_ieee_invalid_op 0
		.amdhsa_exception_fp_denorm_src 0
		.amdhsa_exception_fp_ieee_div_zero 0
		.amdhsa_exception_fp_ieee_overflow 0
		.amdhsa_exception_fp_ieee_underflow 0
		.amdhsa_exception_fp_ieee_inexact 0
		.amdhsa_exception_int_div_zero 0
	.end_amdhsa_kernel
	.section	.text._ZN9rocsparseL32bsr2csr_block_per_row_2_7_kernelILj256ELj7EfilEEv20rocsparse_direction_T3_S2_21rocsparse_index_base_PKT1_PKT2_PKS2_S2_S3_PS4_PS7_PS2_,"axG",@progbits,_ZN9rocsparseL32bsr2csr_block_per_row_2_7_kernelILj256ELj7EfilEEv20rocsparse_direction_T3_S2_21rocsparse_index_base_PKT1_PKT2_PKS2_S2_S3_PS4_PS7_PS2_,comdat
.Lfunc_end136:
	.size	_ZN9rocsparseL32bsr2csr_block_per_row_2_7_kernelILj256ELj7EfilEEv20rocsparse_direction_T3_S2_21rocsparse_index_base_PKT1_PKT2_PKS2_S2_S3_PS4_PS7_PS2_, .Lfunc_end136-_ZN9rocsparseL32bsr2csr_block_per_row_2_7_kernelILj256ELj7EfilEEv20rocsparse_direction_T3_S2_21rocsparse_index_base_PKT1_PKT2_PKS2_S2_S3_PS4_PS7_PS2_
                                        ; -- End function
	.set _ZN9rocsparseL32bsr2csr_block_per_row_2_7_kernelILj256ELj7EfilEEv20rocsparse_direction_T3_S2_21rocsparse_index_base_PKT1_PKT2_PKS2_S2_S3_PS4_PS7_PS2_.num_vgpr, 40
	.set _ZN9rocsparseL32bsr2csr_block_per_row_2_7_kernelILj256ELj7EfilEEv20rocsparse_direction_T3_S2_21rocsparse_index_base_PKT1_PKT2_PKS2_S2_S3_PS4_PS7_PS2_.num_agpr, 0
	.set _ZN9rocsparseL32bsr2csr_block_per_row_2_7_kernelILj256ELj7EfilEEv20rocsparse_direction_T3_S2_21rocsparse_index_base_PKT1_PKT2_PKS2_S2_S3_PS4_PS7_PS2_.numbered_sgpr, 16
	.set _ZN9rocsparseL32bsr2csr_block_per_row_2_7_kernelILj256ELj7EfilEEv20rocsparse_direction_T3_S2_21rocsparse_index_base_PKT1_PKT2_PKS2_S2_S3_PS4_PS7_PS2_.num_named_barrier, 0
	.set _ZN9rocsparseL32bsr2csr_block_per_row_2_7_kernelILj256ELj7EfilEEv20rocsparse_direction_T3_S2_21rocsparse_index_base_PKT1_PKT2_PKS2_S2_S3_PS4_PS7_PS2_.private_seg_size, 0
	.set _ZN9rocsparseL32bsr2csr_block_per_row_2_7_kernelILj256ELj7EfilEEv20rocsparse_direction_T3_S2_21rocsparse_index_base_PKT1_PKT2_PKS2_S2_S3_PS4_PS7_PS2_.uses_vcc, 1
	.set _ZN9rocsparseL32bsr2csr_block_per_row_2_7_kernelILj256ELj7EfilEEv20rocsparse_direction_T3_S2_21rocsparse_index_base_PKT1_PKT2_PKS2_S2_S3_PS4_PS7_PS2_.uses_flat_scratch, 0
	.set _ZN9rocsparseL32bsr2csr_block_per_row_2_7_kernelILj256ELj7EfilEEv20rocsparse_direction_T3_S2_21rocsparse_index_base_PKT1_PKT2_PKS2_S2_S3_PS4_PS7_PS2_.has_dyn_sized_stack, 0
	.set _ZN9rocsparseL32bsr2csr_block_per_row_2_7_kernelILj256ELj7EfilEEv20rocsparse_direction_T3_S2_21rocsparse_index_base_PKT1_PKT2_PKS2_S2_S3_PS4_PS7_PS2_.has_recursion, 0
	.set _ZN9rocsparseL32bsr2csr_block_per_row_2_7_kernelILj256ELj7EfilEEv20rocsparse_direction_T3_S2_21rocsparse_index_base_PKT1_PKT2_PKS2_S2_S3_PS4_PS7_PS2_.has_indirect_call, 0
	.section	.AMDGPU.csdata,"",@progbits
; Kernel info:
; codeLenInByte = 876
; TotalNumSgprs: 18
; NumVgprs: 40
; ScratchSize: 0
; MemoryBound: 0
; FloatMode: 240
; IeeeMode: 1
; LDSByteSize: 0 bytes/workgroup (compile time only)
; SGPRBlocks: 0
; VGPRBlocks: 2
; NumSGPRsForWavesPerEU: 18
; NumVGPRsForWavesPerEU: 40
; NamedBarCnt: 0
; Occupancy: 16
; WaveLimiterHint : 0
; COMPUTE_PGM_RSRC2:SCRATCH_EN: 0
; COMPUTE_PGM_RSRC2:USER_SGPR: 2
; COMPUTE_PGM_RSRC2:TRAP_HANDLER: 0
; COMPUTE_PGM_RSRC2:TGID_X_EN: 1
; COMPUTE_PGM_RSRC2:TGID_Y_EN: 0
; COMPUTE_PGM_RSRC2:TGID_Z_EN: 0
; COMPUTE_PGM_RSRC2:TIDIG_COMP_CNT: 0
	.section	.text._ZN9rocsparseL33bsr2csr_block_per_row_8_32_kernelILj1024ELj8EfilEEv20rocsparse_direction_T3_S2_21rocsparse_index_base_PKT1_PKT2_PKS2_S2_S3_PS4_PS7_PS2_,"axG",@progbits,_ZN9rocsparseL33bsr2csr_block_per_row_8_32_kernelILj1024ELj8EfilEEv20rocsparse_direction_T3_S2_21rocsparse_index_base_PKT1_PKT2_PKS2_S2_S3_PS4_PS7_PS2_,comdat
	.globl	_ZN9rocsparseL33bsr2csr_block_per_row_8_32_kernelILj1024ELj8EfilEEv20rocsparse_direction_T3_S2_21rocsparse_index_base_PKT1_PKT2_PKS2_S2_S3_PS4_PS7_PS2_ ; -- Begin function _ZN9rocsparseL33bsr2csr_block_per_row_8_32_kernelILj1024ELj8EfilEEv20rocsparse_direction_T3_S2_21rocsparse_index_base_PKT1_PKT2_PKS2_S2_S3_PS4_PS7_PS2_
	.p2align	8
	.type	_ZN9rocsparseL33bsr2csr_block_per_row_8_32_kernelILj1024ELj8EfilEEv20rocsparse_direction_T3_S2_21rocsparse_index_base_PKT1_PKT2_PKS2_S2_S3_PS4_PS7_PS2_,@function
_ZN9rocsparseL33bsr2csr_block_per_row_8_32_kernelILj1024ELj8EfilEEv20rocsparse_direction_T3_S2_21rocsparse_index_base_PKT1_PKT2_PKS2_S2_S3_PS4_PS7_PS2_: ; @_ZN9rocsparseL33bsr2csr_block_per_row_8_32_kernelILj1024ELj8EfilEEv20rocsparse_direction_T3_S2_21rocsparse_index_base_PKT1_PKT2_PKS2_S2_S3_PS4_PS7_PS2_
; %bb.0:
	s_clause 0x1
	s_load_b32 s8, s[0:1], 0x40
	s_load_b64 s[10:11], s[0:1], 0x50
	s_bfe_u32 s2, ttmp6, 0x4000c
	s_and_b32 s3, ttmp6, 15
	s_add_co_i32 s2, s2, 1
	s_getreg_b32 s4, hwreg(HW_REG_IB_STS2, 6, 4)
	s_mul_i32 s2, ttmp9, s2
	s_mov_b32 s13, 0
	s_add_co_i32 s3, s3, s2
	s_cmp_eq_u32 s4, 0
	s_mov_b32 s2, exec_lo
	s_cselect_b32 s12, ttmp9, s3
	s_delay_alu instid0(SALU_CYCLE_1) | instskip(NEXT) | instid1(VALU_DEP_1)
	v_or_b32_e32 v1, s12, v0
	v_cmpx_eq_u32_e32 0, v1
	s_cbranch_execz .LBB137_2
; %bb.1:
	s_wait_kmcnt 0x0
	v_dual_mov_b32 v1, 0 :: v_dual_mov_b32 v2, s8
	global_store_b32 v1, v2, s[10:11]
.LBB137_2:
	s_wait_xcnt 0x0
	s_or_b32 exec_lo, exec_lo, s2
	v_dual_mov_b32 v3, 0 :: v_dual_bitop2_b32 v2, 7, v0 bitop3:0x40
	v_bfe_u32 v4, v0, 3, 3
	s_load_b64 s[2:3], s[0:1], 0x38
	s_mov_b32 s4, exec_lo
	s_delay_alu instid0(VALU_DEP_2) | instskip(NEXT) | instid1(VALU_DEP_1)
	v_mov_b32_e32 v5, v3
	v_max_i64 v[6:7], v[4:5], v[2:3]
	s_wait_kmcnt 0x0
	s_delay_alu instid0(VALU_DEP_1)
	v_cmpx_gt_i64_e64 s[2:3], v[6:7]
	s_cbranch_execz .LBB137_6
; %bb.3:
	s_clause 0x1
	s_load_b64 s[6:7], s[0:1], 0x28
	s_load_b32 s4, s[0:1], 0x18
	s_lshl_b64 s[14:15], s[12:13], 2
	v_lshrrev_b32_e32 v1, 6, v0
	s_mul_u64 s[12:13], s[2:3], s[12:13]
	s_delay_alu instid0(SALU_CYCLE_1) | instskip(NEXT) | instid1(SALU_CYCLE_1)
	s_lshl_b64 s[12:13], s[12:13], 2
	s_add_nc_u64 s[10:11], s[10:11], s[12:13]
	s_wait_kmcnt 0x0
	s_add_nc_u64 s[6:7], s[6:7], s[14:15]
	s_load_b64 s[14:15], s[6:7], 0x0
	s_wait_xcnt 0x0
	s_mul_u64 s[6:7], s[2:3], s[2:3]
	s_wait_kmcnt 0x0
	s_sub_co_i32 s9, s14, s4
	s_sub_co_i32 s16, s15, s4
	s_mul_i32 s15, s6, s9
	s_sub_co_i32 s5, s16, s9
	v_add_nc_u32_e32 v0, s9, v1
	s_mul_i32 s14, s2, s5
	s_delay_alu instid0(SALU_CYCLE_1) | instskip(NEXT) | instid1(SALU_CYCLE_1)
	s_add_co_i32 s17, s8, s14
	s_add_co_i32 s17, s17, s15
	s_delay_alu instid0(VALU_DEP_1)
	v_cmp_gt_i32_e32 vcc_lo, s16, v0
	v_mad_u32 v6, s14, v4, s17
	global_store_b32 v4, v6, s[10:11] offset:4 scale_offset
	s_wait_xcnt 0x0
	s_and_b32 exec_lo, exec_lo, vcc_lo
	s_cbranch_execz .LBB137_6
; %bb.4:
	v_mul_u64_e32 v[6:7], s[2:3], v[2:3]
	v_mul_u64_e32 v[8:9], s[2:3], v[4:5]
	s_clause 0x2
	s_load_b64 s[10:11], s[0:1], 0x48
	s_load_b64 s[18:19], s[0:1], 0x20
	s_load_b32 s17, s[0:1], 0x0
	v_mad_u32 v1, s2, s9, v1
	v_dual_mov_b32 v11, 0 :: v_dual_lshlrev_b32 v10, 2, v4
	s_clause 0x1
	s_load_b64 s[12:13], s[0:1], 0x30
	s_load_b64 s[14:15], s[0:1], 0x58
	s_delay_alu instid0(VALU_DEP_2) | instskip(SKIP_1) | instid1(SALU_CYCLE_1)
	v_mad_u32 v1, s5, v4, v1
	s_mov_b32 s5, 0
	s_mov_b32 s9, s5
	s_wait_xcnt 0x0
	s_mov_b32 s0, s5
	s_wait_kmcnt 0x0
	s_cmp_eq_u32 s17, 0
	s_cselect_b32 vcc_lo, -1, 0
	s_lshl_b32 s1, s2, 4
	v_lshl_add_u64 v[6:7], v[6:7], 2, s[18:19]
	v_lshl_add_u64 v[4:5], v[8:9], 2, s[18:19]
	s_delay_alu instid0(VALU_DEP_2) | instskip(SKIP_1) | instid1(VALU_DEP_1)
	v_add_nc_u64_e32 v[6:7], v[6:7], v[10:11]
	v_lshlrev_b32_e32 v10, 2, v2
	v_add_nc_u64_e32 v[8:9], v[4:5], v[10:11]
	v_mad_u32 v5, s2, v1, v2
	v_add_nc_u64_e32 v[2:3], s[8:9], v[2:3]
	s_mov_b32 s8, s5
	s_delay_alu instid0(VALU_DEP_3) | instskip(NEXT) | instid1(VALU_DEP_4)
	v_dual_mov_b32 v4, v11 :: v_dual_cndmask_b32 v6, v6, v8, vcc_lo
	v_cndmask_b32_e32 v7, v7, v9, vcc_lo
.LBB137_5:                              ; =>This Inner Loop Header: Depth=1
	v_ashrrev_i32_e32 v1, 31, v0
	global_load_b64 v[8:9], v0, s[12:13] scale_offset
	v_ashrrev_i64 v[12:13], 29, v[4:5]
	v_ashrrev_i64 v[14:15], 30, v[4:5]
	v_add_nc_u64_e32 v[4:5], s[0:1], v[4:5]
	v_mul_u64_e32 v[10:11], s[6:7], v[0:1]
	s_wait_xcnt 0x0
	v_add_nc_u32_e32 v0, 16, v0
	s_delay_alu instid0(VALU_DEP_1) | instskip(SKIP_1) | instid1(VALU_DEP_3)
	v_cmp_le_i32_e32 vcc_lo, s16, v0
	s_or_b32 s8, vcc_lo, s8
	v_lshl_add_u64 v[10:11], v[10:11], 2, v[6:7]
	global_load_b32 v1, v[10:11], off
	s_wait_loadcnt 0x1
	v_sub_nc_u64_e64 v[8:9], v[8:9], s[4:5]
	s_wait_xcnt 0x0
	s_delay_alu instid0(VALU_DEP_1) | instskip(NEXT) | instid1(VALU_DEP_1)
	v_mad_nc_u64_u32 v[10:11], v8, s2, v[2:3]
	v_mad_u32 v9, v9, s2, v11
	s_delay_alu instid0(VALU_DEP_1)
	v_mad_u32 v11, v8, s3, v9
	v_add_nc_u64_e32 v[8:9], s[14:15], v[12:13]
	v_add_nc_u64_e32 v[12:13], s[10:11], v[14:15]
	global_store_b64 v[8:9], v[10:11], off
	s_wait_loadcnt 0x0
	global_store_b32 v[12:13], v1, off
	s_wait_xcnt 0x0
	s_and_not1_b32 exec_lo, exec_lo, s8
	s_cbranch_execnz .LBB137_5
.LBB137_6:
	s_endpgm
	.section	.rodata,"a",@progbits
	.p2align	6, 0x0
	.amdhsa_kernel _ZN9rocsparseL33bsr2csr_block_per_row_8_32_kernelILj1024ELj8EfilEEv20rocsparse_direction_T3_S2_21rocsparse_index_base_PKT1_PKT2_PKS2_S2_S3_PS4_PS7_PS2_
		.amdhsa_group_segment_fixed_size 0
		.amdhsa_private_segment_fixed_size 0
		.amdhsa_kernarg_size 96
		.amdhsa_user_sgpr_count 2
		.amdhsa_user_sgpr_dispatch_ptr 0
		.amdhsa_user_sgpr_queue_ptr 0
		.amdhsa_user_sgpr_kernarg_segment_ptr 1
		.amdhsa_user_sgpr_dispatch_id 0
		.amdhsa_user_sgpr_kernarg_preload_length 0
		.amdhsa_user_sgpr_kernarg_preload_offset 0
		.amdhsa_user_sgpr_private_segment_size 0
		.amdhsa_wavefront_size32 1
		.amdhsa_uses_dynamic_stack 0
		.amdhsa_enable_private_segment 0
		.amdhsa_system_sgpr_workgroup_id_x 1
		.amdhsa_system_sgpr_workgroup_id_y 0
		.amdhsa_system_sgpr_workgroup_id_z 0
		.amdhsa_system_sgpr_workgroup_info 0
		.amdhsa_system_vgpr_workitem_id 0
		.amdhsa_next_free_vgpr 16
		.amdhsa_next_free_sgpr 20
		.amdhsa_named_barrier_count 0
		.amdhsa_reserve_vcc 1
		.amdhsa_float_round_mode_32 0
		.amdhsa_float_round_mode_16_64 0
		.amdhsa_float_denorm_mode_32 3
		.amdhsa_float_denorm_mode_16_64 3
		.amdhsa_fp16_overflow 0
		.amdhsa_memory_ordered 1
		.amdhsa_forward_progress 1
		.amdhsa_inst_pref_size 6
		.amdhsa_round_robin_scheduling 0
		.amdhsa_exception_fp_ieee_invalid_op 0
		.amdhsa_exception_fp_denorm_src 0
		.amdhsa_exception_fp_ieee_div_zero 0
		.amdhsa_exception_fp_ieee_overflow 0
		.amdhsa_exception_fp_ieee_underflow 0
		.amdhsa_exception_fp_ieee_inexact 0
		.amdhsa_exception_int_div_zero 0
	.end_amdhsa_kernel
	.section	.text._ZN9rocsparseL33bsr2csr_block_per_row_8_32_kernelILj1024ELj8EfilEEv20rocsparse_direction_T3_S2_21rocsparse_index_base_PKT1_PKT2_PKS2_S2_S3_PS4_PS7_PS2_,"axG",@progbits,_ZN9rocsparseL33bsr2csr_block_per_row_8_32_kernelILj1024ELj8EfilEEv20rocsparse_direction_T3_S2_21rocsparse_index_base_PKT1_PKT2_PKS2_S2_S3_PS4_PS7_PS2_,comdat
.Lfunc_end137:
	.size	_ZN9rocsparseL33bsr2csr_block_per_row_8_32_kernelILj1024ELj8EfilEEv20rocsparse_direction_T3_S2_21rocsparse_index_base_PKT1_PKT2_PKS2_S2_S3_PS4_PS7_PS2_, .Lfunc_end137-_ZN9rocsparseL33bsr2csr_block_per_row_8_32_kernelILj1024ELj8EfilEEv20rocsparse_direction_T3_S2_21rocsparse_index_base_PKT1_PKT2_PKS2_S2_S3_PS4_PS7_PS2_
                                        ; -- End function
	.set _ZN9rocsparseL33bsr2csr_block_per_row_8_32_kernelILj1024ELj8EfilEEv20rocsparse_direction_T3_S2_21rocsparse_index_base_PKT1_PKT2_PKS2_S2_S3_PS4_PS7_PS2_.num_vgpr, 16
	.set _ZN9rocsparseL33bsr2csr_block_per_row_8_32_kernelILj1024ELj8EfilEEv20rocsparse_direction_T3_S2_21rocsparse_index_base_PKT1_PKT2_PKS2_S2_S3_PS4_PS7_PS2_.num_agpr, 0
	.set _ZN9rocsparseL33bsr2csr_block_per_row_8_32_kernelILj1024ELj8EfilEEv20rocsparse_direction_T3_S2_21rocsparse_index_base_PKT1_PKT2_PKS2_S2_S3_PS4_PS7_PS2_.numbered_sgpr, 20
	.set _ZN9rocsparseL33bsr2csr_block_per_row_8_32_kernelILj1024ELj8EfilEEv20rocsparse_direction_T3_S2_21rocsparse_index_base_PKT1_PKT2_PKS2_S2_S3_PS4_PS7_PS2_.num_named_barrier, 0
	.set _ZN9rocsparseL33bsr2csr_block_per_row_8_32_kernelILj1024ELj8EfilEEv20rocsparse_direction_T3_S2_21rocsparse_index_base_PKT1_PKT2_PKS2_S2_S3_PS4_PS7_PS2_.private_seg_size, 0
	.set _ZN9rocsparseL33bsr2csr_block_per_row_8_32_kernelILj1024ELj8EfilEEv20rocsparse_direction_T3_S2_21rocsparse_index_base_PKT1_PKT2_PKS2_S2_S3_PS4_PS7_PS2_.uses_vcc, 1
	.set _ZN9rocsparseL33bsr2csr_block_per_row_8_32_kernelILj1024ELj8EfilEEv20rocsparse_direction_T3_S2_21rocsparse_index_base_PKT1_PKT2_PKS2_S2_S3_PS4_PS7_PS2_.uses_flat_scratch, 0
	.set _ZN9rocsparseL33bsr2csr_block_per_row_8_32_kernelILj1024ELj8EfilEEv20rocsparse_direction_T3_S2_21rocsparse_index_base_PKT1_PKT2_PKS2_S2_S3_PS4_PS7_PS2_.has_dyn_sized_stack, 0
	.set _ZN9rocsparseL33bsr2csr_block_per_row_8_32_kernelILj1024ELj8EfilEEv20rocsparse_direction_T3_S2_21rocsparse_index_base_PKT1_PKT2_PKS2_S2_S3_PS4_PS7_PS2_.has_recursion, 0
	.set _ZN9rocsparseL33bsr2csr_block_per_row_8_32_kernelILj1024ELj8EfilEEv20rocsparse_direction_T3_S2_21rocsparse_index_base_PKT1_PKT2_PKS2_S2_S3_PS4_PS7_PS2_.has_indirect_call, 0
	.section	.AMDGPU.csdata,"",@progbits
; Kernel info:
; codeLenInByte = 692
; TotalNumSgprs: 22
; NumVgprs: 16
; ScratchSize: 0
; MemoryBound: 0
; FloatMode: 240
; IeeeMode: 1
; LDSByteSize: 0 bytes/workgroup (compile time only)
; SGPRBlocks: 0
; VGPRBlocks: 0
; NumSGPRsForWavesPerEU: 22
; NumVGPRsForWavesPerEU: 16
; NamedBarCnt: 0
; Occupancy: 16
; WaveLimiterHint : 0
; COMPUTE_PGM_RSRC2:SCRATCH_EN: 0
; COMPUTE_PGM_RSRC2:USER_SGPR: 2
; COMPUTE_PGM_RSRC2:TRAP_HANDLER: 0
; COMPUTE_PGM_RSRC2:TGID_X_EN: 1
; COMPUTE_PGM_RSRC2:TGID_Y_EN: 0
; COMPUTE_PGM_RSRC2:TGID_Z_EN: 0
; COMPUTE_PGM_RSRC2:TIDIG_COMP_CNT: 0
	.section	.text._ZN9rocsparseL33bsr2csr_block_per_row_8_32_kernelILj1024ELj16EfilEEv20rocsparse_direction_T3_S2_21rocsparse_index_base_PKT1_PKT2_PKS2_S2_S3_PS4_PS7_PS2_,"axG",@progbits,_ZN9rocsparseL33bsr2csr_block_per_row_8_32_kernelILj1024ELj16EfilEEv20rocsparse_direction_T3_S2_21rocsparse_index_base_PKT1_PKT2_PKS2_S2_S3_PS4_PS7_PS2_,comdat
	.globl	_ZN9rocsparseL33bsr2csr_block_per_row_8_32_kernelILj1024ELj16EfilEEv20rocsparse_direction_T3_S2_21rocsparse_index_base_PKT1_PKT2_PKS2_S2_S3_PS4_PS7_PS2_ ; -- Begin function _ZN9rocsparseL33bsr2csr_block_per_row_8_32_kernelILj1024ELj16EfilEEv20rocsparse_direction_T3_S2_21rocsparse_index_base_PKT1_PKT2_PKS2_S2_S3_PS4_PS7_PS2_
	.p2align	8
	.type	_ZN9rocsparseL33bsr2csr_block_per_row_8_32_kernelILj1024ELj16EfilEEv20rocsparse_direction_T3_S2_21rocsparse_index_base_PKT1_PKT2_PKS2_S2_S3_PS4_PS7_PS2_,@function
_ZN9rocsparseL33bsr2csr_block_per_row_8_32_kernelILj1024ELj16EfilEEv20rocsparse_direction_T3_S2_21rocsparse_index_base_PKT1_PKT2_PKS2_S2_S3_PS4_PS7_PS2_: ; @_ZN9rocsparseL33bsr2csr_block_per_row_8_32_kernelILj1024ELj16EfilEEv20rocsparse_direction_T3_S2_21rocsparse_index_base_PKT1_PKT2_PKS2_S2_S3_PS4_PS7_PS2_
; %bb.0:
	s_clause 0x1
	s_load_b32 s8, s[0:1], 0x40
	s_load_b64 s[10:11], s[0:1], 0x50
	s_bfe_u32 s2, ttmp6, 0x4000c
	s_and_b32 s3, ttmp6, 15
	s_add_co_i32 s2, s2, 1
	s_getreg_b32 s4, hwreg(HW_REG_IB_STS2, 6, 4)
	s_mul_i32 s2, ttmp9, s2
	s_mov_b32 s13, 0
	s_add_co_i32 s3, s3, s2
	s_cmp_eq_u32 s4, 0
	s_mov_b32 s2, exec_lo
	s_cselect_b32 s12, ttmp9, s3
	s_delay_alu instid0(SALU_CYCLE_1) | instskip(NEXT) | instid1(VALU_DEP_1)
	v_or_b32_e32 v1, s12, v0
	v_cmpx_eq_u32_e32 0, v1
	s_cbranch_execz .LBB138_2
; %bb.1:
	s_wait_kmcnt 0x0
	v_dual_mov_b32 v1, 0 :: v_dual_mov_b32 v2, s8
	global_store_b32 v1, v2, s[10:11]
.LBB138_2:
	s_wait_xcnt 0x0
	s_or_b32 exec_lo, exec_lo, s2
	v_dual_mov_b32 v3, 0 :: v_dual_bitop2_b32 v2, 15, v0 bitop3:0x40
	v_bfe_u32 v4, v0, 4, 4
	s_load_b64 s[2:3], s[0:1], 0x38
	s_mov_b32 s4, exec_lo
	s_delay_alu instid0(VALU_DEP_2) | instskip(NEXT) | instid1(VALU_DEP_1)
	v_mov_b32_e32 v5, v3
	v_max_i64 v[6:7], v[4:5], v[2:3]
	s_wait_kmcnt 0x0
	s_delay_alu instid0(VALU_DEP_1)
	v_cmpx_gt_i64_e64 s[2:3], v[6:7]
	s_cbranch_execz .LBB138_6
; %bb.3:
	s_clause 0x1
	s_load_b64 s[6:7], s[0:1], 0x28
	s_load_b32 s4, s[0:1], 0x18
	s_lshl_b64 s[14:15], s[12:13], 2
	v_lshrrev_b32_e32 v1, 8, v0
	s_mul_u64 s[12:13], s[2:3], s[12:13]
	s_delay_alu instid0(SALU_CYCLE_1) | instskip(NEXT) | instid1(SALU_CYCLE_1)
	s_lshl_b64 s[12:13], s[12:13], 2
	s_add_nc_u64 s[10:11], s[10:11], s[12:13]
	s_wait_kmcnt 0x0
	s_add_nc_u64 s[6:7], s[6:7], s[14:15]
	s_load_b64 s[14:15], s[6:7], 0x0
	s_wait_xcnt 0x0
	s_mul_u64 s[6:7], s[2:3], s[2:3]
	s_wait_kmcnt 0x0
	s_sub_co_i32 s9, s14, s4
	s_sub_co_i32 s16, s15, s4
	s_mul_i32 s15, s6, s9
	s_sub_co_i32 s5, s16, s9
	v_add_nc_u32_e32 v0, s9, v1
	s_mul_i32 s14, s2, s5
	s_delay_alu instid0(SALU_CYCLE_1) | instskip(NEXT) | instid1(SALU_CYCLE_1)
	s_add_co_i32 s17, s8, s14
	s_add_co_i32 s17, s17, s15
	s_delay_alu instid0(VALU_DEP_1)
	v_cmp_gt_i32_e32 vcc_lo, s16, v0
	v_mad_u32 v6, s14, v4, s17
	global_store_b32 v4, v6, s[10:11] offset:4 scale_offset
	s_wait_xcnt 0x0
	s_and_b32 exec_lo, exec_lo, vcc_lo
	s_cbranch_execz .LBB138_6
; %bb.4:
	v_mul_u64_e32 v[6:7], s[2:3], v[2:3]
	v_mul_u64_e32 v[8:9], s[2:3], v[4:5]
	s_clause 0x2
	s_load_b64 s[10:11], s[0:1], 0x48
	s_load_b64 s[18:19], s[0:1], 0x20
	s_load_b32 s17, s[0:1], 0x0
	v_mad_u32 v1, s2, s9, v1
	v_dual_mov_b32 v11, 0 :: v_dual_lshlrev_b32 v10, 2, v4
	s_clause 0x1
	s_load_b64 s[12:13], s[0:1], 0x30
	s_load_b64 s[14:15], s[0:1], 0x58
	s_delay_alu instid0(VALU_DEP_2) | instskip(SKIP_1) | instid1(SALU_CYCLE_1)
	v_mad_u32 v1, s5, v4, v1
	s_mov_b32 s5, 0
	s_mov_b32 s9, s5
	s_wait_xcnt 0x0
	s_mov_b32 s0, s5
	s_wait_kmcnt 0x0
	s_cmp_eq_u32 s17, 0
	s_cselect_b32 vcc_lo, -1, 0
	s_lshl_b32 s1, s2, 2
	v_lshl_add_u64 v[6:7], v[6:7], 2, s[18:19]
	v_lshl_add_u64 v[4:5], v[8:9], 2, s[18:19]
	s_delay_alu instid0(VALU_DEP_2) | instskip(SKIP_1) | instid1(VALU_DEP_1)
	v_add_nc_u64_e32 v[6:7], v[6:7], v[10:11]
	v_lshlrev_b32_e32 v10, 2, v2
	v_add_nc_u64_e32 v[8:9], v[4:5], v[10:11]
	v_mad_u32 v5, s2, v1, v2
	v_add_nc_u64_e32 v[2:3], s[8:9], v[2:3]
	s_mov_b32 s8, s5
	s_delay_alu instid0(VALU_DEP_3) | instskip(NEXT) | instid1(VALU_DEP_4)
	v_dual_mov_b32 v4, v11 :: v_dual_cndmask_b32 v6, v6, v8, vcc_lo
	v_cndmask_b32_e32 v7, v7, v9, vcc_lo
.LBB138_5:                              ; =>This Inner Loop Header: Depth=1
	v_ashrrev_i32_e32 v1, 31, v0
	global_load_b64 v[8:9], v0, s[12:13] scale_offset
	v_ashrrev_i64 v[12:13], 29, v[4:5]
	v_ashrrev_i64 v[14:15], 30, v[4:5]
	v_add_nc_u64_e32 v[4:5], s[0:1], v[4:5]
	v_mul_u64_e32 v[10:11], s[6:7], v[0:1]
	s_wait_xcnt 0x0
	v_add_nc_u32_e32 v0, 4, v0
	s_delay_alu instid0(VALU_DEP_1) | instskip(SKIP_1) | instid1(VALU_DEP_3)
	v_cmp_le_i32_e32 vcc_lo, s16, v0
	s_or_b32 s8, vcc_lo, s8
	v_lshl_add_u64 v[10:11], v[10:11], 2, v[6:7]
	global_load_b32 v1, v[10:11], off
	s_wait_loadcnt 0x1
	v_sub_nc_u64_e64 v[8:9], v[8:9], s[4:5]
	s_wait_xcnt 0x0
	s_delay_alu instid0(VALU_DEP_1) | instskip(NEXT) | instid1(VALU_DEP_1)
	v_mad_nc_u64_u32 v[10:11], v8, s2, v[2:3]
	v_mad_u32 v9, v9, s2, v11
	s_delay_alu instid0(VALU_DEP_1)
	v_mad_u32 v11, v8, s3, v9
	v_add_nc_u64_e32 v[8:9], s[14:15], v[12:13]
	v_add_nc_u64_e32 v[12:13], s[10:11], v[14:15]
	global_store_b64 v[8:9], v[10:11], off
	s_wait_loadcnt 0x0
	global_store_b32 v[12:13], v1, off
	s_wait_xcnt 0x0
	s_and_not1_b32 exec_lo, exec_lo, s8
	s_cbranch_execnz .LBB138_5
.LBB138_6:
	s_endpgm
	.section	.rodata,"a",@progbits
	.p2align	6, 0x0
	.amdhsa_kernel _ZN9rocsparseL33bsr2csr_block_per_row_8_32_kernelILj1024ELj16EfilEEv20rocsparse_direction_T3_S2_21rocsparse_index_base_PKT1_PKT2_PKS2_S2_S3_PS4_PS7_PS2_
		.amdhsa_group_segment_fixed_size 0
		.amdhsa_private_segment_fixed_size 0
		.amdhsa_kernarg_size 96
		.amdhsa_user_sgpr_count 2
		.amdhsa_user_sgpr_dispatch_ptr 0
		.amdhsa_user_sgpr_queue_ptr 0
		.amdhsa_user_sgpr_kernarg_segment_ptr 1
		.amdhsa_user_sgpr_dispatch_id 0
		.amdhsa_user_sgpr_kernarg_preload_length 0
		.amdhsa_user_sgpr_kernarg_preload_offset 0
		.amdhsa_user_sgpr_private_segment_size 0
		.amdhsa_wavefront_size32 1
		.amdhsa_uses_dynamic_stack 0
		.amdhsa_enable_private_segment 0
		.amdhsa_system_sgpr_workgroup_id_x 1
		.amdhsa_system_sgpr_workgroup_id_y 0
		.amdhsa_system_sgpr_workgroup_id_z 0
		.amdhsa_system_sgpr_workgroup_info 0
		.amdhsa_system_vgpr_workitem_id 0
		.amdhsa_next_free_vgpr 16
		.amdhsa_next_free_sgpr 20
		.amdhsa_named_barrier_count 0
		.amdhsa_reserve_vcc 1
		.amdhsa_float_round_mode_32 0
		.amdhsa_float_round_mode_16_64 0
		.amdhsa_float_denorm_mode_32 3
		.amdhsa_float_denorm_mode_16_64 3
		.amdhsa_fp16_overflow 0
		.amdhsa_memory_ordered 1
		.amdhsa_forward_progress 1
		.amdhsa_inst_pref_size 6
		.amdhsa_round_robin_scheduling 0
		.amdhsa_exception_fp_ieee_invalid_op 0
		.amdhsa_exception_fp_denorm_src 0
		.amdhsa_exception_fp_ieee_div_zero 0
		.amdhsa_exception_fp_ieee_overflow 0
		.amdhsa_exception_fp_ieee_underflow 0
		.amdhsa_exception_fp_ieee_inexact 0
		.amdhsa_exception_int_div_zero 0
	.end_amdhsa_kernel
	.section	.text._ZN9rocsparseL33bsr2csr_block_per_row_8_32_kernelILj1024ELj16EfilEEv20rocsparse_direction_T3_S2_21rocsparse_index_base_PKT1_PKT2_PKS2_S2_S3_PS4_PS7_PS2_,"axG",@progbits,_ZN9rocsparseL33bsr2csr_block_per_row_8_32_kernelILj1024ELj16EfilEEv20rocsparse_direction_T3_S2_21rocsparse_index_base_PKT1_PKT2_PKS2_S2_S3_PS4_PS7_PS2_,comdat
.Lfunc_end138:
	.size	_ZN9rocsparseL33bsr2csr_block_per_row_8_32_kernelILj1024ELj16EfilEEv20rocsparse_direction_T3_S2_21rocsparse_index_base_PKT1_PKT2_PKS2_S2_S3_PS4_PS7_PS2_, .Lfunc_end138-_ZN9rocsparseL33bsr2csr_block_per_row_8_32_kernelILj1024ELj16EfilEEv20rocsparse_direction_T3_S2_21rocsparse_index_base_PKT1_PKT2_PKS2_S2_S3_PS4_PS7_PS2_
                                        ; -- End function
	.set _ZN9rocsparseL33bsr2csr_block_per_row_8_32_kernelILj1024ELj16EfilEEv20rocsparse_direction_T3_S2_21rocsparse_index_base_PKT1_PKT2_PKS2_S2_S3_PS4_PS7_PS2_.num_vgpr, 16
	.set _ZN9rocsparseL33bsr2csr_block_per_row_8_32_kernelILj1024ELj16EfilEEv20rocsparse_direction_T3_S2_21rocsparse_index_base_PKT1_PKT2_PKS2_S2_S3_PS4_PS7_PS2_.num_agpr, 0
	.set _ZN9rocsparseL33bsr2csr_block_per_row_8_32_kernelILj1024ELj16EfilEEv20rocsparse_direction_T3_S2_21rocsparse_index_base_PKT1_PKT2_PKS2_S2_S3_PS4_PS7_PS2_.numbered_sgpr, 20
	.set _ZN9rocsparseL33bsr2csr_block_per_row_8_32_kernelILj1024ELj16EfilEEv20rocsparse_direction_T3_S2_21rocsparse_index_base_PKT1_PKT2_PKS2_S2_S3_PS4_PS7_PS2_.num_named_barrier, 0
	.set _ZN9rocsparseL33bsr2csr_block_per_row_8_32_kernelILj1024ELj16EfilEEv20rocsparse_direction_T3_S2_21rocsparse_index_base_PKT1_PKT2_PKS2_S2_S3_PS4_PS7_PS2_.private_seg_size, 0
	.set _ZN9rocsparseL33bsr2csr_block_per_row_8_32_kernelILj1024ELj16EfilEEv20rocsparse_direction_T3_S2_21rocsparse_index_base_PKT1_PKT2_PKS2_S2_S3_PS4_PS7_PS2_.uses_vcc, 1
	.set _ZN9rocsparseL33bsr2csr_block_per_row_8_32_kernelILj1024ELj16EfilEEv20rocsparse_direction_T3_S2_21rocsparse_index_base_PKT1_PKT2_PKS2_S2_S3_PS4_PS7_PS2_.uses_flat_scratch, 0
	.set _ZN9rocsparseL33bsr2csr_block_per_row_8_32_kernelILj1024ELj16EfilEEv20rocsparse_direction_T3_S2_21rocsparse_index_base_PKT1_PKT2_PKS2_S2_S3_PS4_PS7_PS2_.has_dyn_sized_stack, 0
	.set _ZN9rocsparseL33bsr2csr_block_per_row_8_32_kernelILj1024ELj16EfilEEv20rocsparse_direction_T3_S2_21rocsparse_index_base_PKT1_PKT2_PKS2_S2_S3_PS4_PS7_PS2_.has_recursion, 0
	.set _ZN9rocsparseL33bsr2csr_block_per_row_8_32_kernelILj1024ELj16EfilEEv20rocsparse_direction_T3_S2_21rocsparse_index_base_PKT1_PKT2_PKS2_S2_S3_PS4_PS7_PS2_.has_indirect_call, 0
	.section	.AMDGPU.csdata,"",@progbits
; Kernel info:
; codeLenInByte = 692
; TotalNumSgprs: 22
; NumVgprs: 16
; ScratchSize: 0
; MemoryBound: 0
; FloatMode: 240
; IeeeMode: 1
; LDSByteSize: 0 bytes/workgroup (compile time only)
; SGPRBlocks: 0
; VGPRBlocks: 0
; NumSGPRsForWavesPerEU: 22
; NumVGPRsForWavesPerEU: 16
; NamedBarCnt: 0
; Occupancy: 16
; WaveLimiterHint : 0
; COMPUTE_PGM_RSRC2:SCRATCH_EN: 0
; COMPUTE_PGM_RSRC2:USER_SGPR: 2
; COMPUTE_PGM_RSRC2:TRAP_HANDLER: 0
; COMPUTE_PGM_RSRC2:TGID_X_EN: 1
; COMPUTE_PGM_RSRC2:TGID_Y_EN: 0
; COMPUTE_PGM_RSRC2:TGID_Z_EN: 0
; COMPUTE_PGM_RSRC2:TIDIG_COMP_CNT: 0
	.section	.text._ZN9rocsparseL33bsr2csr_block_per_row_8_32_kernelILj1024ELj32EfilEEv20rocsparse_direction_T3_S2_21rocsparse_index_base_PKT1_PKT2_PKS2_S2_S3_PS4_PS7_PS2_,"axG",@progbits,_ZN9rocsparseL33bsr2csr_block_per_row_8_32_kernelILj1024ELj32EfilEEv20rocsparse_direction_T3_S2_21rocsparse_index_base_PKT1_PKT2_PKS2_S2_S3_PS4_PS7_PS2_,comdat
	.globl	_ZN9rocsparseL33bsr2csr_block_per_row_8_32_kernelILj1024ELj32EfilEEv20rocsparse_direction_T3_S2_21rocsparse_index_base_PKT1_PKT2_PKS2_S2_S3_PS4_PS7_PS2_ ; -- Begin function _ZN9rocsparseL33bsr2csr_block_per_row_8_32_kernelILj1024ELj32EfilEEv20rocsparse_direction_T3_S2_21rocsparse_index_base_PKT1_PKT2_PKS2_S2_S3_PS4_PS7_PS2_
	.p2align	8
	.type	_ZN9rocsparseL33bsr2csr_block_per_row_8_32_kernelILj1024ELj32EfilEEv20rocsparse_direction_T3_S2_21rocsparse_index_base_PKT1_PKT2_PKS2_S2_S3_PS4_PS7_PS2_,@function
_ZN9rocsparseL33bsr2csr_block_per_row_8_32_kernelILj1024ELj32EfilEEv20rocsparse_direction_T3_S2_21rocsparse_index_base_PKT1_PKT2_PKS2_S2_S3_PS4_PS7_PS2_: ; @_ZN9rocsparseL33bsr2csr_block_per_row_8_32_kernelILj1024ELj32EfilEEv20rocsparse_direction_T3_S2_21rocsparse_index_base_PKT1_PKT2_PKS2_S2_S3_PS4_PS7_PS2_
; %bb.0:
	s_clause 0x1
	s_load_b32 s8, s[0:1], 0x40
	s_load_b64 s[10:11], s[0:1], 0x50
	s_bfe_u32 s2, ttmp6, 0x4000c
	s_and_b32 s3, ttmp6, 15
	s_add_co_i32 s2, s2, 1
	s_getreg_b32 s4, hwreg(HW_REG_IB_STS2, 6, 4)
	s_mul_i32 s2, ttmp9, s2
	s_mov_b32 s15, 0
	s_add_co_i32 s3, s3, s2
	s_cmp_eq_u32 s4, 0
	s_mov_b32 s2, exec_lo
	s_cselect_b32 s14, ttmp9, s3
	s_delay_alu instid0(SALU_CYCLE_1) | instskip(NEXT) | instid1(VALU_DEP_1)
	v_or_b32_e32 v1, s14, v0
	v_cmpx_eq_u32_e32 0, v1
	s_cbranch_execz .LBB139_2
; %bb.1:
	s_wait_kmcnt 0x0
	v_dual_mov_b32 v1, 0 :: v_dual_mov_b32 v2, s8
	global_store_b32 v1, v2, s[10:11]
.LBB139_2:
	s_wait_xcnt 0x0
	s_or_b32 exec_lo, exec_lo, s2
	v_dual_mov_b32 v3, 0 :: v_dual_bitop2_b32 v2, 31, v0 bitop3:0x40
	v_lshrrev_b32_e32 v0, 5, v0
	s_load_b64 s[2:3], s[0:1], 0x38
	s_mov_b32 s4, exec_lo
	s_delay_alu instid0(VALU_DEP_2) | instskip(NEXT) | instid1(VALU_DEP_1)
	v_mov_b32_e32 v1, v3
	v_max_i64 v[4:5], v[0:1], v[2:3]
	s_wait_kmcnt 0x0
	s_delay_alu instid0(VALU_DEP_1)
	v_cmpx_gt_i64_e64 s[2:3], v[4:5]
	s_cbranch_execz .LBB139_6
; %bb.3:
	s_clause 0x1
	s_load_b64 s[6:7], s[0:1], 0x28
	s_load_b32 s4, s[0:1], 0x18
	s_lshl_b64 s[12:13], s[14:15], 2
	s_mul_u64 s[14:15], s[2:3], s[14:15]
	s_delay_alu instid0(SALU_CYCLE_1) | instskip(NEXT) | instid1(SALU_CYCLE_1)
	s_lshl_b64 s[14:15], s[14:15], 2
	s_add_nc_u64 s[10:11], s[10:11], s[14:15]
	s_wait_kmcnt 0x0
	s_add_nc_u64 s[6:7], s[6:7], s[12:13]
	s_mul_u64 s[12:13], s[2:3], s[2:3]
	s_load_b64 s[18:19], s[6:7], 0x0
	s_wait_kmcnt 0x0
	s_sub_co_i32 s6, s18, s4
	s_sub_co_i32 s16, s19, s4
	s_mul_i32 s9, s12, s6
	s_sub_co_i32 s5, s16, s6
	s_delay_alu instid0(SALU_CYCLE_1) | instskip(NEXT) | instid1(SALU_CYCLE_1)
	s_mul_i32 s7, s2, s5
	s_add_co_i32 s17, s8, s7
	s_delay_alu instid0(SALU_CYCLE_1)
	s_add_co_i32 s17, s17, s9
	s_cmp_ge_i32 s18, s19
	v_mad_u32 v4, s7, v0, s17
	global_store_b32 v0, v4, s[10:11] offset:4 scale_offset
	s_cbranch_scc1 .LBB139_6
; %bb.4:
	s_wait_xcnt 0x0
	v_mul_u64_e32 v[4:5], s[2:3], v[2:3]
	v_mul_u64_e32 v[6:7], s[2:3], v[0:1]
	s_clause 0x3
	s_load_b64 s[14:15], s[0:1], 0x20
	s_load_b64 s[18:19], s[0:1], 0x30
	;; [unrolled: 1-line block ×3, first 2 shown]
	s_load_b32 s7, s[0:1], 0x0
	v_mul_lo_u32 v10, v0, s5
	v_dual_mov_b32 v9, 0 :: v_dual_lshlrev_b32 v8, 2, v0
	s_wait_xcnt 0x0
	s_load_b64 s[0:1], s[0:1], 0x58
	s_mov_b32 s5, 0
	s_delay_alu instid0(SALU_CYCLE_1) | instskip(NEXT) | instid1(VALU_DEP_2)
	s_mov_b32 s9, s5
	v_mad_u32 v10, s2, s6, v10
	s_wait_kmcnt 0x0
	s_cmp_eq_u32 s7, 0
	s_cselect_b32 vcc_lo, -1, 0
	s_ashr_i32 s7, s6, 31
	s_delay_alu instid0(SALU_CYCLE_1) | instskip(SKIP_4) | instid1(VALU_DEP_2)
	s_lshl_b64 s[20:21], s[6:7], 3
	v_lshl_add_u64 v[0:1], v[4:5], 2, s[14:15]
	v_lshl_add_u64 v[4:5], v[6:7], 2, s[14:15]
	s_mul_u64 s[14:15], s[12:13], s[6:7]
	s_lshl_b64 s[12:13], s[12:13], 2
	v_add_nc_u64_e32 v[6:7], v[0:1], v[8:9]
	v_lshlrev_b32_e32 v8, 2, v2
	v_add_nc_u64_e32 v[0:1], s[8:9], v[2:3]
	v_mad_u32 v3, s2, v10, v2
	s_mov_b32 s8, s5
	s_mov_b32 s9, s2
	v_add_nc_u64_e32 v[4:5], v[4:5], v[8:9]
	s_delay_alu instid0(VALU_DEP_1) | instskip(NEXT) | instid1(VALU_DEP_2)
	v_dual_mov_b32 v2, v9 :: v_dual_cndmask_b32 v4, v6, v4, vcc_lo
	v_cndmask_b32_e32 v5, v7, v5, vcc_lo
	s_delay_alu instid0(VALU_DEP_1)
	v_lshl_add_u64 v[4:5], s[14:15], 2, v[4:5]
	s_add_nc_u64 s[14:15], s[18:19], s[20:21]
.LBB139_5:                              ; =>This Inner Loop Header: Depth=1
	global_load_b32 v12, v[4:5], off
	s_load_b64 s[18:19], s[14:15], 0x0
	v_ashrrev_i64 v[6:7], 29, v[2:3]
	v_ashrrev_i64 v[10:11], 30, v[2:3]
	v_add_nc_u64_e32 v[2:3], s[8:9], v[2:3]
	v_add_nc_u64_e32 v[4:5], s[12:13], v[4:5]
	s_add_co_i32 s6, s6, 1
	s_wait_xcnt 0x0
	s_add_nc_u64 s[14:15], s[14:15], 8
	s_cmp_lt_i32 s6, s16
	v_add_nc_u64_e32 v[6:7], s[0:1], v[6:7]
	v_add_nc_u64_e32 v[10:11], s[10:11], v[10:11]
	s_wait_kmcnt 0x0
	s_sub_nc_u64 s[18:19], s[18:19], s[4:5]
	s_delay_alu instid0(SALU_CYCLE_1)
	v_mad_nc_u64_u32 v[8:9], s18, s2, v[0:1]
	s_mul_i32 s7, s19, s2
	s_mul_i32 s17, s18, s3
	s_delay_alu instid0(VALU_DEP_1) | instid1(SALU_CYCLE_1)
	v_add3_u32 v9, s17, s7, v9
	global_store_b64 v[6:7], v[8:9], off
	s_wait_loadcnt 0x0
	global_store_b32 v[10:11], v12, off
	s_cbranch_scc1 .LBB139_5
.LBB139_6:
	s_endpgm
	.section	.rodata,"a",@progbits
	.p2align	6, 0x0
	.amdhsa_kernel _ZN9rocsparseL33bsr2csr_block_per_row_8_32_kernelILj1024ELj32EfilEEv20rocsparse_direction_T3_S2_21rocsparse_index_base_PKT1_PKT2_PKS2_S2_S3_PS4_PS7_PS2_
		.amdhsa_group_segment_fixed_size 0
		.amdhsa_private_segment_fixed_size 0
		.amdhsa_kernarg_size 96
		.amdhsa_user_sgpr_count 2
		.amdhsa_user_sgpr_dispatch_ptr 0
		.amdhsa_user_sgpr_queue_ptr 0
		.amdhsa_user_sgpr_kernarg_segment_ptr 1
		.amdhsa_user_sgpr_dispatch_id 0
		.amdhsa_user_sgpr_kernarg_preload_length 0
		.amdhsa_user_sgpr_kernarg_preload_offset 0
		.amdhsa_user_sgpr_private_segment_size 0
		.amdhsa_wavefront_size32 1
		.amdhsa_uses_dynamic_stack 0
		.amdhsa_enable_private_segment 0
		.amdhsa_system_sgpr_workgroup_id_x 1
		.amdhsa_system_sgpr_workgroup_id_y 0
		.amdhsa_system_sgpr_workgroup_id_z 0
		.amdhsa_system_sgpr_workgroup_info 0
		.amdhsa_system_vgpr_workitem_id 0
		.amdhsa_next_free_vgpr 13
		.amdhsa_next_free_sgpr 22
		.amdhsa_named_barrier_count 0
		.amdhsa_reserve_vcc 1
		.amdhsa_float_round_mode_32 0
		.amdhsa_float_round_mode_16_64 0
		.amdhsa_float_denorm_mode_32 3
		.amdhsa_float_denorm_mode_16_64 3
		.amdhsa_fp16_overflow 0
		.amdhsa_memory_ordered 1
		.amdhsa_forward_progress 1
		.amdhsa_inst_pref_size 6
		.amdhsa_round_robin_scheduling 0
		.amdhsa_exception_fp_ieee_invalid_op 0
		.amdhsa_exception_fp_denorm_src 0
		.amdhsa_exception_fp_ieee_div_zero 0
		.amdhsa_exception_fp_ieee_overflow 0
		.amdhsa_exception_fp_ieee_underflow 0
		.amdhsa_exception_fp_ieee_inexact 0
		.amdhsa_exception_int_div_zero 0
	.end_amdhsa_kernel
	.section	.text._ZN9rocsparseL33bsr2csr_block_per_row_8_32_kernelILj1024ELj32EfilEEv20rocsparse_direction_T3_S2_21rocsparse_index_base_PKT1_PKT2_PKS2_S2_S3_PS4_PS7_PS2_,"axG",@progbits,_ZN9rocsparseL33bsr2csr_block_per_row_8_32_kernelILj1024ELj32EfilEEv20rocsparse_direction_T3_S2_21rocsparse_index_base_PKT1_PKT2_PKS2_S2_S3_PS4_PS7_PS2_,comdat
.Lfunc_end139:
	.size	_ZN9rocsparseL33bsr2csr_block_per_row_8_32_kernelILj1024ELj32EfilEEv20rocsparse_direction_T3_S2_21rocsparse_index_base_PKT1_PKT2_PKS2_S2_S3_PS4_PS7_PS2_, .Lfunc_end139-_ZN9rocsparseL33bsr2csr_block_per_row_8_32_kernelILj1024ELj32EfilEEv20rocsparse_direction_T3_S2_21rocsparse_index_base_PKT1_PKT2_PKS2_S2_S3_PS4_PS7_PS2_
                                        ; -- End function
	.set _ZN9rocsparseL33bsr2csr_block_per_row_8_32_kernelILj1024ELj32EfilEEv20rocsparse_direction_T3_S2_21rocsparse_index_base_PKT1_PKT2_PKS2_S2_S3_PS4_PS7_PS2_.num_vgpr, 13
	.set _ZN9rocsparseL33bsr2csr_block_per_row_8_32_kernelILj1024ELj32EfilEEv20rocsparse_direction_T3_S2_21rocsparse_index_base_PKT1_PKT2_PKS2_S2_S3_PS4_PS7_PS2_.num_agpr, 0
	.set _ZN9rocsparseL33bsr2csr_block_per_row_8_32_kernelILj1024ELj32EfilEEv20rocsparse_direction_T3_S2_21rocsparse_index_base_PKT1_PKT2_PKS2_S2_S3_PS4_PS7_PS2_.numbered_sgpr, 22
	.set _ZN9rocsparseL33bsr2csr_block_per_row_8_32_kernelILj1024ELj32EfilEEv20rocsparse_direction_T3_S2_21rocsparse_index_base_PKT1_PKT2_PKS2_S2_S3_PS4_PS7_PS2_.num_named_barrier, 0
	.set _ZN9rocsparseL33bsr2csr_block_per_row_8_32_kernelILj1024ELj32EfilEEv20rocsparse_direction_T3_S2_21rocsparse_index_base_PKT1_PKT2_PKS2_S2_S3_PS4_PS7_PS2_.private_seg_size, 0
	.set _ZN9rocsparseL33bsr2csr_block_per_row_8_32_kernelILj1024ELj32EfilEEv20rocsparse_direction_T3_S2_21rocsparse_index_base_PKT1_PKT2_PKS2_S2_S3_PS4_PS7_PS2_.uses_vcc, 1
	.set _ZN9rocsparseL33bsr2csr_block_per_row_8_32_kernelILj1024ELj32EfilEEv20rocsparse_direction_T3_S2_21rocsparse_index_base_PKT1_PKT2_PKS2_S2_S3_PS4_PS7_PS2_.uses_flat_scratch, 0
	.set _ZN9rocsparseL33bsr2csr_block_per_row_8_32_kernelILj1024ELj32EfilEEv20rocsparse_direction_T3_S2_21rocsparse_index_base_PKT1_PKT2_PKS2_S2_S3_PS4_PS7_PS2_.has_dyn_sized_stack, 0
	.set _ZN9rocsparseL33bsr2csr_block_per_row_8_32_kernelILj1024ELj32EfilEEv20rocsparse_direction_T3_S2_21rocsparse_index_base_PKT1_PKT2_PKS2_S2_S3_PS4_PS7_PS2_.has_recursion, 0
	.set _ZN9rocsparseL33bsr2csr_block_per_row_8_32_kernelILj1024ELj32EfilEEv20rocsparse_direction_T3_S2_21rocsparse_index_base_PKT1_PKT2_PKS2_S2_S3_PS4_PS7_PS2_.has_indirect_call, 0
	.section	.AMDGPU.csdata,"",@progbits
; Kernel info:
; codeLenInByte = 660
; TotalNumSgprs: 24
; NumVgprs: 13
; ScratchSize: 0
; MemoryBound: 0
; FloatMode: 240
; IeeeMode: 1
; LDSByteSize: 0 bytes/workgroup (compile time only)
; SGPRBlocks: 0
; VGPRBlocks: 0
; NumSGPRsForWavesPerEU: 24
; NumVGPRsForWavesPerEU: 13
; NamedBarCnt: 0
; Occupancy: 16
; WaveLimiterHint : 0
; COMPUTE_PGM_RSRC2:SCRATCH_EN: 0
; COMPUTE_PGM_RSRC2:USER_SGPR: 2
; COMPUTE_PGM_RSRC2:TRAP_HANDLER: 0
; COMPUTE_PGM_RSRC2:TGID_X_EN: 1
; COMPUTE_PGM_RSRC2:TGID_Y_EN: 0
; COMPUTE_PGM_RSRC2:TGID_Z_EN: 0
; COMPUTE_PGM_RSRC2:TIDIG_COMP_CNT: 0
	.section	.text._ZN9rocsparseL35bsr2csr_block_per_row_33_256_kernelILj1024ELj64ELj32EfilEEv20rocsparse_direction_T4_S2_21rocsparse_index_base_PKT2_PKT3_PKS2_S2_S3_PS4_PS7_PS2_,"axG",@progbits,_ZN9rocsparseL35bsr2csr_block_per_row_33_256_kernelILj1024ELj64ELj32EfilEEv20rocsparse_direction_T4_S2_21rocsparse_index_base_PKT2_PKT3_PKS2_S2_S3_PS4_PS7_PS2_,comdat
	.globl	_ZN9rocsparseL35bsr2csr_block_per_row_33_256_kernelILj1024ELj64ELj32EfilEEv20rocsparse_direction_T4_S2_21rocsparse_index_base_PKT2_PKT3_PKS2_S2_S3_PS4_PS7_PS2_ ; -- Begin function _ZN9rocsparseL35bsr2csr_block_per_row_33_256_kernelILj1024ELj64ELj32EfilEEv20rocsparse_direction_T4_S2_21rocsparse_index_base_PKT2_PKT3_PKS2_S2_S3_PS4_PS7_PS2_
	.p2align	8
	.type	_ZN9rocsparseL35bsr2csr_block_per_row_33_256_kernelILj1024ELj64ELj32EfilEEv20rocsparse_direction_T4_S2_21rocsparse_index_base_PKT2_PKT3_PKS2_S2_S3_PS4_PS7_PS2_,@function
_ZN9rocsparseL35bsr2csr_block_per_row_33_256_kernelILj1024ELj64ELj32EfilEEv20rocsparse_direction_T4_S2_21rocsparse_index_base_PKT2_PKT3_PKS2_S2_S3_PS4_PS7_PS2_: ; @_ZN9rocsparseL35bsr2csr_block_per_row_33_256_kernelILj1024ELj64ELj32EfilEEv20rocsparse_direction_T4_S2_21rocsparse_index_base_PKT2_PKT3_PKS2_S2_S3_PS4_PS7_PS2_
; %bb.0:
	s_load_b64 s[8:9], s[0:1], 0x28
	s_bfe_u32 s2, ttmp6, 0x4000c
	s_and_b32 s3, ttmp6, 15
	s_add_co_i32 s2, s2, 1
	s_getreg_b32 s4, hwreg(HW_REG_IB_STS2, 6, 4)
	s_mul_i32 s2, ttmp9, s2
	s_mov_b32 s5, 0
	s_add_co_i32 s3, s3, s2
	s_cmp_eq_u32 s4, 0
	s_clause 0x1
	s_load_b32 s6, s[0:1], 0x40
	s_load_b64 s[14:15], s[0:1], 0x50
	s_cselect_b32 s2, ttmp9, s3
	s_mov_b32 s3, s5
	v_or_b32_e32 v1, s2, v0
	s_lshl_b64 s[10:11], s[2:3], 2
	s_mov_b32 s4, exec_lo
	s_wait_kmcnt 0x0
	s_add_nc_u64 s[8:9], s[8:9], s[10:11]
	s_load_b64 s[12:13], s[8:9], 0x0
	v_cmpx_eq_u32_e32 0, v1
	s_cbranch_execz .LBB140_2
; %bb.1:
	v_dual_mov_b32 v1, 0 :: v_dual_mov_b32 v2, s6
	global_store_b32 v1, v2, s[14:15]
.LBB140_2:
	s_wait_xcnt 0x0
	s_or_b32 exec_lo, exec_lo, s4
	s_clause 0x1
	s_load_b32 s8, s[0:1], 0x18
	s_load_b64 s[10:11], s[0:1], 0x38
	v_dual_mov_b32 v13, 0 :: v_dual_lshrrev_b32 v12, 5, v0
	s_mov_b32 s17, s5
	s_wait_kmcnt 0x0
	s_sub_co_i32 s4, s12, s8
	s_sub_co_i32 s24, s13, s8
	s_mul_u64 s[26:27], s[10:11], s[2:3]
	v_cmp_gt_i64_e64 s2, s[10:11], v[12:13]
	s_sub_co_i32 s16, s24, s4
	s_mul_u64 s[18:19], s[10:11], s[10:11]
	s_mul_u64 s[22:23], s[10:11], s[16:17]
	s_lshl_b64 s[26:27], s[26:27], 2
	s_mul_u64 s[20:21], s[18:19], s[4:5]
	s_add_co_i32 s5, s6, s22
	s_add_nc_u64 s[14:15], s[14:15], s[26:27]
	s_and_saveexec_b32 s3, s2
	s_cbranch_execz .LBB140_4
; %bb.3:
	s_add_co_i32 s7, s5, s20
	s_delay_alu instid0(SALU_CYCLE_1)
	v_mad_u32 v1, v12, s22, s7
	global_store_b32 v12, v1, s[14:15] offset:4 scale_offset
.LBB140_4:
	s_wait_xcnt 0x0
	s_or_b32 exec_lo, exec_lo, s3
	v_dual_mov_b32 v3, v13 :: v_dual_bitop2_b32 v2, 32, v12 bitop3:0x54
	s_delay_alu instid0(VALU_DEP_1)
	v_cmp_gt_i64_e64 s3, s[10:11], v[2:3]
	s_and_saveexec_b32 s7, s3
	s_cbranch_execz .LBB140_6
; %bb.5:
	s_add_co_i32 s5, s5, s20
	s_delay_alu instid0(SALU_CYCLE_1)
	v_mad_u32 v1, v2, s22, s5
	global_store_b32 v12, v1, s[14:15] offset:132 scale_offset
.LBB140_6:
	s_wait_xcnt 0x0
	s_or_b32 exec_lo, exec_lo, s7
	s_cmp_lt_i32 s12, s13
	s_cbranch_scc0 .LBB140_17
; %bb.7:
	s_clause 0x2
	s_load_b64 s[20:21], s[0:1], 0x30
	s_load_b64 s[12:13], s[0:1], 0x48
	s_load_b32 s5, s[0:1], 0x0
	v_dual_mov_b32 v1, 0 :: v_dual_bitop2_b32 v0, 31, v0 bitop3:0x40
	v_lshlrev_b32_e32 v8, 2, v12
	s_mul_i32 s7, s10, s4
	s_mov_b32 s9, 0
	s_delay_alu instid0(VALU_DEP_2)
	v_dual_mov_b32 v9, v1 :: v_dual_lshlrev_b32 v4, 2, v0
	v_mov_b32_e32 v5, v1
	v_mad_u32 v13, v2, s16, s7
	v_mad_u32 v12, v12, s16, s7
	v_dual_mov_b32 v11, v1 :: v_dual_bitop2_b32 v10, 32, v0 bitop3:0x54
	s_mov_b32 s7, s9
	s_load_b64 s[16:17], s[0:1], 0x58
	v_mov_b32_e32 v14, v1
	s_wait_kmcnt 0x0
	s_cmp_eq_u32 s5, 0
	s_delay_alu instid0(VALU_DEP_4) | instskip(SKIP_2) | instid1(VALU_DEP_4)
	v_mul_lo_u32 v13, s10, v13
	s_cselect_b32 vcc_lo, -1, 0
	s_ashr_i32 s5, s4, 31
	v_mul_lo_u32 v15, s10, v12
	s_mul_u64 s[14:15], s[10:11], s[4:5]
	v_mov_b32_e32 v12, v1
	s_lshl_b64 s[14:15], s[14:15], 2
	s_lshl_b64 s[18:19], s[18:19], 2
	v_add_nc_u64_e32 v[16:17], s[14:15], v[8:9]
	v_add_nc_u64_e32 v[18:19], s[14:15], v[4:5]
	s_load_b64 s[14:15], s[0:1], 0x20
	s_wait_xcnt 0x0
	v_cmp_gt_i64_e64 s0, s[10:11], v[0:1]
	v_cmp_gt_i64_e64 s1, s[10:11], v[10:11]
	s_delay_alu instid0(VALU_DEP_4) | instskip(NEXT) | instid1(VALU_DEP_4)
	v_add_nc_u64_e32 v[20:21], 0x80, v[16:17]
	v_add_nc_u64_e32 v[22:23], 0x80, v[18:19]
	v_mad_nc_u64_u32 v[2:3], s10, v16, v[4:5]
	s_and_b32 s22, s2, s0
	s_and_b32 s23, s2, s1
	;; [unrolled: 1-line block ×4, first 2 shown]
	v_mad_nc_u64_u32 v[4:5], s10, v20, v[4:5]
	v_mad_nc_u64_u32 v[6:7], s10, v22, v[8:9]
	v_mad_nc_u64_u32 v[8:9], s10, v18, v[8:9]
	s_lshl_b64 s[2:3], s[4:5], 3
	s_mov_b32 s0, s9
	s_mov_b32 s1, s10
	v_mad_u32 v3, s11, v16, v3
	v_mov_b32_e32 v16, v1
	s_add_nc_u64 s[2:3], s[20:21], s[2:3]
	v_mad_u32 v5, s11, v20, v5
	v_mad_u32 v7, s11, v22, v7
	;; [unrolled: 1-line block ×4, first 2 shown]
	v_mov_b32_e32 v17, v0
	v_mad_u32 v5, s10, v21, v5
	v_mad_u32 v7, s10, v23, v7
	v_mad_u32 v9, s10, v19, v9
	s_branch .LBB140_9
.LBB140_8:                              ;   in Loop: Header=BB140_9 Depth=1
	s_wait_xcnt 0x0
	s_or_b32 exec_lo, exec_lo, s5
	v_add_nc_u64_e32 v[16:17], s[0:1], v[16:17]
	s_add_co_i32 s4, s4, 1
	s_add_nc_u64 s[2:3], s[2:3], 8
	s_cmp_ge_i32 s4, s24
	s_add_nc_u64 s[14:15], s[14:15], s[18:19]
	s_cbranch_scc1 .LBB140_17
.LBB140_9:                              ; =>This Inner Loop Header: Depth=1
	s_load_b64 s[20:21], s[2:3], 0x0
	v_add_nc_u64_e32 v[26:27], v[14:15], v[16:17]
	s_wait_kmcnt 0x0
	v_add_nc_u64_e32 v[28:29], s[14:15], v[2:3]
	s_delay_alu instid0(VALU_DEP_3) | instskip(SKIP_1) | instid1(SALU_CYCLE_1)
	v_add_nc_u64_e32 v[24:25], s[14:15], v[8:9]
	s_sub_nc_u64 s[20:21], s[20:21], s[8:9]
	s_mul_u64 s[20:21], s[20:21], s[10:11]
	s_delay_alu instid0(SALU_CYCLE_1) | instskip(NEXT) | instid1(SALU_CYCLE_1)
	s_add_nc_u64 s[20:21], s[20:21], s[6:7]
	v_add_nc_u64_e32 v[20:21], s[20:21], v[0:1]
	s_and_saveexec_b32 s5, s22
	s_cbranch_execz .LBB140_11
; %bb.10:                               ;   in Loop: Header=BB140_9 Depth=1
	v_dual_cndmask_b32 v19, v25, v29 :: v_dual_cndmask_b32 v18, v24, v28
	v_ashrrev_i64 v[22:23], 30, v[26:27]
	global_load_b32 v30, v[18:19], off
	s_wait_xcnt 0x0
	v_ashrrev_i64 v[18:19], 29, v[26:27]
	v_add_nc_u64_e32 v[22:23], s[12:13], v[22:23]
	s_delay_alu instid0(VALU_DEP_2)
	v_add_nc_u64_e32 v[18:19], s[16:17], v[18:19]
	global_store_b64 v[18:19], v[20:21], off
	s_wait_loadcnt 0x0
	global_store_b32 v[22:23], v30, off
.LBB140_11:                             ;   in Loop: Header=BB140_9 Depth=1
	s_wait_xcnt 0x0
	s_or_b32 exec_lo, exec_lo, s5
	v_add_nc_u64_e32 v[18:19], s[20:21], v[10:11]
	v_add_nc_u64_e32 v[22:23], s[14:15], v[6:7]
	s_and_saveexec_b32 s5, s23
	s_cbranch_execz .LBB140_13
; %bb.12:                               ;   in Loop: Header=BB140_9 Depth=1
	v_add_nc_u64_e32 v[28:29], 0x80, v[28:29]
	s_delay_alu instid0(VALU_DEP_1) | instskip(NEXT) | instid1(VALU_DEP_2)
	v_dual_add_nc_u32 v27, 32, v27 :: v_dual_cndmask_b32 v29, v23, v29, vcc_lo
	v_cndmask_b32_e32 v28, v22, v28, vcc_lo
	global_load_b32 v30, v[28:29], off
	s_wait_xcnt 0x0
	v_ashrrev_i64 v[28:29], 29, v[26:27]
	v_ashrrev_i64 v[26:27], 30, v[26:27]
	s_delay_alu instid0(VALU_DEP_2) | instskip(NEXT) | instid1(VALU_DEP_2)
	v_add_nc_u64_e32 v[28:29], s[16:17], v[28:29]
	v_add_nc_u64_e32 v[26:27], s[12:13], v[26:27]
	global_store_b64 v[28:29], v[18:19], off
	s_wait_loadcnt 0x0
	global_store_b32 v[26:27], v30, off
.LBB140_13:                             ;   in Loop: Header=BB140_9 Depth=1
	s_wait_xcnt 0x0
	s_or_b32 exec_lo, exec_lo, s5
	v_add_nc_u64_e32 v[26:27], v[12:13], v[16:17]
	v_add_nc_u64_e32 v[28:29], s[14:15], v[4:5]
	s_and_saveexec_b32 s5, s25
	s_cbranch_execz .LBB140_15
; %bb.14:                               ;   in Loop: Header=BB140_9 Depth=1
	v_add_nc_u64_e32 v[24:25], 0x80, v[24:25]
	s_delay_alu instid0(VALU_DEP_3) | instskip(NEXT) | instid1(VALU_DEP_2)
	v_ashrrev_i64 v[30:31], 30, v[26:27]
	v_dual_cndmask_b32 v25, v25, v29 :: v_dual_cndmask_b32 v24, v24, v28
	s_delay_alu instid0(VALU_DEP_2) | instskip(SKIP_3) | instid1(VALU_DEP_1)
	v_add_nc_u64_e32 v[30:31], s[12:13], v[30:31]
	global_load_b32 v32, v[24:25], off
	s_wait_xcnt 0x0
	v_ashrrev_i64 v[24:25], 29, v[26:27]
	v_add_nc_u64_e32 v[24:25], s[16:17], v[24:25]
	global_store_b64 v[24:25], v[20:21], off
	s_wait_loadcnt 0x0
	global_store_b32 v[30:31], v32, off
.LBB140_15:                             ;   in Loop: Header=BB140_9 Depth=1
	s_wait_xcnt 0x0
	s_or_b32 exec_lo, exec_lo, s5
	s_and_saveexec_b32 s5, s26
	s_cbranch_execz .LBB140_8
; %bb.16:                               ;   in Loop: Header=BB140_9 Depth=1
	v_dual_cndmask_b32 v21, v23, v29 :: v_dual_cndmask_b32 v20, v22, v28
	v_add_nc_u32_e32 v27, 32, v27
	global_load_b32 v24, v[20:21], off offset:128
	s_wait_xcnt 0x0
	v_ashrrev_i64 v[20:21], 29, v[26:27]
	v_ashrrev_i64 v[22:23], 30, v[26:27]
	s_delay_alu instid0(VALU_DEP_2) | instskip(NEXT) | instid1(VALU_DEP_2)
	v_add_nc_u64_e32 v[20:21], s[16:17], v[20:21]
	v_add_nc_u64_e32 v[22:23], s[12:13], v[22:23]
	global_store_b64 v[20:21], v[18:19], off
	s_wait_loadcnt 0x0
	global_store_b32 v[22:23], v24, off
	s_branch .LBB140_8
.LBB140_17:
	s_endpgm
	.section	.rodata,"a",@progbits
	.p2align	6, 0x0
	.amdhsa_kernel _ZN9rocsparseL35bsr2csr_block_per_row_33_256_kernelILj1024ELj64ELj32EfilEEv20rocsparse_direction_T4_S2_21rocsparse_index_base_PKT2_PKT3_PKS2_S2_S3_PS4_PS7_PS2_
		.amdhsa_group_segment_fixed_size 0
		.amdhsa_private_segment_fixed_size 0
		.amdhsa_kernarg_size 96
		.amdhsa_user_sgpr_count 2
		.amdhsa_user_sgpr_dispatch_ptr 0
		.amdhsa_user_sgpr_queue_ptr 0
		.amdhsa_user_sgpr_kernarg_segment_ptr 1
		.amdhsa_user_sgpr_dispatch_id 0
		.amdhsa_user_sgpr_kernarg_preload_length 0
		.amdhsa_user_sgpr_kernarg_preload_offset 0
		.amdhsa_user_sgpr_private_segment_size 0
		.amdhsa_wavefront_size32 1
		.amdhsa_uses_dynamic_stack 0
		.amdhsa_enable_private_segment 0
		.amdhsa_system_sgpr_workgroup_id_x 1
		.amdhsa_system_sgpr_workgroup_id_y 0
		.amdhsa_system_sgpr_workgroup_id_z 0
		.amdhsa_system_sgpr_workgroup_info 0
		.amdhsa_system_vgpr_workitem_id 0
		.amdhsa_next_free_vgpr 33
		.amdhsa_next_free_sgpr 28
		.amdhsa_named_barrier_count 0
		.amdhsa_reserve_vcc 1
		.amdhsa_float_round_mode_32 0
		.amdhsa_float_round_mode_16_64 0
		.amdhsa_float_denorm_mode_32 3
		.amdhsa_float_denorm_mode_16_64 3
		.amdhsa_fp16_overflow 0
		.amdhsa_memory_ordered 1
		.amdhsa_forward_progress 1
		.amdhsa_inst_pref_size 10
		.amdhsa_round_robin_scheduling 0
		.amdhsa_exception_fp_ieee_invalid_op 0
		.amdhsa_exception_fp_denorm_src 0
		.amdhsa_exception_fp_ieee_div_zero 0
		.amdhsa_exception_fp_ieee_overflow 0
		.amdhsa_exception_fp_ieee_underflow 0
		.amdhsa_exception_fp_ieee_inexact 0
		.amdhsa_exception_int_div_zero 0
	.end_amdhsa_kernel
	.section	.text._ZN9rocsparseL35bsr2csr_block_per_row_33_256_kernelILj1024ELj64ELj32EfilEEv20rocsparse_direction_T4_S2_21rocsparse_index_base_PKT2_PKT3_PKS2_S2_S3_PS4_PS7_PS2_,"axG",@progbits,_ZN9rocsparseL35bsr2csr_block_per_row_33_256_kernelILj1024ELj64ELj32EfilEEv20rocsparse_direction_T4_S2_21rocsparse_index_base_PKT2_PKT3_PKS2_S2_S3_PS4_PS7_PS2_,comdat
.Lfunc_end140:
	.size	_ZN9rocsparseL35bsr2csr_block_per_row_33_256_kernelILj1024ELj64ELj32EfilEEv20rocsparse_direction_T4_S2_21rocsparse_index_base_PKT2_PKT3_PKS2_S2_S3_PS4_PS7_PS2_, .Lfunc_end140-_ZN9rocsparseL35bsr2csr_block_per_row_33_256_kernelILj1024ELj64ELj32EfilEEv20rocsparse_direction_T4_S2_21rocsparse_index_base_PKT2_PKT3_PKS2_S2_S3_PS4_PS7_PS2_
                                        ; -- End function
	.set _ZN9rocsparseL35bsr2csr_block_per_row_33_256_kernelILj1024ELj64ELj32EfilEEv20rocsparse_direction_T4_S2_21rocsparse_index_base_PKT2_PKT3_PKS2_S2_S3_PS4_PS7_PS2_.num_vgpr, 33
	.set _ZN9rocsparseL35bsr2csr_block_per_row_33_256_kernelILj1024ELj64ELj32EfilEEv20rocsparse_direction_T4_S2_21rocsparse_index_base_PKT2_PKT3_PKS2_S2_S3_PS4_PS7_PS2_.num_agpr, 0
	.set _ZN9rocsparseL35bsr2csr_block_per_row_33_256_kernelILj1024ELj64ELj32EfilEEv20rocsparse_direction_T4_S2_21rocsparse_index_base_PKT2_PKT3_PKS2_S2_S3_PS4_PS7_PS2_.numbered_sgpr, 28
	.set _ZN9rocsparseL35bsr2csr_block_per_row_33_256_kernelILj1024ELj64ELj32EfilEEv20rocsparse_direction_T4_S2_21rocsparse_index_base_PKT2_PKT3_PKS2_S2_S3_PS4_PS7_PS2_.num_named_barrier, 0
	.set _ZN9rocsparseL35bsr2csr_block_per_row_33_256_kernelILj1024ELj64ELj32EfilEEv20rocsparse_direction_T4_S2_21rocsparse_index_base_PKT2_PKT3_PKS2_S2_S3_PS4_PS7_PS2_.private_seg_size, 0
	.set _ZN9rocsparseL35bsr2csr_block_per_row_33_256_kernelILj1024ELj64ELj32EfilEEv20rocsparse_direction_T4_S2_21rocsparse_index_base_PKT2_PKT3_PKS2_S2_S3_PS4_PS7_PS2_.uses_vcc, 1
	.set _ZN9rocsparseL35bsr2csr_block_per_row_33_256_kernelILj1024ELj64ELj32EfilEEv20rocsparse_direction_T4_S2_21rocsparse_index_base_PKT2_PKT3_PKS2_S2_S3_PS4_PS7_PS2_.uses_flat_scratch, 0
	.set _ZN9rocsparseL35bsr2csr_block_per_row_33_256_kernelILj1024ELj64ELj32EfilEEv20rocsparse_direction_T4_S2_21rocsparse_index_base_PKT2_PKT3_PKS2_S2_S3_PS4_PS7_PS2_.has_dyn_sized_stack, 0
	.set _ZN9rocsparseL35bsr2csr_block_per_row_33_256_kernelILj1024ELj64ELj32EfilEEv20rocsparse_direction_T4_S2_21rocsparse_index_base_PKT2_PKT3_PKS2_S2_S3_PS4_PS7_PS2_.has_recursion, 0
	.set _ZN9rocsparseL35bsr2csr_block_per_row_33_256_kernelILj1024ELj64ELj32EfilEEv20rocsparse_direction_T4_S2_21rocsparse_index_base_PKT2_PKT3_PKS2_S2_S3_PS4_PS7_PS2_.has_indirect_call, 0
	.section	.AMDGPU.csdata,"",@progbits
; Kernel info:
; codeLenInByte = 1216
; TotalNumSgprs: 30
; NumVgprs: 33
; ScratchSize: 0
; MemoryBound: 0
; FloatMode: 240
; IeeeMode: 1
; LDSByteSize: 0 bytes/workgroup (compile time only)
; SGPRBlocks: 0
; VGPRBlocks: 2
; NumSGPRsForWavesPerEU: 30
; NumVGPRsForWavesPerEU: 33
; NamedBarCnt: 0
; Occupancy: 16
; WaveLimiterHint : 1
; COMPUTE_PGM_RSRC2:SCRATCH_EN: 0
; COMPUTE_PGM_RSRC2:USER_SGPR: 2
; COMPUTE_PGM_RSRC2:TRAP_HANDLER: 0
; COMPUTE_PGM_RSRC2:TGID_X_EN: 1
; COMPUTE_PGM_RSRC2:TGID_Y_EN: 0
; COMPUTE_PGM_RSRC2:TGID_Z_EN: 0
; COMPUTE_PGM_RSRC2:TIDIG_COMP_CNT: 0
	.section	.text._ZN9rocsparseL35bsr2csr_block_per_row_33_256_kernelILj1024ELj128ELj32EfilEEv20rocsparse_direction_T4_S2_21rocsparse_index_base_PKT2_PKT3_PKS2_S2_S3_PS4_PS7_PS2_,"axG",@progbits,_ZN9rocsparseL35bsr2csr_block_per_row_33_256_kernelILj1024ELj128ELj32EfilEEv20rocsparse_direction_T4_S2_21rocsparse_index_base_PKT2_PKT3_PKS2_S2_S3_PS4_PS7_PS2_,comdat
	.globl	_ZN9rocsparseL35bsr2csr_block_per_row_33_256_kernelILj1024ELj128ELj32EfilEEv20rocsparse_direction_T4_S2_21rocsparse_index_base_PKT2_PKT3_PKS2_S2_S3_PS4_PS7_PS2_ ; -- Begin function _ZN9rocsparseL35bsr2csr_block_per_row_33_256_kernelILj1024ELj128ELj32EfilEEv20rocsparse_direction_T4_S2_21rocsparse_index_base_PKT2_PKT3_PKS2_S2_S3_PS4_PS7_PS2_
	.p2align	8
	.type	_ZN9rocsparseL35bsr2csr_block_per_row_33_256_kernelILj1024ELj128ELj32EfilEEv20rocsparse_direction_T4_S2_21rocsparse_index_base_PKT2_PKT3_PKS2_S2_S3_PS4_PS7_PS2_,@function
_ZN9rocsparseL35bsr2csr_block_per_row_33_256_kernelILj1024ELj128ELj32EfilEEv20rocsparse_direction_T4_S2_21rocsparse_index_base_PKT2_PKT3_PKS2_S2_S3_PS4_PS7_PS2_: ; @_ZN9rocsparseL35bsr2csr_block_per_row_33_256_kernelILj1024ELj128ELj32EfilEEv20rocsparse_direction_T4_S2_21rocsparse_index_base_PKT2_PKT3_PKS2_S2_S3_PS4_PS7_PS2_
; %bb.0:
	s_load_b64 s[6:7], s[0:1], 0x28
	s_bfe_u32 s2, ttmp6, 0x4000c
	s_and_b32 s3, ttmp6, 15
	s_add_co_i32 s2, s2, 1
	s_getreg_b32 s4, hwreg(HW_REG_IB_STS2, 6, 4)
	s_mul_i32 s2, ttmp9, s2
	s_mov_b32 s9, 0
	s_add_co_i32 s3, s3, s2
	s_cmp_eq_u32 s4, 0
	s_clause 0x1
	s_load_b32 s10, s[0:1], 0x40
	s_load_b64 s[4:5], s[0:1], 0x50
	s_cselect_b32 s2, ttmp9, s3
	s_mov_b32 s3, s9
	v_or_b32_e32 v1, s2, v0
	s_lshl_b64 s[12:13], s[2:3], 2
	s_mov_b32 s8, exec_lo
	s_wait_kmcnt 0x0
	s_add_nc_u64 s[12:13], s[6:7], s[12:13]
	s_load_b64 s[6:7], s[12:13], 0x0
	v_cmpx_eq_u32_e32 0, v1
	s_cbranch_execz .LBB141_2
; %bb.1:
	v_dual_mov_b32 v1, 0 :: v_dual_mov_b32 v2, s10
	global_store_b32 v1, v2, s[4:5]
.LBB141_2:
	s_wait_xcnt 0x0
	s_or_b32 exec_lo, exec_lo, s8
	s_clause 0x1
	s_load_b32 s12, s[0:1], 0x18
	s_load_b64 s[14:15], s[0:1], 0x38
	v_dual_mov_b32 v11, 0 :: v_dual_lshrrev_b32 v10, 5, v0
	s_mov_b32 s25, s9
	s_wait_kmcnt 0x0
	s_sub_co_i32 s8, s6, s12
	s_sub_co_i32 s28, s7, s12
	s_mul_u64 s[20:21], s[14:15], s[2:3]
	v_cmp_gt_i64_e64 s3, s[14:15], v[10:11]
	s_sub_co_i32 s24, s28, s8
	s_mul_u64 s[22:23], s[14:15], s[14:15]
	s_mul_u64 s[18:19], s[14:15], s[24:25]
	s_lshl_b64 s[20:21], s[20:21], 2
	s_mul_u64 s[16:17], s[22:23], s[8:9]
	s_add_co_i32 s9, s10, s18
	s_add_nc_u64 s[20:21], s[4:5], s[20:21]
	s_and_saveexec_b32 s2, s3
	s_cbranch_execz .LBB141_4
; %bb.3:
	s_add_co_i32 s4, s9, s16
	s_delay_alu instid0(SALU_CYCLE_1)
	v_mad_u32 v1, v10, s18, s4
	global_store_b32 v10, v1, s[20:21] offset:4 scale_offset
.LBB141_4:
	s_wait_xcnt 0x0
	s_or_b32 exec_lo, exec_lo, s2
	v_dual_mov_b32 v29, v11 :: v_dual_bitop2_b32 v28, 32, v10 bitop3:0x54
	s_delay_alu instid0(VALU_DEP_1)
	v_cmp_gt_i64_e64 s4, s[14:15], v[28:29]
	s_and_saveexec_b32 s2, s4
	s_cbranch_execz .LBB141_6
; %bb.5:
	s_add_co_i32 s5, s9, s16
	s_delay_alu instid0(SALU_CYCLE_1)
	v_mad_u32 v1, v28, s18, s5
	global_store_b32 v10, v1, s[20:21] offset:132 scale_offset
.LBB141_6:
	s_wait_xcnt 0x0
	s_or_b32 exec_lo, exec_lo, s2
	v_dual_mov_b32 v31, v11 :: v_dual_bitop2_b32 v30, 64, v10 bitop3:0x54
	s_delay_alu instid0(VALU_DEP_1)
	v_cmp_gt_i64_e64 s5, s[14:15], v[30:31]
	s_and_saveexec_b32 s2, s5
	s_cbranch_execz .LBB141_8
; %bb.7:
	s_add_co_i32 s11, s9, s16
	s_delay_alu instid0(SALU_CYCLE_1)
	v_mad_u32 v1, v30, s18, s11
	global_store_b32 v10, v1, s[20:21] offset:260 scale_offset
.LBB141_8:
	s_wait_xcnt 0x0
	s_or_b32 exec_lo, exec_lo, s2
	v_or_b32_e32 v8, 0x60, v10
	v_mov_b32_e32 v9, v11
	s_delay_alu instid0(VALU_DEP_1)
	v_cmp_gt_i64_e64 s2, s[14:15], v[8:9]
	s_and_saveexec_b32 s11, s2
	s_cbranch_execz .LBB141_10
; %bb.9:
	s_add_co_i32 s9, s9, s16
	s_delay_alu instid0(SALU_CYCLE_1)
	v_mad_u32 v1, v8, s18, s9
	global_store_b32 v10, v1, s[20:21] offset:388 scale_offset
.LBB141_10:
	s_wait_xcnt 0x0
	s_or_b32 exec_lo, exec_lo, s11
	s_cmp_lt_i32 s6, s7
	s_cbranch_scc0 .LBB141_45
; %bb.11:
	s_clause 0x2
	s_load_b64 s[26:27], s[0:1], 0x30
	s_load_b64 s[16:17], s[0:1], 0x48
	s_load_b32 s9, s[0:1], 0x0
	v_dual_mov_b32 v1, 0 :: v_dual_bitop2_b32 v0, 31, v0 bitop3:0x40
	s_clause 0x1
	s_load_b64 s[18:19], s[0:1], 0x20
	s_load_b64 s[20:21], s[0:1], 0x58
	s_mov_b32 s13, 0
	v_dual_lshlrev_b32 v26, 2, v10 :: v_dual_bitop2_b32 v2, 32, v0 bitop3:0x54
	v_dual_mov_b32 v3, v1 :: v_dual_bitop2_b32 v4, 64, v0 bitop3:0x54
	v_mov_b32_e32 v5, v1
	v_or_b32_e32 v6, 0x60, v0
	v_mov_b32_e32 v7, v1
	s_wait_xcnt 0x0
	v_cmp_gt_i64_e64 s0, s[14:15], v[0:1]
	v_cmp_gt_i64_e64 s1, s[14:15], v[2:3]
	;; [unrolled: 1-line block ×3, first 2 shown]
	v_dual_mov_b32 v27, v1 :: v_dual_lshlrev_b32 v18, 2, v0
	v_cmp_gt_i64_e64 s7, s[14:15], v[6:7]
	v_dual_mov_b32 v19, v1 :: v_dual_mov_b32 v9, v0
	s_wait_kmcnt 0x0
	s_cmp_eq_u32 s9, 0
	v_mov_b32_e32 v32, v1
	s_cselect_b32 vcc_lo, -1, 0
	s_ashr_i32 s9, s8, 31
	s_and_b32 s33, s4, s0
	s_and_b32 s34, s4, s1
	;; [unrolled: 1-line block ×8, first 2 shown]
	s_mul_u64 s[4:5], s[14:15], s[8:9]
	s_and_b32 s25, s3, s0
	s_and_b32 s41, s2, s0
	s_mul_i32 s0, s14, s8
	s_lshl_b64 s[4:5], s[4:5], 2
	v_mad_u32 v11, v8, s24, s0
	v_add_nc_u64_e32 v[34:35], s[4:5], v[26:27]
	v_mov_b32_e32 v8, v1
	v_add_nc_u64_e32 v[36:37], s[4:5], v[18:19]
	v_mad_u32 v29, v30, s24, s0
	v_mad_u32 v28, v28, s24, s0
	;; [unrolled: 1-line block ×3, first 2 shown]
	v_mov_b32_e32 v30, v1
	v_add_nc_u64_e32 v[38:39], 0x180, v[34:35]
	v_add_nc_u64_e32 v[40:41], 0x100, v[34:35]
	;; [unrolled: 1-line block ×6, first 2 shown]
	v_mad_u32 v11, s14, v11, 0x60
	v_mad_nc_u64_u32 v[12:13], s14, v38, v[18:19]
	v_mad_nc_u64_u32 v[14:15], s14, v40, v[18:19]
	;; [unrolled: 1-line block ×8, first 2 shown]
	v_mul_lo_u32 v29, s14, v29
	v_mul_lo_u32 v31, s14, v28
	;; [unrolled: 1-line block ×3, first 2 shown]
	v_mad_u32 v13, s15, v38, v13
	v_mad_u32 v15, s15, v40, v15
	;; [unrolled: 1-line block ×8, first 2 shown]
	v_dual_mov_b32 v10, v1 :: v_dual_mov_b32 v28, v1
	s_and_b32 s29, s3, s1
	v_mad_u32 v13, s14, v39, v13
	v_mad_u32 v15, s14, v41, v15
	;; [unrolled: 1-line block ×8, first 2 shown]
	s_and_b32 s30, s3, s6
	s_and_b32 s31, s3, s7
	;; [unrolled: 1-line block ×5, first 2 shown]
	s_lshl_b64 s[2:3], s[8:9], 3
	s_mov_b32 s11, s13
	s_mov_b32 s0, s13
	;; [unrolled: 1-line block ×3, first 2 shown]
	s_add_nc_u64 s[2:3], s[26:27], s[2:3]
	s_lshl_b64 s[4:5], s[22:23], 2
	s_branch .LBB141_13
.LBB141_12:                             ;   in Loop: Header=BB141_13 Depth=1
	s_wait_xcnt 0x0
	s_or_b32 exec_lo, exec_lo, s6
	v_add_nc_u64_e32 v[10:11], s[0:1], v[10:11]
	v_add_nc_u64_e32 v[28:29], s[0:1], v[28:29]
	;; [unrolled: 1-line block ×4, first 2 shown]
	s_add_co_i32 s8, s8, 1
	s_add_nc_u64 s[2:3], s[2:3], 8
	s_cmp_ge_i32 s8, s28
	s_add_nc_u64 s[18:19], s[18:19], s[4:5]
	s_cbranch_scc1 .LBB141_45
.LBB141_13:                             ; =>This Inner Loop Header: Depth=1
	s_load_b64 s[6:7], s[2:3], 0x0
	v_add_nc_u64_e32 v[50:51], v[8:9], v[32:33]
	v_add_nc_u64_e32 v[52:53], s[18:19], v[18:19]
	;; [unrolled: 1-line block ×3, first 2 shown]
	s_wait_kmcnt 0x0
	s_sub_nc_u64 s[6:7], s[6:7], s[12:13]
	s_delay_alu instid0(SALU_CYCLE_1) | instskip(NEXT) | instid1(SALU_CYCLE_1)
	s_mul_u64 s[6:7], s[6:7], s[14:15]
	s_add_nc_u64 s[6:7], s[6:7], s[10:11]
	s_delay_alu instid0(SALU_CYCLE_1)
	v_add_nc_u64_e32 v[38:39], s[6:7], v[0:1]
	s_and_saveexec_b32 s9, s25
	s_cbranch_execz .LBB141_15
; %bb.14:                               ;   in Loop: Header=BB141_13 Depth=1
	v_dual_cndmask_b32 v35, v49, v53 :: v_dual_cndmask_b32 v34, v48, v52
	v_ashrrev_i64 v[36:37], 30, v[50:51]
	global_load_b32 v40, v[34:35], off
	s_wait_xcnt 0x0
	v_ashrrev_i64 v[34:35], 29, v[50:51]
	v_add_nc_u64_e32 v[36:37], s[16:17], v[36:37]
	s_delay_alu instid0(VALU_DEP_2)
	v_add_nc_u64_e32 v[34:35], s[20:21], v[34:35]
	global_store_b64 v[34:35], v[38:39], off
	s_wait_loadcnt 0x0
	global_store_b32 v[36:37], v40, off
.LBB141_15:                             ;   in Loop: Header=BB141_13 Depth=1
	s_wait_xcnt 0x0
	s_or_b32 exec_lo, exec_lo, s9
	v_add_nc_u64_e32 v[34:35], s[6:7], v[2:3]
	v_add_nc_u64_e32 v[42:43], s[18:19], v[24:25]
	s_and_saveexec_b32 s9, s29
	s_cbranch_execz .LBB141_17
; %bb.16:                               ;   in Loop: Header=BB141_13 Depth=1
	v_add_nc_u64_e32 v[36:37], 0x80, v[52:53]
	s_delay_alu instid0(VALU_DEP_1) | instskip(SKIP_3) | instid1(VALU_DEP_1)
	v_dual_cndmask_b32 v37, v43, v37 :: v_dual_cndmask_b32 v36, v42, v36
	global_load_b32 v44, v[36:37], off
	s_wait_xcnt 0x0
	v_dual_mov_b32 v36, v50 :: v_dual_add_nc_u32 v37, 32, v51
	v_ashrrev_i64 v[40:41], 29, v[36:37]
	v_ashrrev_i64 v[36:37], 30, v[36:37]
	s_delay_alu instid0(VALU_DEP_2) | instskip(NEXT) | instid1(VALU_DEP_2)
	v_add_nc_u64_e32 v[40:41], s[20:21], v[40:41]
	v_add_nc_u64_e32 v[36:37], s[16:17], v[36:37]
	global_store_b64 v[40:41], v[34:35], off
	s_wait_loadcnt 0x0
	global_store_b32 v[36:37], v44, off
.LBB141_17:                             ;   in Loop: Header=BB141_13 Depth=1
	s_wait_xcnt 0x0
	s_or_b32 exec_lo, exec_lo, s9
	v_add_nc_u64_e32 v[36:37], s[6:7], v[4:5]
	v_add_nc_u64_e32 v[44:45], s[18:19], v[22:23]
	s_and_saveexec_b32 s9, s30
	s_cbranch_execz .LBB141_19
; %bb.18:                               ;   in Loop: Header=BB141_13 Depth=1
	v_add_nc_u64_e32 v[40:41], 0x100, v[52:53]
	s_delay_alu instid0(VALU_DEP_1) | instskip(SKIP_3) | instid1(VALU_DEP_1)
	v_dual_cndmask_b32 v41, v45, v41 :: v_dual_cndmask_b32 v40, v44, v40
	global_load_b32 v54, v[40:41], off
	s_wait_xcnt 0x0
	v_dual_mov_b32 v40, v50 :: v_dual_add_nc_u32 v41, 64, v51
	v_ashrrev_i64 v[46:47], 29, v[40:41]
	v_ashrrev_i64 v[40:41], 30, v[40:41]
	s_delay_alu instid0(VALU_DEP_2) | instskip(NEXT) | instid1(VALU_DEP_2)
	v_add_nc_u64_e32 v[46:47], s[20:21], v[46:47]
	v_add_nc_u64_e32 v[40:41], s[16:17], v[40:41]
	global_store_b64 v[46:47], v[36:37], off
	s_wait_loadcnt 0x0
	global_store_b32 v[40:41], v54, off
.LBB141_19:                             ;   in Loop: Header=BB141_13 Depth=1
	s_wait_xcnt 0x0
	s_or_b32 exec_lo, exec_lo, s9
	v_add_nc_u64_e32 v[40:41], s[6:7], v[6:7]
	v_add_nc_u64_e32 v[46:47], s[18:19], v[20:21]
	s_and_saveexec_b32 s6, s31
	s_cbranch_execz .LBB141_21
; %bb.20:                               ;   in Loop: Header=BB141_13 Depth=1
	v_add_nc_u64_e32 v[52:53], 0x180, v[52:53]
	v_add_nc_u32_e32 v51, 0x60, v51
	s_delay_alu instid0(VALU_DEP_2) | instskip(SKIP_4) | instid1(VALU_DEP_2)
	v_dual_cndmask_b32 v53, v47, v53 :: v_dual_cndmask_b32 v52, v46, v52
	global_load_b32 v54, v[52:53], off
	s_wait_xcnt 0x0
	v_ashrrev_i64 v[52:53], 29, v[50:51]
	v_ashrrev_i64 v[50:51], 30, v[50:51]
	v_add_nc_u64_e32 v[52:53], s[20:21], v[52:53]
	s_delay_alu instid0(VALU_DEP_2)
	v_add_nc_u64_e32 v[50:51], s[16:17], v[50:51]
	global_store_b64 v[52:53], v[40:41], off
	s_wait_loadcnt 0x0
	global_store_b32 v[50:51], v54, off
.LBB141_21:                             ;   in Loop: Header=BB141_13 Depth=1
	s_wait_xcnt 0x0
	s_or_b32 exec_lo, exec_lo, s6
	v_add_nc_u64_e32 v[50:51], v[8:9], v[30:31]
	v_add_nc_u64_e32 v[52:53], s[18:19], v[16:17]
	s_and_saveexec_b32 s6, s33
	s_cbranch_execnz .LBB141_35
; %bb.22:                               ;   in Loop: Header=BB141_13 Depth=1
	s_or_b32 exec_lo, exec_lo, s6
	s_and_saveexec_b32 s6, s34
	s_cbranch_execnz .LBB141_36
.LBB141_23:                             ;   in Loop: Header=BB141_13 Depth=1
	s_or_b32 exec_lo, exec_lo, s6
	s_and_saveexec_b32 s6, s35
	s_cbranch_execnz .LBB141_37
.LBB141_24:                             ;   in Loop: Header=BB141_13 Depth=1
	s_or_b32 exec_lo, exec_lo, s6
	s_and_saveexec_b32 s6, s36
	s_cbranch_execz .LBB141_26
.LBB141_25:                             ;   in Loop: Header=BB141_13 Depth=1
	v_add_nc_u64_e32 v[52:53], 0x180, v[52:53]
	v_add_nc_u64_e32 v[54:55], 0x80, v[46:47]
	v_add_nc_u32_e32 v51, 0x60, v51
	s_delay_alu instid0(VALU_DEP_2) | instskip(SKIP_4) | instid1(VALU_DEP_2)
	v_dual_cndmask_b32 v53, v55, v53 :: v_dual_cndmask_b32 v52, v54, v52
	global_load_b32 v54, v[52:53], off
	s_wait_xcnt 0x0
	v_ashrrev_i64 v[52:53], 29, v[50:51]
	v_ashrrev_i64 v[50:51], 30, v[50:51]
	v_add_nc_u64_e32 v[52:53], s[20:21], v[52:53]
	s_delay_alu instid0(VALU_DEP_2)
	v_add_nc_u64_e32 v[50:51], s[16:17], v[50:51]
	global_store_b64 v[52:53], v[40:41], off
	s_wait_loadcnt 0x0
	global_store_b32 v[50:51], v54, off
.LBB141_26:                             ;   in Loop: Header=BB141_13 Depth=1
	s_wait_xcnt 0x0
	s_or_b32 exec_lo, exec_lo, s6
	v_add_nc_u64_e32 v[50:51], v[8:9], v[28:29]
	v_add_nc_u64_e32 v[52:53], s[18:19], v[14:15]
	s_and_saveexec_b32 s6, s37
	s_cbranch_execnz .LBB141_38
; %bb.27:                               ;   in Loop: Header=BB141_13 Depth=1
	s_or_b32 exec_lo, exec_lo, s6
	s_and_saveexec_b32 s6, s38
	s_cbranch_execnz .LBB141_39
.LBB141_28:                             ;   in Loop: Header=BB141_13 Depth=1
	s_or_b32 exec_lo, exec_lo, s6
	s_and_saveexec_b32 s6, s39
	s_cbranch_execnz .LBB141_40
.LBB141_29:                             ;   in Loop: Header=BB141_13 Depth=1
	s_or_b32 exec_lo, exec_lo, s6
	s_and_saveexec_b32 s6, s40
	s_cbranch_execz .LBB141_31
.LBB141_30:                             ;   in Loop: Header=BB141_13 Depth=1
	v_add_nc_u64_e32 v[52:53], 0x180, v[52:53]
	v_add_nc_u64_e32 v[54:55], 0x100, v[46:47]
	v_add_nc_u32_e32 v51, 0x60, v51
	s_delay_alu instid0(VALU_DEP_2) | instskip(SKIP_4) | instid1(VALU_DEP_2)
	v_dual_cndmask_b32 v53, v55, v53 :: v_dual_cndmask_b32 v52, v54, v52
	global_load_b32 v54, v[52:53], off
	s_wait_xcnt 0x0
	v_ashrrev_i64 v[52:53], 29, v[50:51]
	v_ashrrev_i64 v[50:51], 30, v[50:51]
	v_add_nc_u64_e32 v[52:53], s[20:21], v[52:53]
	s_delay_alu instid0(VALU_DEP_2)
	v_add_nc_u64_e32 v[50:51], s[16:17], v[50:51]
	global_store_b64 v[52:53], v[40:41], off
	s_wait_loadcnt 0x0
	global_store_b32 v[50:51], v54, off
.LBB141_31:                             ;   in Loop: Header=BB141_13 Depth=1
	s_wait_xcnt 0x0
	s_or_b32 exec_lo, exec_lo, s6
	v_add_nc_u64_e32 v[50:51], v[8:9], v[10:11]
	v_add_nc_u64_e32 v[52:53], s[18:19], v[12:13]
	s_and_saveexec_b32 s6, s41
	s_cbranch_execnz .LBB141_41
; %bb.32:                               ;   in Loop: Header=BB141_13 Depth=1
	s_or_b32 exec_lo, exec_lo, s6
	s_and_saveexec_b32 s6, s42
	s_cbranch_execnz .LBB141_42
.LBB141_33:                             ;   in Loop: Header=BB141_13 Depth=1
	s_or_b32 exec_lo, exec_lo, s6
	s_and_saveexec_b32 s6, s43
	s_cbranch_execnz .LBB141_43
.LBB141_34:                             ;   in Loop: Header=BB141_13 Depth=1
	s_or_b32 exec_lo, exec_lo, s6
	s_and_saveexec_b32 s6, s44
	s_cbranch_execz .LBB141_12
	s_branch .LBB141_44
.LBB141_35:                             ;   in Loop: Header=BB141_13 Depth=1
	v_add_nc_u64_e32 v[54:55], 0x80, v[48:49]
	s_delay_alu instid0(VALU_DEP_3) | instskip(NEXT) | instid1(VALU_DEP_2)
	v_ashrrev_i64 v[56:57], 30, v[50:51]
	v_dual_cndmask_b32 v55, v55, v53 :: v_dual_cndmask_b32 v54, v54, v52
	s_delay_alu instid0(VALU_DEP_2) | instskip(SKIP_3) | instid1(VALU_DEP_1)
	v_add_nc_u64_e32 v[56:57], s[16:17], v[56:57]
	global_load_b32 v58, v[54:55], off
	s_wait_xcnt 0x0
	v_ashrrev_i64 v[54:55], 29, v[50:51]
	v_add_nc_u64_e32 v[54:55], s[20:21], v[54:55]
	global_store_b64 v[54:55], v[38:39], off
	s_wait_loadcnt 0x0
	global_store_b32 v[56:57], v58, off
	s_wait_xcnt 0x0
	s_or_b32 exec_lo, exec_lo, s6
	s_and_saveexec_b32 s6, s34
	s_cbranch_execz .LBB141_23
.LBB141_36:                             ;   in Loop: Header=BB141_13 Depth=1
	s_delay_alu instid0(VALU_DEP_1) | instskip(SKIP_3) | instid1(VALU_DEP_1)
	v_dual_cndmask_b32 v55, v43, v53 :: v_dual_cndmask_b32 v54, v42, v52
	global_load_b32 v58, v[54:55], off offset:128
	s_wait_xcnt 0x0
	v_dual_mov_b32 v54, v50 :: v_dual_add_nc_u32 v55, 32, v51
	v_ashrrev_i64 v[56:57], 29, v[54:55]
	v_ashrrev_i64 v[54:55], 30, v[54:55]
	s_delay_alu instid0(VALU_DEP_2) | instskip(NEXT) | instid1(VALU_DEP_2)
	v_add_nc_u64_e32 v[56:57], s[20:21], v[56:57]
	v_add_nc_u64_e32 v[54:55], s[16:17], v[54:55]
	global_store_b64 v[56:57], v[34:35], off
	s_wait_loadcnt 0x0
	global_store_b32 v[54:55], v58, off
	s_wait_xcnt 0x0
	s_or_b32 exec_lo, exec_lo, s6
	s_and_saveexec_b32 s6, s35
	s_cbranch_execz .LBB141_24
.LBB141_37:                             ;   in Loop: Header=BB141_13 Depth=1
	v_add_nc_u64_e32 v[54:55], 0x100, v[52:53]
	v_add_nc_u64_e32 v[56:57], 0x80, v[44:45]
	s_delay_alu instid0(VALU_DEP_1) | instskip(SKIP_3) | instid1(VALU_DEP_1)
	v_dual_cndmask_b32 v55, v57, v55 :: v_dual_cndmask_b32 v54, v56, v54
	global_load_b32 v58, v[54:55], off
	s_wait_xcnt 0x0
	v_dual_mov_b32 v54, v50 :: v_dual_add_nc_u32 v55, 64, v51
	v_ashrrev_i64 v[56:57], 29, v[54:55]
	v_ashrrev_i64 v[54:55], 30, v[54:55]
	s_delay_alu instid0(VALU_DEP_2) | instskip(NEXT) | instid1(VALU_DEP_2)
	v_add_nc_u64_e32 v[56:57], s[20:21], v[56:57]
	v_add_nc_u64_e32 v[54:55], s[16:17], v[54:55]
	global_store_b64 v[56:57], v[36:37], off
	s_wait_loadcnt 0x0
	global_store_b32 v[54:55], v58, off
	s_wait_xcnt 0x0
	s_or_b32 exec_lo, exec_lo, s6
	s_and_saveexec_b32 s6, s36
	s_cbranch_execnz .LBB141_25
	s_branch .LBB141_26
.LBB141_38:                             ;   in Loop: Header=BB141_13 Depth=1
	v_add_nc_u64_e32 v[54:55], 0x100, v[48:49]
	s_delay_alu instid0(VALU_DEP_3) | instskip(NEXT) | instid1(VALU_DEP_2)
	v_ashrrev_i64 v[56:57], 30, v[50:51]
	v_dual_cndmask_b32 v55, v55, v53 :: v_dual_cndmask_b32 v54, v54, v52
	s_delay_alu instid0(VALU_DEP_2) | instskip(SKIP_3) | instid1(VALU_DEP_1)
	v_add_nc_u64_e32 v[56:57], s[16:17], v[56:57]
	global_load_b32 v58, v[54:55], off
	s_wait_xcnt 0x0
	v_ashrrev_i64 v[54:55], 29, v[50:51]
	v_add_nc_u64_e32 v[54:55], s[20:21], v[54:55]
	global_store_b64 v[54:55], v[38:39], off
	s_wait_loadcnt 0x0
	global_store_b32 v[56:57], v58, off
	s_wait_xcnt 0x0
	s_or_b32 exec_lo, exec_lo, s6
	s_and_saveexec_b32 s6, s38
	s_cbranch_execz .LBB141_28
.LBB141_39:                             ;   in Loop: Header=BB141_13 Depth=1
	s_delay_alu instid0(VALU_DEP_1) | instskip(SKIP_1) | instid1(VALU_DEP_1)
	v_add_nc_u64_e32 v[54:55], 0x80, v[52:53]
	v_add_nc_u64_e32 v[56:57], 0x100, v[42:43]
	v_dual_cndmask_b32 v55, v57, v55 :: v_dual_cndmask_b32 v54, v56, v54
	global_load_b32 v58, v[54:55], off
	s_wait_xcnt 0x0
	v_dual_mov_b32 v54, v50 :: v_dual_add_nc_u32 v55, 32, v51
	s_delay_alu instid0(VALU_DEP_1) | instskip(SKIP_1) | instid1(VALU_DEP_2)
	v_ashrrev_i64 v[56:57], 29, v[54:55]
	v_ashrrev_i64 v[54:55], 30, v[54:55]
	v_add_nc_u64_e32 v[56:57], s[20:21], v[56:57]
	s_delay_alu instid0(VALU_DEP_2)
	v_add_nc_u64_e32 v[54:55], s[16:17], v[54:55]
	global_store_b64 v[56:57], v[34:35], off
	s_wait_loadcnt 0x0
	global_store_b32 v[54:55], v58, off
	s_wait_xcnt 0x0
	s_or_b32 exec_lo, exec_lo, s6
	s_and_saveexec_b32 s6, s39
	s_cbranch_execz .LBB141_29
.LBB141_40:                             ;   in Loop: Header=BB141_13 Depth=1
	v_dual_cndmask_b32 v55, v45, v53 :: v_dual_cndmask_b32 v54, v44, v52
	global_load_b32 v58, v[54:55], off offset:256
	s_wait_xcnt 0x0
	v_dual_mov_b32 v54, v50 :: v_dual_add_nc_u32 v55, 64, v51
	s_delay_alu instid0(VALU_DEP_1) | instskip(SKIP_1) | instid1(VALU_DEP_2)
	v_ashrrev_i64 v[56:57], 29, v[54:55]
	v_ashrrev_i64 v[54:55], 30, v[54:55]
	v_add_nc_u64_e32 v[56:57], s[20:21], v[56:57]
	s_delay_alu instid0(VALU_DEP_2)
	v_add_nc_u64_e32 v[54:55], s[16:17], v[54:55]
	global_store_b64 v[56:57], v[36:37], off
	s_wait_loadcnt 0x0
	global_store_b32 v[54:55], v58, off
	s_wait_xcnt 0x0
	s_or_b32 exec_lo, exec_lo, s6
	s_and_saveexec_b32 s6, s40
	s_cbranch_execnz .LBB141_30
	s_branch .LBB141_31
.LBB141_41:                             ;   in Loop: Header=BB141_13 Depth=1
	v_add_nc_u64_e32 v[48:49], 0x180, v[48:49]
	s_delay_alu instid0(VALU_DEP_1) | instskip(SKIP_3) | instid1(VALU_DEP_1)
	v_dual_cndmask_b32 v49, v49, v53 :: v_dual_cndmask_b32 v48, v48, v52
	global_load_b32 v56, v[48:49], off
	s_wait_xcnt 0x0
	v_dual_mov_b32 v48, v50 :: v_dual_add_nc_u32 v49, 0xffffffa0, v51
	v_ashrrev_i64 v[54:55], 29, v[48:49]
	v_ashrrev_i64 v[48:49], 30, v[48:49]
	s_delay_alu instid0(VALU_DEP_2) | instskip(NEXT) | instid1(VALU_DEP_2)
	v_add_nc_u64_e32 v[54:55], s[20:21], v[54:55]
	v_add_nc_u64_e32 v[48:49], s[16:17], v[48:49]
	global_store_b64 v[54:55], v[38:39], off
	s_wait_loadcnt 0x0
	global_store_b32 v[48:49], v56, off
	s_wait_xcnt 0x0
	s_or_b32 exec_lo, exec_lo, s6
	s_and_saveexec_b32 s6, s42
	s_cbranch_execz .LBB141_33
.LBB141_42:                             ;   in Loop: Header=BB141_13 Depth=1
	s_delay_alu instid0(VALU_DEP_1) | instskip(SKIP_1) | instid1(VALU_DEP_1)
	v_add_nc_u64_e32 v[38:39], 0x80, v[52:53]
	v_add_nc_u64_e32 v[42:43], 0x180, v[42:43]
	v_dual_cndmask_b32 v39, v43, v39 :: v_dual_cndmask_b32 v38, v42, v38
	global_load_b32 v48, v[38:39], off
	s_wait_xcnt 0x0
	v_subrev_nc_u32_e32 v39, 64, v51
	v_mov_b32_e32 v38, v50
	s_delay_alu instid0(VALU_DEP_1) | instskip(SKIP_1) | instid1(VALU_DEP_2)
	v_ashrrev_i64 v[42:43], 29, v[38:39]
	v_ashrrev_i64 v[38:39], 30, v[38:39]
	v_add_nc_u64_e32 v[42:43], s[20:21], v[42:43]
	s_delay_alu instid0(VALU_DEP_2)
	v_add_nc_u64_e32 v[38:39], s[16:17], v[38:39]
	global_store_b64 v[42:43], v[34:35], off
	s_wait_loadcnt 0x0
	global_store_b32 v[38:39], v48, off
	s_wait_xcnt 0x0
	s_or_b32 exec_lo, exec_lo, s6
	s_and_saveexec_b32 s6, s43
	s_cbranch_execz .LBB141_34
.LBB141_43:                             ;   in Loop: Header=BB141_13 Depth=1
	v_add_nc_u64_e32 v[34:35], 0x100, v[52:53]
	v_add_nc_u64_e32 v[38:39], 0x180, v[44:45]
	s_delay_alu instid0(VALU_DEP_1) | instskip(SKIP_4) | instid1(VALU_DEP_1)
	v_dual_cndmask_b32 v35, v39, v35 :: v_dual_cndmask_b32 v34, v38, v34
	global_load_b32 v42, v[34:35], off
	s_wait_xcnt 0x0
	v_subrev_nc_u32_e32 v35, 32, v51
	v_mov_b32_e32 v34, v50
	v_ashrrev_i64 v[38:39], 29, v[34:35]
	v_ashrrev_i64 v[34:35], 30, v[34:35]
	s_delay_alu instid0(VALU_DEP_2) | instskip(NEXT) | instid1(VALU_DEP_2)
	v_add_nc_u64_e32 v[38:39], s[20:21], v[38:39]
	v_add_nc_u64_e32 v[34:35], s[16:17], v[34:35]
	global_store_b64 v[38:39], v[36:37], off
	s_wait_loadcnt 0x0
	global_store_b32 v[34:35], v42, off
	s_wait_xcnt 0x0
	s_or_b32 exec_lo, exec_lo, s6
	s_and_saveexec_b32 s6, s44
	s_cbranch_execz .LBB141_12
.LBB141_44:                             ;   in Loop: Header=BB141_13 Depth=1
	v_dual_cndmask_b32 v35, v47, v53 :: v_dual_cndmask_b32 v34, v46, v52
	v_ashrrev_i64 v[36:37], 30, v[50:51]
	global_load_b32 v38, v[34:35], off offset:384
	s_wait_xcnt 0x0
	v_ashrrev_i64 v[34:35], 29, v[50:51]
	v_add_nc_u64_e32 v[36:37], s[16:17], v[36:37]
	s_delay_alu instid0(VALU_DEP_2)
	v_add_nc_u64_e32 v[34:35], s[20:21], v[34:35]
	global_store_b64 v[34:35], v[40:41], off
	s_wait_loadcnt 0x0
	global_store_b32 v[36:37], v38, off
	s_branch .LBB141_12
.LBB141_45:
	s_endpgm
	.section	.rodata,"a",@progbits
	.p2align	6, 0x0
	.amdhsa_kernel _ZN9rocsparseL35bsr2csr_block_per_row_33_256_kernelILj1024ELj128ELj32EfilEEv20rocsparse_direction_T4_S2_21rocsparse_index_base_PKT2_PKT3_PKS2_S2_S3_PS4_PS7_PS2_
		.amdhsa_group_segment_fixed_size 0
		.amdhsa_private_segment_fixed_size 0
		.amdhsa_kernarg_size 96
		.amdhsa_user_sgpr_count 2
		.amdhsa_user_sgpr_dispatch_ptr 0
		.amdhsa_user_sgpr_queue_ptr 0
		.amdhsa_user_sgpr_kernarg_segment_ptr 1
		.amdhsa_user_sgpr_dispatch_id 0
		.amdhsa_user_sgpr_kernarg_preload_length 0
		.amdhsa_user_sgpr_kernarg_preload_offset 0
		.amdhsa_user_sgpr_private_segment_size 0
		.amdhsa_wavefront_size32 1
		.amdhsa_uses_dynamic_stack 0
		.amdhsa_enable_private_segment 0
		.amdhsa_system_sgpr_workgroup_id_x 1
		.amdhsa_system_sgpr_workgroup_id_y 0
		.amdhsa_system_sgpr_workgroup_id_z 0
		.amdhsa_system_sgpr_workgroup_info 0
		.amdhsa_system_vgpr_workitem_id 0
		.amdhsa_next_free_vgpr 59
		.amdhsa_next_free_sgpr 45
		.amdhsa_named_barrier_count 0
		.amdhsa_reserve_vcc 1
		.amdhsa_float_round_mode_32 0
		.amdhsa_float_round_mode_16_64 0
		.amdhsa_float_denorm_mode_32 3
		.amdhsa_float_denorm_mode_16_64 3
		.amdhsa_fp16_overflow 0
		.amdhsa_memory_ordered 1
		.amdhsa_forward_progress 1
		.amdhsa_inst_pref_size 25
		.amdhsa_round_robin_scheduling 0
		.amdhsa_exception_fp_ieee_invalid_op 0
		.amdhsa_exception_fp_denorm_src 0
		.amdhsa_exception_fp_ieee_div_zero 0
		.amdhsa_exception_fp_ieee_overflow 0
		.amdhsa_exception_fp_ieee_underflow 0
		.amdhsa_exception_fp_ieee_inexact 0
		.amdhsa_exception_int_div_zero 0
	.end_amdhsa_kernel
	.section	.text._ZN9rocsparseL35bsr2csr_block_per_row_33_256_kernelILj1024ELj128ELj32EfilEEv20rocsparse_direction_T4_S2_21rocsparse_index_base_PKT2_PKT3_PKS2_S2_S3_PS4_PS7_PS2_,"axG",@progbits,_ZN9rocsparseL35bsr2csr_block_per_row_33_256_kernelILj1024ELj128ELj32EfilEEv20rocsparse_direction_T4_S2_21rocsparse_index_base_PKT2_PKT3_PKS2_S2_S3_PS4_PS7_PS2_,comdat
.Lfunc_end141:
	.size	_ZN9rocsparseL35bsr2csr_block_per_row_33_256_kernelILj1024ELj128ELj32EfilEEv20rocsparse_direction_T4_S2_21rocsparse_index_base_PKT2_PKT3_PKS2_S2_S3_PS4_PS7_PS2_, .Lfunc_end141-_ZN9rocsparseL35bsr2csr_block_per_row_33_256_kernelILj1024ELj128ELj32EfilEEv20rocsparse_direction_T4_S2_21rocsparse_index_base_PKT2_PKT3_PKS2_S2_S3_PS4_PS7_PS2_
                                        ; -- End function
	.set _ZN9rocsparseL35bsr2csr_block_per_row_33_256_kernelILj1024ELj128ELj32EfilEEv20rocsparse_direction_T4_S2_21rocsparse_index_base_PKT2_PKT3_PKS2_S2_S3_PS4_PS7_PS2_.num_vgpr, 59
	.set _ZN9rocsparseL35bsr2csr_block_per_row_33_256_kernelILj1024ELj128ELj32EfilEEv20rocsparse_direction_T4_S2_21rocsparse_index_base_PKT2_PKT3_PKS2_S2_S3_PS4_PS7_PS2_.num_agpr, 0
	.set _ZN9rocsparseL35bsr2csr_block_per_row_33_256_kernelILj1024ELj128ELj32EfilEEv20rocsparse_direction_T4_S2_21rocsparse_index_base_PKT2_PKT3_PKS2_S2_S3_PS4_PS7_PS2_.numbered_sgpr, 45
	.set _ZN9rocsparseL35bsr2csr_block_per_row_33_256_kernelILj1024ELj128ELj32EfilEEv20rocsparse_direction_T4_S2_21rocsparse_index_base_PKT2_PKT3_PKS2_S2_S3_PS4_PS7_PS2_.num_named_barrier, 0
	.set _ZN9rocsparseL35bsr2csr_block_per_row_33_256_kernelILj1024ELj128ELj32EfilEEv20rocsparse_direction_T4_S2_21rocsparse_index_base_PKT2_PKT3_PKS2_S2_S3_PS4_PS7_PS2_.private_seg_size, 0
	.set _ZN9rocsparseL35bsr2csr_block_per_row_33_256_kernelILj1024ELj128ELj32EfilEEv20rocsparse_direction_T4_S2_21rocsparse_index_base_PKT2_PKT3_PKS2_S2_S3_PS4_PS7_PS2_.uses_vcc, 1
	.set _ZN9rocsparseL35bsr2csr_block_per_row_33_256_kernelILj1024ELj128ELj32EfilEEv20rocsparse_direction_T4_S2_21rocsparse_index_base_PKT2_PKT3_PKS2_S2_S3_PS4_PS7_PS2_.uses_flat_scratch, 0
	.set _ZN9rocsparseL35bsr2csr_block_per_row_33_256_kernelILj1024ELj128ELj32EfilEEv20rocsparse_direction_T4_S2_21rocsparse_index_base_PKT2_PKT3_PKS2_S2_S3_PS4_PS7_PS2_.has_dyn_sized_stack, 0
	.set _ZN9rocsparseL35bsr2csr_block_per_row_33_256_kernelILj1024ELj128ELj32EfilEEv20rocsparse_direction_T4_S2_21rocsparse_index_base_PKT2_PKT3_PKS2_S2_S3_PS4_PS7_PS2_.has_recursion, 0
	.set _ZN9rocsparseL35bsr2csr_block_per_row_33_256_kernelILj1024ELj128ELj32EfilEEv20rocsparse_direction_T4_S2_21rocsparse_index_base_PKT2_PKT3_PKS2_S2_S3_PS4_PS7_PS2_.has_indirect_call, 0
	.section	.AMDGPU.csdata,"",@progbits
; Kernel info:
; codeLenInByte = 3200
; TotalNumSgprs: 47
; NumVgprs: 59
; ScratchSize: 0
; MemoryBound: 0
; FloatMode: 240
; IeeeMode: 1
; LDSByteSize: 0 bytes/workgroup (compile time only)
; SGPRBlocks: 0
; VGPRBlocks: 3
; NumSGPRsForWavesPerEU: 47
; NumVGPRsForWavesPerEU: 59
; NamedBarCnt: 0
; Occupancy: 16
; WaveLimiterHint : 1
; COMPUTE_PGM_RSRC2:SCRATCH_EN: 0
; COMPUTE_PGM_RSRC2:USER_SGPR: 2
; COMPUTE_PGM_RSRC2:TRAP_HANDLER: 0
; COMPUTE_PGM_RSRC2:TGID_X_EN: 1
; COMPUTE_PGM_RSRC2:TGID_Y_EN: 0
; COMPUTE_PGM_RSRC2:TGID_Z_EN: 0
; COMPUTE_PGM_RSRC2:TIDIG_COMP_CNT: 0
	.section	.text._ZN9rocsparseL35bsr2csr_block_per_row_33_256_kernelILj1024ELj256ELj32EfilEEv20rocsparse_direction_T4_S2_21rocsparse_index_base_PKT2_PKT3_PKS2_S2_S3_PS4_PS7_PS2_,"axG",@progbits,_ZN9rocsparseL35bsr2csr_block_per_row_33_256_kernelILj1024ELj256ELj32EfilEEv20rocsparse_direction_T4_S2_21rocsparse_index_base_PKT2_PKT3_PKS2_S2_S3_PS4_PS7_PS2_,comdat
	.globl	_ZN9rocsparseL35bsr2csr_block_per_row_33_256_kernelILj1024ELj256ELj32EfilEEv20rocsparse_direction_T4_S2_21rocsparse_index_base_PKT2_PKT3_PKS2_S2_S3_PS4_PS7_PS2_ ; -- Begin function _ZN9rocsparseL35bsr2csr_block_per_row_33_256_kernelILj1024ELj256ELj32EfilEEv20rocsparse_direction_T4_S2_21rocsparse_index_base_PKT2_PKT3_PKS2_S2_S3_PS4_PS7_PS2_
	.p2align	8
	.type	_ZN9rocsparseL35bsr2csr_block_per_row_33_256_kernelILj1024ELj256ELj32EfilEEv20rocsparse_direction_T4_S2_21rocsparse_index_base_PKT2_PKT3_PKS2_S2_S3_PS4_PS7_PS2_,@function
_ZN9rocsparseL35bsr2csr_block_per_row_33_256_kernelILj1024ELj256ELj32EfilEEv20rocsparse_direction_T4_S2_21rocsparse_index_base_PKT2_PKT3_PKS2_S2_S3_PS4_PS7_PS2_: ; @_ZN9rocsparseL35bsr2csr_block_per_row_33_256_kernelILj1024ELj256ELj32EfilEEv20rocsparse_direction_T4_S2_21rocsparse_index_base_PKT2_PKT3_PKS2_S2_S3_PS4_PS7_PS2_
; %bb.0:
	s_load_b64 s[6:7], s[0:1], 0x28
	s_bfe_u32 s2, ttmp6, 0x4000c
	s_and_b32 s3, ttmp6, 15
	s_add_co_i32 s2, s2, 1
	s_getreg_b32 s4, hwreg(HW_REG_IB_STS2, 6, 4)
	s_mul_i32 s2, ttmp9, s2
	s_mov_b32 s17, 0
	s_add_co_i32 s3, s3, s2
	s_cmp_eq_u32 s4, 0
	s_clause 0x1
	s_load_b32 s18, s[0:1], 0x40
	s_load_b64 s[4:5], s[0:1], 0x50
	s_cselect_b32 s2, ttmp9, s3
	s_mov_b32 s3, s17
	v_or_b32_e32 v1, s2, v0
	s_lshl_b64 s[8:9], s[2:3], 2
	s_wait_kmcnt 0x0
	s_add_nc_u64 s[6:7], s[6:7], s[8:9]
	s_load_b64 s[10:11], s[6:7], 0x0
	s_wait_xcnt 0x0
	s_mov_b32 s6, exec_lo
	v_cmpx_eq_u32_e32 0, v1
	s_cbranch_execz .LBB142_2
; %bb.1:
	v_dual_mov_b32 v1, 0 :: v_dual_mov_b32 v2, s18
	global_store_b32 v1, v2, s[4:5]
.LBB142_2:
	s_wait_xcnt 0x0
	s_or_b32 exec_lo, exec_lo, s6
	s_clause 0x1
	s_load_b32 s20, s[0:1], 0x18
	s_load_b64 s[22:23], s[0:1], 0x38
	v_dual_mov_b32 v51, 0 :: v_dual_lshrrev_b32 v50, 5, v0
	s_mov_b32 s35, s17
	s_wait_kmcnt 0x0
	s_sub_co_i32 s16, s10, s20
	s_sub_co_i32 s33, s11, s20
	s_mul_u64 s[6:7], s[22:23], s[2:3]
	v_cmp_gt_i64_e64 s2, s[22:23], v[50:51]
	s_sub_co_i32 s34, s33, s16
	s_mul_u64 s[30:31], s[22:23], s[22:23]
	s_mul_u64 s[14:15], s[22:23], s[34:35]
	s_lshl_b64 s[6:7], s[6:7], 2
	s_mul_u64 s[12:13], s[30:31], s[16:17]
	s_add_co_i32 s13, s18, s14
	s_add_nc_u64 s[24:25], s[4:5], s[6:7]
	s_and_saveexec_b32 s3, s2
	s_cbranch_execz .LBB142_4
; %bb.3:
	s_add_co_i32 s4, s13, s12
	s_delay_alu instid0(SALU_CYCLE_1)
	v_mad_u32 v1, v50, s14, s4
	global_store_b32 v50, v1, s[24:25] offset:4 scale_offset
.LBB142_4:
	s_wait_xcnt 0x0
	s_or_b32 exec_lo, exec_lo, s3
	v_dual_mov_b32 v53, v51 :: v_dual_bitop2_b32 v52, 32, v50 bitop3:0x54
	s_delay_alu instid0(VALU_DEP_1)
	v_cmp_gt_i64_e64 s3, s[22:23], v[52:53]
	s_and_saveexec_b32 s4, s3
	s_cbranch_execz .LBB142_6
; %bb.5:
	s_add_co_i32 s5, s13, s12
	s_delay_alu instid0(SALU_CYCLE_1)
	v_mad_u32 v1, v52, s14, s5
	global_store_b32 v50, v1, s[24:25] offset:132 scale_offset
.LBB142_6:
	s_wait_xcnt 0x0
	s_or_b32 exec_lo, exec_lo, s4
	v_dual_mov_b32 v49, v51 :: v_dual_bitop2_b32 v48, 64, v50 bitop3:0x54
	s_delay_alu instid0(VALU_DEP_1)
	v_cmp_gt_i64_e64 s4, s[22:23], v[48:49]
	s_and_saveexec_b32 s5, s4
	s_cbranch_execz .LBB142_8
; %bb.7:
	s_add_co_i32 s6, s13, s12
	s_delay_alu instid0(SALU_CYCLE_1)
	v_mad_u32 v1, v48, s14, s6
	global_store_b32 v50, v1, s[24:25] offset:260 scale_offset
.LBB142_8:
	s_wait_xcnt 0x0
	s_or_b32 exec_lo, exec_lo, s5
	v_or_b32_e32 v54, 0x60, v50
	v_mov_b32_e32 v55, v51
	s_delay_alu instid0(VALU_DEP_1)
	v_cmp_gt_i64_e64 s5, s[22:23], v[54:55]
	s_and_saveexec_b32 s6, s5
	s_cbranch_execz .LBB142_10
; %bb.9:
	s_add_co_i32 s7, s13, s12
	s_delay_alu instid0(SALU_CYCLE_1)
	v_mad_u32 v1, v54, s14, s7
	global_store_b32 v50, v1, s[24:25] offset:388 scale_offset
.LBB142_10:
	s_wait_xcnt 0x0
	s_or_b32 exec_lo, exec_lo, s6
	v_or_b32_e32 v46, 0x80, v50
	v_mov_b32_e32 v47, v51
	;; [unrolled: 14-line block ×5, first 2 shown]
	s_delay_alu instid0(VALU_DEP_1)
	v_cmp_gt_i64_e64 s9, s[22:23], v[58:59]
	s_and_saveexec_b32 s15, s9
	s_cbranch_execz .LBB142_18
; %bb.17:
	s_add_co_i32 s13, s13, s12
	s_delay_alu instid0(SALU_CYCLE_1)
	v_mad_u32 v1, v58, s14, s13
	global_store_b32 v50, v1, s[24:25] offset:900 scale_offset
.LBB142_18:
	s_wait_xcnt 0x0
	s_or_b32 exec_lo, exec_lo, s15
	s_cmp_lt_i32 s10, s11
	s_cbranch_scc0 .LBB142_149
; %bb.19:
	s_clause 0x2
	s_load_b32 s10, s[0:1], 0x0
	s_load_b64 s[36:37], s[0:1], 0x30
	s_load_b64 s[28:29], s[0:1], 0x58
	v_dual_mov_b32 v1, 0 :: v_dual_lshlrev_b32 v32, 2, v50
	v_and_b32_e32 v0, 31, v0
	s_mul_i32 s94, s22, s16
	s_clause 0x1
	s_load_b64 s[24:25], s[0:1], 0x48
	s_load_b64 s[26:27], s[0:1], 0x20
	v_dual_mov_b32 v33, v1 :: v_dual_mov_b32 v19, v1
	v_lshlrev_b32_e32 v18, 2, v0
	v_mad_u32 v51, v58, s34, s94
	v_mad_u32 v53, v44, s34, s94
	;; [unrolled: 1-line block ×5, first 2 shown]
	v_or_b32_e32 v44, 0xc0, v0
	v_or_b32_e32 v46, 0xe0, v0
	v_mov_b32_e32 v47, v1
	s_wait_xcnt 0x0
	v_cmp_gt_i64_e64 s0, s[22:23], v[0:1]
	s_wait_kmcnt 0x0
	s_cmp_eq_u32 s10, 0
	v_mov_b32_e32 v49, v0
	s_cselect_b32 vcc_lo, -1, 0
	s_ashr_i32 s17, s16, 31
	v_mul_lo_u32 v51, s22, v51
	s_mul_u64 s[10:11], s[22:23], s[16:17]
	v_mul_lo_u32 v53, s22, v53
	s_lshl_b64 s[10:11], s[10:11], 2
	v_mul_lo_u32 v55, s22, v55
	v_add_nc_u64_e32 v[30:31], s[10:11], v[32:33]
	v_add_nc_u64_e32 v[34:35], s[10:11], v[18:19]
	v_mul_lo_u32 v57, s22, v56
	v_mul_lo_u32 v59, s22, v58
	v_dual_mov_b32 v56, v1 :: v_dual_mov_b32 v58, v1
	s_mov_b32 s21, 0
	v_mad_nc_u64_u32 v[2:3], s22, v30, v[18:19]
	v_add_nc_u64_e32 v[36:37], 0x380, v[30:31]
	v_add_nc_u64_e32 v[38:39], 0x300, v[30:31]
	;; [unrolled: 1-line block ×10, first 2 shown]
	v_mad_u32 v3, s23, v30, v3
	v_add_nc_u64_e32 v[72:73], 0x200, v[34:35]
	v_add_nc_u64_e32 v[74:75], 0x280, v[34:35]
	;; [unrolled: 1-line block ×4, first 2 shown]
	v_mad_nc_u64_u32 v[4:5], s22, v34, v[32:33]
	v_mad_nc_u64_u32 v[6:7], s22, v36, v[18:19]
	;; [unrolled: 1-line block ×13, first 2 shown]
	v_mad_u32 v3, s22, v31, v3
	v_mad_nc_u64_u32 v[30:31], s22, v76, v[32:33]
	v_mad_nc_u64_u32 v[32:33], s22, v78, v[32:33]
	v_mad_u32 v5, s23, v34, v5
	v_mad_u32 v7, s23, v36, v7
	;; [unrolled: 1-line block ×23, first 2 shown]
	v_dual_mov_b32 v35, v1 :: v_dual_bitop2_b32 v34, 32, v0 bitop3:0x54
	v_dual_mov_b32 v37, v1 :: v_dual_bitop2_b32 v36, 64, v0 bitop3:0x54
	v_or_b32_e32 v38, 0x60, v0
	v_dual_mov_b32 v39, v1 :: v_dual_mov_b32 v41, v1
	v_or_b32_e32 v40, 0x80, v0
	v_or_b32_e32 v42, 0xa0, v0
	v_dual_mov_b32 v43, v1 :: v_dual_mov_b32 v45, v1
	v_mad_u32 v15, s22, v61, v15
	v_mad_u32 v17, s22, v63, v17
	;; [unrolled: 1-line block ×8, first 2 shown]
	v_cmp_gt_i64_e64 s1, s[22:23], v[34:35]
	v_cmp_gt_i64_e64 s10, s[22:23], v[36:37]
	v_mad_u32 v31, s22, v77, v31
	v_mad_u32 v33, s22, v79, v33
	v_cmp_gt_i64_e64 s11, s[22:23], v[38:39]
	v_cmp_gt_i64_e64 s12, s[22:23], v[40:41]
	;; [unrolled: 1-line block ×4, first 2 shown]
	v_mov_b32_e32 v48, v1
	v_cmp_gt_i64_e64 s15, s[22:23], v[46:47]
	v_mul_lo_u32 v61, s22, v60
	v_mul_lo_u32 v63, s22, v62
	;; [unrolled: 1-line block ×3, first 2 shown]
	v_dual_mov_b32 v50, v1 :: v_dual_mov_b32 v52, v1
	v_dual_mov_b32 v54, v1 :: v_dual_mov_b32 v60, v1
	;; [unrolled: 1-line block ×3, first 2 shown]
	s_and_b32 s35, s2, s0
	s_and_b32 s38, s2, s1
	;; [unrolled: 1-line block ×16, first 2 shown]
	s_lshl_b64 s[2:3], s[16:17], 3
	s_mov_b32 s19, s21
	s_and_b32 s53, s4, s0
	s_and_b32 s54, s4, s1
	;; [unrolled: 1-line block ×48, first 2 shown]
	s_mov_b32 s0, s21
	s_mov_b32 s1, s22
	s_add_nc_u64 s[2:3], s[36:37], s[2:3]
	s_lshl_b64 s[4:5], s[30:31], 2
	s_branch .LBB142_21
.LBB142_20:                             ;   in Loop: Header=BB142_21 Depth=1
	s_wait_xcnt 0x0
	s_or_b32 exec_lo, exec_lo, s6
	v_add_nc_u64_e32 v[50:51], s[0:1], v[50:51]
	v_add_nc_u64_e32 v[52:53], s[0:1], v[52:53]
	;; [unrolled: 1-line block ×8, first 2 shown]
	s_add_co_i32 s16, s16, 1
	s_add_nc_u64 s[2:3], s[2:3], 8
	s_cmp_ge_i32 s16, s33
	s_add_nc_u64 s[26:27], s[26:27], s[4:5]
	s_cbranch_scc1 .LBB142_149
.LBB142_21:                             ; =>This Inner Loop Header: Depth=1
	s_load_b64 s[6:7], s[2:3], 0x0
	v_add_nc_u64_e32 v[98:99], v[48:49], v[64:65]
	v_add_nc_u64_e32 v[100:101], s[26:27], v[2:3]
	;; [unrolled: 1-line block ×3, first 2 shown]
	s_wait_kmcnt 0x0
	s_sub_nc_u64 s[6:7], s[6:7], s[20:21]
	s_delay_alu instid0(SALU_CYCLE_1) | instskip(NEXT) | instid1(SALU_CYCLE_1)
	s_mul_u64 s[6:7], s[6:7], s[22:23]
	s_add_nc_u64 s[6:7], s[6:7], s[18:19]
	s_delay_alu instid0(SALU_CYCLE_1)
	v_add_nc_u64_e32 v[76:77], s[6:7], v[0:1]
	s_and_saveexec_b32 s15, s35
	s_cbranch_execz .LBB142_23
; %bb.22:                               ;   in Loop: Header=BB142_21 Depth=1
	v_dual_cndmask_b32 v67, v91, v101 :: v_dual_cndmask_b32 v66, v90, v100
	v_ashrrev_i64 v[68:69], 30, v[98:99]
	global_load_b32 v70, v[66:67], off
	s_wait_xcnt 0x0
	v_ashrrev_i64 v[66:67], 29, v[98:99]
	v_add_nc_u64_e32 v[68:69], s[24:25], v[68:69]
	s_delay_alu instid0(VALU_DEP_2)
	v_add_nc_u64_e32 v[66:67], s[28:29], v[66:67]
	global_store_b64 v[66:67], v[76:77], off
	s_wait_loadcnt 0x0
	global_store_b32 v[68:69], v70, off
.LBB142_23:                             ;   in Loop: Header=BB142_21 Depth=1
	s_wait_xcnt 0x0
	s_or_b32 exec_lo, exec_lo, s15
	v_add_nc_u64_e32 v[66:67], s[6:7], v[34:35]
	v_add_nc_u64_e32 v[82:83], s[26:27], v[20:21]
	s_and_saveexec_b32 s15, s38
	s_cbranch_execz .LBB142_25
; %bb.24:                               ;   in Loop: Header=BB142_21 Depth=1
	v_add_nc_u64_e32 v[68:69], 0x80, v[100:101]
	s_delay_alu instid0(VALU_DEP_1) | instskip(SKIP_3) | instid1(VALU_DEP_1)
	v_dual_cndmask_b32 v69, v83, v69 :: v_dual_cndmask_b32 v68, v82, v68
	global_load_b32 v72, v[68:69], off
	s_wait_xcnt 0x0
	v_dual_mov_b32 v68, v98 :: v_dual_add_nc_u32 v69, 32, v99
	v_ashrrev_i64 v[70:71], 29, v[68:69]
	v_ashrrev_i64 v[68:69], 30, v[68:69]
	s_delay_alu instid0(VALU_DEP_2) | instskip(NEXT) | instid1(VALU_DEP_2)
	v_add_nc_u64_e32 v[70:71], s[28:29], v[70:71]
	v_add_nc_u64_e32 v[68:69], s[24:25], v[68:69]
	global_store_b64 v[70:71], v[66:67], off
	s_wait_loadcnt 0x0
	global_store_b32 v[68:69], v72, off
.LBB142_25:                             ;   in Loop: Header=BB142_21 Depth=1
	s_wait_xcnt 0x0
	s_or_b32 exec_lo, exec_lo, s15
	v_add_nc_u64_e32 v[68:69], s[6:7], v[36:37]
	v_add_nc_u64_e32 v[84:85], s[26:27], v[22:23]
	s_and_saveexec_b32 s15, s39
	s_cbranch_execz .LBB142_27
; %bb.26:                               ;   in Loop: Header=BB142_21 Depth=1
	v_add_nc_u64_e32 v[70:71], 0x100, v[100:101]
	s_delay_alu instid0(VALU_DEP_1) | instskip(SKIP_3) | instid1(VALU_DEP_1)
	v_dual_cndmask_b32 v71, v85, v71 :: v_dual_cndmask_b32 v70, v84, v70
	global_load_b32 v74, v[70:71], off
	s_wait_xcnt 0x0
	v_dual_mov_b32 v70, v98 :: v_dual_add_nc_u32 v71, 64, v99
	v_ashrrev_i64 v[72:73], 29, v[70:71]
	v_ashrrev_i64 v[70:71], 30, v[70:71]
	s_delay_alu instid0(VALU_DEP_2) | instskip(NEXT) | instid1(VALU_DEP_2)
	v_add_nc_u64_e32 v[72:73], s[28:29], v[72:73]
	v_add_nc_u64_e32 v[70:71], s[24:25], v[70:71]
	global_store_b64 v[72:73], v[68:69], off
	s_wait_loadcnt 0x0
	global_store_b32 v[70:71], v74, off
.LBB142_27:                             ;   in Loop: Header=BB142_21 Depth=1
	;; [unrolled: 22-line block ×6, first 2 shown]
	s_wait_xcnt 0x0
	s_or_b32 exec_lo, exec_lo, s15
	v_add_nc_u64_e32 v[80:81], s[6:7], v[46:47]
	v_add_nc_u64_e32 v[96:97], s[26:27], v[32:33]
	s_and_saveexec_b32 s6, s44
	s_cbranch_execz .LBB142_37
; %bb.36:                               ;   in Loop: Header=BB142_21 Depth=1
	v_add_nc_u64_e32 v[100:101], 0x380, v[100:101]
	v_add_nc_u32_e32 v99, 0xe0, v99
	s_delay_alu instid0(VALU_DEP_2) | instskip(SKIP_4) | instid1(VALU_DEP_2)
	v_dual_cndmask_b32 v101, v97, v101 :: v_dual_cndmask_b32 v100, v96, v100
	global_load_b32 v102, v[100:101], off
	s_wait_xcnt 0x0
	v_ashrrev_i64 v[100:101], 29, v[98:99]
	v_ashrrev_i64 v[98:99], 30, v[98:99]
	v_add_nc_u64_e32 v[100:101], s[28:29], v[100:101]
	s_delay_alu instid0(VALU_DEP_2)
	v_add_nc_u64_e32 v[98:99], s[24:25], v[98:99]
	global_store_b64 v[100:101], v[80:81], off
	s_wait_loadcnt 0x0
	global_store_b32 v[98:99], v102, off
.LBB142_37:                             ;   in Loop: Header=BB142_21 Depth=1
	s_wait_xcnt 0x0
	s_or_b32 exec_lo, exec_lo, s6
	v_add_nc_u64_e32 v[98:99], v[48:49], v[62:63]
	v_add_nc_u64_e32 v[100:101], s[26:27], v[18:19]
	s_and_saveexec_b32 s6, s45
	s_cbranch_execnz .LBB142_99
; %bb.38:                               ;   in Loop: Header=BB142_21 Depth=1
	s_or_b32 exec_lo, exec_lo, s6
	s_and_saveexec_b32 s6, s46
	s_cbranch_execnz .LBB142_100
.LBB142_39:                             ;   in Loop: Header=BB142_21 Depth=1
	s_or_b32 exec_lo, exec_lo, s6
	s_and_saveexec_b32 s6, s47
	s_cbranch_execnz .LBB142_101
.LBB142_40:                             ;   in Loop: Header=BB142_21 Depth=1
	s_or_b32 exec_lo, exec_lo, s6
	s_and_saveexec_b32 s6, s48
	s_cbranch_execnz .LBB142_102
.LBB142_41:                             ;   in Loop: Header=BB142_21 Depth=1
	s_or_b32 exec_lo, exec_lo, s6
	s_and_saveexec_b32 s6, s49
	s_cbranch_execnz .LBB142_103
.LBB142_42:                             ;   in Loop: Header=BB142_21 Depth=1
	s_or_b32 exec_lo, exec_lo, s6
	s_and_saveexec_b32 s6, s50
	s_cbranch_execnz .LBB142_104
.LBB142_43:                             ;   in Loop: Header=BB142_21 Depth=1
	s_or_b32 exec_lo, exec_lo, s6
	s_and_saveexec_b32 s6, s51
	s_cbranch_execnz .LBB142_105
.LBB142_44:                             ;   in Loop: Header=BB142_21 Depth=1
	s_or_b32 exec_lo, exec_lo, s6
	s_and_saveexec_b32 s6, s52
	s_cbranch_execz .LBB142_46
.LBB142_45:                             ;   in Loop: Header=BB142_21 Depth=1
	v_add_nc_u64_e32 v[100:101], 0x380, v[100:101]
	v_add_nc_u64_e32 v[102:103], 0x80, v[96:97]
	v_add_nc_u32_e32 v99, 0xe0, v99
	s_delay_alu instid0(VALU_DEP_2) | instskip(SKIP_4) | instid1(VALU_DEP_2)
	v_dual_cndmask_b32 v101, v103, v101 :: v_dual_cndmask_b32 v100, v102, v100
	global_load_b32 v102, v[100:101], off
	s_wait_xcnt 0x0
	v_ashrrev_i64 v[100:101], 29, v[98:99]
	v_ashrrev_i64 v[98:99], 30, v[98:99]
	v_add_nc_u64_e32 v[100:101], s[28:29], v[100:101]
	s_delay_alu instid0(VALU_DEP_2)
	v_add_nc_u64_e32 v[98:99], s[24:25], v[98:99]
	global_store_b64 v[100:101], v[80:81], off
	s_wait_loadcnt 0x0
	global_store_b32 v[98:99], v102, off
.LBB142_46:                             ;   in Loop: Header=BB142_21 Depth=1
	s_wait_xcnt 0x0
	s_or_b32 exec_lo, exec_lo, s6
	v_add_nc_u64_e32 v[98:99], v[48:49], v[60:61]
	v_add_nc_u64_e32 v[100:101], s[26:27], v[16:17]
	s_and_saveexec_b32 s6, s53
	s_cbranch_execnz .LBB142_106
; %bb.47:                               ;   in Loop: Header=BB142_21 Depth=1
	s_or_b32 exec_lo, exec_lo, s6
	s_and_saveexec_b32 s6, s54
	s_cbranch_execnz .LBB142_107
.LBB142_48:                             ;   in Loop: Header=BB142_21 Depth=1
	s_or_b32 exec_lo, exec_lo, s6
	s_and_saveexec_b32 s6, s55
	s_cbranch_execnz .LBB142_108
.LBB142_49:                             ;   in Loop: Header=BB142_21 Depth=1
	s_or_b32 exec_lo, exec_lo, s6
	s_and_saveexec_b32 s6, s56
	s_cbranch_execnz .LBB142_109
.LBB142_50:                             ;   in Loop: Header=BB142_21 Depth=1
	s_or_b32 exec_lo, exec_lo, s6
	s_and_saveexec_b32 s6, s57
	s_cbranch_execnz .LBB142_110
.LBB142_51:                             ;   in Loop: Header=BB142_21 Depth=1
	s_or_b32 exec_lo, exec_lo, s6
	s_and_saveexec_b32 s6, s58
	s_cbranch_execnz .LBB142_111
.LBB142_52:                             ;   in Loop: Header=BB142_21 Depth=1
	s_or_b32 exec_lo, exec_lo, s6
	s_and_saveexec_b32 s6, s59
	s_cbranch_execnz .LBB142_112
.LBB142_53:                             ;   in Loop: Header=BB142_21 Depth=1
	s_or_b32 exec_lo, exec_lo, s6
	s_and_saveexec_b32 s6, s60
	s_cbranch_execz .LBB142_55
.LBB142_54:                             ;   in Loop: Header=BB142_21 Depth=1
	v_add_nc_u64_e32 v[100:101], 0x380, v[100:101]
	v_add_nc_u64_e32 v[102:103], 0x100, v[96:97]
	v_add_nc_u32_e32 v99, 0xe0, v99
	s_delay_alu instid0(VALU_DEP_2) | instskip(SKIP_4) | instid1(VALU_DEP_2)
	v_dual_cndmask_b32 v101, v103, v101 :: v_dual_cndmask_b32 v100, v102, v100
	global_load_b32 v102, v[100:101], off
	s_wait_xcnt 0x0
	v_ashrrev_i64 v[100:101], 29, v[98:99]
	v_ashrrev_i64 v[98:99], 30, v[98:99]
	v_add_nc_u64_e32 v[100:101], s[28:29], v[100:101]
	s_delay_alu instid0(VALU_DEP_2)
	v_add_nc_u64_e32 v[98:99], s[24:25], v[98:99]
	global_store_b64 v[100:101], v[80:81], off
	s_wait_loadcnt 0x0
	global_store_b32 v[98:99], v102, off
.LBB142_55:                             ;   in Loop: Header=BB142_21 Depth=1
	s_wait_xcnt 0x0
	s_or_b32 exec_lo, exec_lo, s6
	v_add_nc_u64_e32 v[98:99], v[48:49], v[58:59]
	v_add_nc_u64_e32 v[100:101], s[26:27], v[14:15]
	s_and_saveexec_b32 s6, s61
	s_cbranch_execnz .LBB142_113
; %bb.56:                               ;   in Loop: Header=BB142_21 Depth=1
	s_or_b32 exec_lo, exec_lo, s6
	s_and_saveexec_b32 s6, s62
	s_cbranch_execnz .LBB142_114
.LBB142_57:                             ;   in Loop: Header=BB142_21 Depth=1
	s_or_b32 exec_lo, exec_lo, s6
	s_and_saveexec_b32 s6, s63
	s_cbranch_execnz .LBB142_115
.LBB142_58:                             ;   in Loop: Header=BB142_21 Depth=1
	s_or_b32 exec_lo, exec_lo, s6
	s_and_saveexec_b32 s6, s64
	s_cbranch_execnz .LBB142_116
.LBB142_59:                             ;   in Loop: Header=BB142_21 Depth=1
	s_or_b32 exec_lo, exec_lo, s6
	s_and_saveexec_b32 s6, s65
	s_cbranch_execnz .LBB142_117
.LBB142_60:                             ;   in Loop: Header=BB142_21 Depth=1
	s_or_b32 exec_lo, exec_lo, s6
	s_and_saveexec_b32 s6, s66
	s_cbranch_execnz .LBB142_118
.LBB142_61:                             ;   in Loop: Header=BB142_21 Depth=1
	s_or_b32 exec_lo, exec_lo, s6
	s_and_saveexec_b32 s6, s67
	s_cbranch_execnz .LBB142_119
.LBB142_62:                             ;   in Loop: Header=BB142_21 Depth=1
	s_or_b32 exec_lo, exec_lo, s6
	s_and_saveexec_b32 s6, s68
	s_cbranch_execz .LBB142_64
.LBB142_63:                             ;   in Loop: Header=BB142_21 Depth=1
	v_add_nc_u64_e32 v[100:101], 0x380, v[100:101]
	v_add_nc_u64_e32 v[102:103], 0x180, v[96:97]
	v_add_nc_u32_e32 v99, 0xe0, v99
	s_delay_alu instid0(VALU_DEP_2) | instskip(SKIP_4) | instid1(VALU_DEP_2)
	v_dual_cndmask_b32 v101, v103, v101 :: v_dual_cndmask_b32 v100, v102, v100
	global_load_b32 v102, v[100:101], off
	s_wait_xcnt 0x0
	v_ashrrev_i64 v[100:101], 29, v[98:99]
	v_ashrrev_i64 v[98:99], 30, v[98:99]
	v_add_nc_u64_e32 v[100:101], s[28:29], v[100:101]
	s_delay_alu instid0(VALU_DEP_2)
	v_add_nc_u64_e32 v[98:99], s[24:25], v[98:99]
	global_store_b64 v[100:101], v[80:81], off
	s_wait_loadcnt 0x0
	global_store_b32 v[98:99], v102, off
.LBB142_64:                             ;   in Loop: Header=BB142_21 Depth=1
	s_wait_xcnt 0x0
	s_or_b32 exec_lo, exec_lo, s6
	v_add_nc_u64_e32 v[98:99], v[48:49], v[56:57]
	v_add_nc_u64_e32 v[100:101], s[26:27], v[12:13]
	s_and_saveexec_b32 s6, s69
	s_cbranch_execnz .LBB142_120
; %bb.65:                               ;   in Loop: Header=BB142_21 Depth=1
	s_or_b32 exec_lo, exec_lo, s6
	s_and_saveexec_b32 s6, s70
	s_cbranch_execnz .LBB142_121
.LBB142_66:                             ;   in Loop: Header=BB142_21 Depth=1
	s_or_b32 exec_lo, exec_lo, s6
	s_and_saveexec_b32 s6, s71
	s_cbranch_execnz .LBB142_122
.LBB142_67:                             ;   in Loop: Header=BB142_21 Depth=1
	s_or_b32 exec_lo, exec_lo, s6
	s_and_saveexec_b32 s6, s72
	s_cbranch_execnz .LBB142_123
.LBB142_68:                             ;   in Loop: Header=BB142_21 Depth=1
	s_or_b32 exec_lo, exec_lo, s6
	s_and_saveexec_b32 s6, s73
	s_cbranch_execnz .LBB142_124
.LBB142_69:                             ;   in Loop: Header=BB142_21 Depth=1
	s_or_b32 exec_lo, exec_lo, s6
	s_and_saveexec_b32 s6, s74
	s_cbranch_execnz .LBB142_125
.LBB142_70:                             ;   in Loop: Header=BB142_21 Depth=1
	s_or_b32 exec_lo, exec_lo, s6
	s_and_saveexec_b32 s6, s75
	s_cbranch_execnz .LBB142_126
.LBB142_71:                             ;   in Loop: Header=BB142_21 Depth=1
	s_or_b32 exec_lo, exec_lo, s6
	s_and_saveexec_b32 s6, s76
	s_cbranch_execz .LBB142_73
.LBB142_72:                             ;   in Loop: Header=BB142_21 Depth=1
	v_add_nc_u64_e32 v[100:101], 0x380, v[100:101]
	v_add_nc_u64_e32 v[102:103], 0x200, v[96:97]
	v_add_nc_u32_e32 v99, 0xe0, v99
	s_delay_alu instid0(VALU_DEP_2) | instskip(SKIP_4) | instid1(VALU_DEP_2)
	v_dual_cndmask_b32 v101, v103, v101 :: v_dual_cndmask_b32 v100, v102, v100
	global_load_b32 v102, v[100:101], off
	s_wait_xcnt 0x0
	v_ashrrev_i64 v[100:101], 29, v[98:99]
	v_ashrrev_i64 v[98:99], 30, v[98:99]
	v_add_nc_u64_e32 v[100:101], s[28:29], v[100:101]
	s_delay_alu instid0(VALU_DEP_2)
	v_add_nc_u64_e32 v[98:99], s[24:25], v[98:99]
	global_store_b64 v[100:101], v[80:81], off
	s_wait_loadcnt 0x0
	global_store_b32 v[98:99], v102, off
.LBB142_73:                             ;   in Loop: Header=BB142_21 Depth=1
	s_wait_xcnt 0x0
	s_or_b32 exec_lo, exec_lo, s6
	v_add_nc_u64_e32 v[98:99], v[48:49], v[54:55]
	v_add_nc_u64_e32 v[100:101], s[26:27], v[10:11]
	s_and_saveexec_b32 s6, s77
	s_cbranch_execnz .LBB142_127
; %bb.74:                               ;   in Loop: Header=BB142_21 Depth=1
	s_or_b32 exec_lo, exec_lo, s6
	s_and_saveexec_b32 s6, s78
	s_cbranch_execnz .LBB142_128
.LBB142_75:                             ;   in Loop: Header=BB142_21 Depth=1
	s_or_b32 exec_lo, exec_lo, s6
	s_and_saveexec_b32 s6, s79
	s_cbranch_execnz .LBB142_129
.LBB142_76:                             ;   in Loop: Header=BB142_21 Depth=1
	s_or_b32 exec_lo, exec_lo, s6
	s_and_saveexec_b32 s6, s80
	s_cbranch_execnz .LBB142_130
.LBB142_77:                             ;   in Loop: Header=BB142_21 Depth=1
	s_or_b32 exec_lo, exec_lo, s6
	s_and_saveexec_b32 s6, s81
	s_cbranch_execnz .LBB142_131
.LBB142_78:                             ;   in Loop: Header=BB142_21 Depth=1
	s_or_b32 exec_lo, exec_lo, s6
	s_and_saveexec_b32 s6, s82
	s_cbranch_execnz .LBB142_132
.LBB142_79:                             ;   in Loop: Header=BB142_21 Depth=1
	s_or_b32 exec_lo, exec_lo, s6
	s_and_saveexec_b32 s6, s83
	s_cbranch_execnz .LBB142_133
.LBB142_80:                             ;   in Loop: Header=BB142_21 Depth=1
	s_or_b32 exec_lo, exec_lo, s6
	s_and_saveexec_b32 s6, s84
	s_cbranch_execz .LBB142_82
.LBB142_81:                             ;   in Loop: Header=BB142_21 Depth=1
	v_add_nc_u64_e32 v[100:101], 0x380, v[100:101]
	v_add_nc_u64_e32 v[102:103], 0x280, v[96:97]
	v_add_nc_u32_e32 v99, 0xe0, v99
	s_delay_alu instid0(VALU_DEP_2) | instskip(SKIP_4) | instid1(VALU_DEP_2)
	v_dual_cndmask_b32 v101, v103, v101 :: v_dual_cndmask_b32 v100, v102, v100
	global_load_b32 v102, v[100:101], off
	s_wait_xcnt 0x0
	v_ashrrev_i64 v[100:101], 29, v[98:99]
	v_ashrrev_i64 v[98:99], 30, v[98:99]
	v_add_nc_u64_e32 v[100:101], s[28:29], v[100:101]
	s_delay_alu instid0(VALU_DEP_2)
	v_add_nc_u64_e32 v[98:99], s[24:25], v[98:99]
	global_store_b64 v[100:101], v[80:81], off
	s_wait_loadcnt 0x0
	global_store_b32 v[98:99], v102, off
.LBB142_82:                             ;   in Loop: Header=BB142_21 Depth=1
	s_wait_xcnt 0x0
	s_or_b32 exec_lo, exec_lo, s6
	v_add_nc_u64_e32 v[98:99], v[48:49], v[52:53]
	v_add_nc_u64_e32 v[100:101], s[26:27], v[8:9]
	s_and_saveexec_b32 s6, s85
	s_cbranch_execnz .LBB142_134
; %bb.83:                               ;   in Loop: Header=BB142_21 Depth=1
	s_or_b32 exec_lo, exec_lo, s6
	s_and_saveexec_b32 s6, s86
	s_cbranch_execnz .LBB142_135
.LBB142_84:                             ;   in Loop: Header=BB142_21 Depth=1
	s_or_b32 exec_lo, exec_lo, s6
	s_and_saveexec_b32 s6, s87
	s_cbranch_execnz .LBB142_136
.LBB142_85:                             ;   in Loop: Header=BB142_21 Depth=1
	s_or_b32 exec_lo, exec_lo, s6
	s_and_saveexec_b32 s6, s88
	s_cbranch_execnz .LBB142_137
.LBB142_86:                             ;   in Loop: Header=BB142_21 Depth=1
	s_or_b32 exec_lo, exec_lo, s6
	s_and_saveexec_b32 s6, s89
	s_cbranch_execnz .LBB142_138
.LBB142_87:                             ;   in Loop: Header=BB142_21 Depth=1
	s_or_b32 exec_lo, exec_lo, s6
	s_and_saveexec_b32 s6, s90
	s_cbranch_execnz .LBB142_139
.LBB142_88:                             ;   in Loop: Header=BB142_21 Depth=1
	s_or_b32 exec_lo, exec_lo, s6
	s_and_saveexec_b32 s6, s91
	s_cbranch_execnz .LBB142_140
.LBB142_89:                             ;   in Loop: Header=BB142_21 Depth=1
	s_or_b32 exec_lo, exec_lo, s6
	s_and_saveexec_b32 s6, s8
	s_cbranch_execz .LBB142_91
.LBB142_90:                             ;   in Loop: Header=BB142_21 Depth=1
	v_add_nc_u64_e32 v[100:101], 0x380, v[100:101]
	v_add_nc_u64_e32 v[102:103], 0x300, v[96:97]
	v_add_nc_u32_e32 v99, 0xe0, v99
	s_delay_alu instid0(VALU_DEP_2) | instskip(SKIP_4) | instid1(VALU_DEP_2)
	v_dual_cndmask_b32 v101, v103, v101 :: v_dual_cndmask_b32 v100, v102, v100
	global_load_b32 v102, v[100:101], off
	s_wait_xcnt 0x0
	v_ashrrev_i64 v[100:101], 29, v[98:99]
	v_ashrrev_i64 v[98:99], 30, v[98:99]
	v_add_nc_u64_e32 v[100:101], s[28:29], v[100:101]
	s_delay_alu instid0(VALU_DEP_2)
	v_add_nc_u64_e32 v[98:99], s[24:25], v[98:99]
	global_store_b64 v[100:101], v[80:81], off
	s_wait_loadcnt 0x0
	global_store_b32 v[98:99], v102, off
.LBB142_91:                             ;   in Loop: Header=BB142_21 Depth=1
	s_wait_xcnt 0x0
	s_or_b32 exec_lo, exec_lo, s6
	v_add_nc_u64_e32 v[98:99], v[48:49], v[50:51]
	v_add_nc_u64_e32 v[100:101], s[26:27], v[6:7]
	s_and_saveexec_b32 s6, s92
	s_cbranch_execnz .LBB142_141
; %bb.92:                               ;   in Loop: Header=BB142_21 Depth=1
	s_or_b32 exec_lo, exec_lo, s6
	s_and_saveexec_b32 s6, s93
	s_cbranch_execnz .LBB142_142
.LBB142_93:                             ;   in Loop: Header=BB142_21 Depth=1
	s_or_b32 exec_lo, exec_lo, s6
	s_and_saveexec_b32 s6, s10
	s_cbranch_execnz .LBB142_143
.LBB142_94:                             ;   in Loop: Header=BB142_21 Depth=1
	s_or_b32 exec_lo, exec_lo, s6
	s_and_saveexec_b32 s6, s11
	s_cbranch_execnz .LBB142_144
.LBB142_95:                             ;   in Loop: Header=BB142_21 Depth=1
	s_or_b32 exec_lo, exec_lo, s6
	s_and_saveexec_b32 s6, s12
	s_cbranch_execnz .LBB142_145
.LBB142_96:                             ;   in Loop: Header=BB142_21 Depth=1
	s_or_b32 exec_lo, exec_lo, s6
	s_and_saveexec_b32 s6, s13
	s_cbranch_execnz .LBB142_146
.LBB142_97:                             ;   in Loop: Header=BB142_21 Depth=1
	s_or_b32 exec_lo, exec_lo, s6
	s_and_saveexec_b32 s6, s14
	s_cbranch_execnz .LBB142_147
.LBB142_98:                             ;   in Loop: Header=BB142_21 Depth=1
	s_or_b32 exec_lo, exec_lo, s6
	s_and_saveexec_b32 s6, s9
	s_cbranch_execz .LBB142_20
	s_branch .LBB142_148
.LBB142_99:                             ;   in Loop: Header=BB142_21 Depth=1
	v_add_nc_u64_e32 v[102:103], 0x80, v[90:91]
	s_delay_alu instid0(VALU_DEP_3) | instskip(NEXT) | instid1(VALU_DEP_2)
	v_ashrrev_i64 v[104:105], 30, v[98:99]
	v_dual_cndmask_b32 v103, v103, v101 :: v_dual_cndmask_b32 v102, v102, v100
	s_delay_alu instid0(VALU_DEP_2) | instskip(SKIP_3) | instid1(VALU_DEP_1)
	v_add_nc_u64_e32 v[104:105], s[24:25], v[104:105]
	global_load_b32 v106, v[102:103], off
	s_wait_xcnt 0x0
	v_ashrrev_i64 v[102:103], 29, v[98:99]
	v_add_nc_u64_e32 v[102:103], s[28:29], v[102:103]
	global_store_b64 v[102:103], v[76:77], off
	s_wait_loadcnt 0x0
	global_store_b32 v[104:105], v106, off
	s_wait_xcnt 0x0
	s_or_b32 exec_lo, exec_lo, s6
	s_and_saveexec_b32 s6, s46
	s_cbranch_execz .LBB142_39
.LBB142_100:                            ;   in Loop: Header=BB142_21 Depth=1
	s_delay_alu instid0(VALU_DEP_1) | instskip(SKIP_3) | instid1(VALU_DEP_1)
	v_dual_cndmask_b32 v103, v83, v101 :: v_dual_cndmask_b32 v102, v82, v100
	global_load_b32 v106, v[102:103], off offset:128
	s_wait_xcnt 0x0
	v_dual_mov_b32 v102, v98 :: v_dual_add_nc_u32 v103, 32, v99
	v_ashrrev_i64 v[104:105], 29, v[102:103]
	v_ashrrev_i64 v[102:103], 30, v[102:103]
	s_delay_alu instid0(VALU_DEP_2) | instskip(NEXT) | instid1(VALU_DEP_2)
	v_add_nc_u64_e32 v[104:105], s[28:29], v[104:105]
	v_add_nc_u64_e32 v[102:103], s[24:25], v[102:103]
	global_store_b64 v[104:105], v[66:67], off
	s_wait_loadcnt 0x0
	global_store_b32 v[102:103], v106, off
	s_wait_xcnt 0x0
	s_or_b32 exec_lo, exec_lo, s6
	s_and_saveexec_b32 s6, s47
	s_cbranch_execz .LBB142_40
.LBB142_101:                            ;   in Loop: Header=BB142_21 Depth=1
	v_add_nc_u64_e32 v[102:103], 0x100, v[100:101]
	v_add_nc_u64_e32 v[104:105], 0x80, v[84:85]
	s_delay_alu instid0(VALU_DEP_1) | instskip(SKIP_3) | instid1(VALU_DEP_1)
	v_dual_cndmask_b32 v103, v105, v103 :: v_dual_cndmask_b32 v102, v104, v102
	global_load_b32 v106, v[102:103], off
	s_wait_xcnt 0x0
	v_dual_mov_b32 v102, v98 :: v_dual_add_nc_u32 v103, 64, v99
	v_ashrrev_i64 v[104:105], 29, v[102:103]
	v_ashrrev_i64 v[102:103], 30, v[102:103]
	s_delay_alu instid0(VALU_DEP_2) | instskip(NEXT) | instid1(VALU_DEP_2)
	v_add_nc_u64_e32 v[104:105], s[28:29], v[104:105]
	v_add_nc_u64_e32 v[102:103], s[24:25], v[102:103]
	global_store_b64 v[104:105], v[68:69], off
	s_wait_loadcnt 0x0
	global_store_b32 v[102:103], v106, off
	s_wait_xcnt 0x0
	s_or_b32 exec_lo, exec_lo, s6
	s_and_saveexec_b32 s6, s48
	s_cbranch_execz .LBB142_41
.LBB142_102:                            ;   in Loop: Header=BB142_21 Depth=1
	v_add_nc_u64_e32 v[102:103], 0x180, v[100:101]
	v_add_nc_u64_e32 v[104:105], 0x80, v[86:87]
	s_delay_alu instid0(VALU_DEP_1) | instskip(SKIP_3) | instid1(VALU_DEP_1)
	v_dual_cndmask_b32 v103, v105, v103 :: v_dual_cndmask_b32 v102, v104, v102
	global_load_b32 v106, v[102:103], off
	s_wait_xcnt 0x0
	v_dual_mov_b32 v102, v98 :: v_dual_add_nc_u32 v103, 0x60, v99
	v_ashrrev_i64 v[104:105], 29, v[102:103]
	v_ashrrev_i64 v[102:103], 30, v[102:103]
	s_delay_alu instid0(VALU_DEP_2) | instskip(NEXT) | instid1(VALU_DEP_2)
	v_add_nc_u64_e32 v[104:105], s[28:29], v[104:105]
	v_add_nc_u64_e32 v[102:103], s[24:25], v[102:103]
	global_store_b64 v[104:105], v[70:71], off
	s_wait_loadcnt 0x0
	global_store_b32 v[102:103], v106, off
	s_wait_xcnt 0x0
	s_or_b32 exec_lo, exec_lo, s6
	s_and_saveexec_b32 s6, s49
	s_cbranch_execz .LBB142_42
.LBB142_103:                            ;   in Loop: Header=BB142_21 Depth=1
	v_add_nc_u64_e32 v[102:103], 0x200, v[100:101]
	v_add_nc_u64_e32 v[104:105], 0x80, v[88:89]
	s_delay_alu instid0(VALU_DEP_1) | instskip(SKIP_3) | instid1(VALU_DEP_1)
	v_dual_cndmask_b32 v103, v105, v103 :: v_dual_cndmask_b32 v102, v104, v102
	global_load_b32 v106, v[102:103], off
	s_wait_xcnt 0x0
	v_dual_mov_b32 v102, v98 :: v_dual_add_nc_u32 v103, 0x80, v99
	v_ashrrev_i64 v[104:105], 29, v[102:103]
	v_ashrrev_i64 v[102:103], 30, v[102:103]
	s_delay_alu instid0(VALU_DEP_2) | instskip(NEXT) | instid1(VALU_DEP_2)
	v_add_nc_u64_e32 v[104:105], s[28:29], v[104:105]
	v_add_nc_u64_e32 v[102:103], s[24:25], v[102:103]
	global_store_b64 v[104:105], v[72:73], off
	s_wait_loadcnt 0x0
	global_store_b32 v[102:103], v106, off
	s_wait_xcnt 0x0
	s_or_b32 exec_lo, exec_lo, s6
	s_and_saveexec_b32 s6, s50
	s_cbranch_execz .LBB142_43
.LBB142_104:                            ;   in Loop: Header=BB142_21 Depth=1
	v_add_nc_u64_e32 v[102:103], 0x280, v[100:101]
	v_add_nc_u64_e32 v[104:105], 0x80, v[92:93]
	s_delay_alu instid0(VALU_DEP_1) | instskip(SKIP_3) | instid1(VALU_DEP_1)
	v_dual_cndmask_b32 v103, v105, v103 :: v_dual_cndmask_b32 v102, v104, v102
	global_load_b32 v106, v[102:103], off
	s_wait_xcnt 0x0
	v_dual_mov_b32 v102, v98 :: v_dual_add_nc_u32 v103, 0xa0, v99
	v_ashrrev_i64 v[104:105], 29, v[102:103]
	v_ashrrev_i64 v[102:103], 30, v[102:103]
	s_delay_alu instid0(VALU_DEP_2) | instskip(NEXT) | instid1(VALU_DEP_2)
	v_add_nc_u64_e32 v[104:105], s[28:29], v[104:105]
	v_add_nc_u64_e32 v[102:103], s[24:25], v[102:103]
	global_store_b64 v[104:105], v[74:75], off
	s_wait_loadcnt 0x0
	global_store_b32 v[102:103], v106, off
	s_wait_xcnt 0x0
	s_or_b32 exec_lo, exec_lo, s6
	s_and_saveexec_b32 s6, s51
	s_cbranch_execz .LBB142_44
.LBB142_105:                            ;   in Loop: Header=BB142_21 Depth=1
	v_add_nc_u64_e32 v[102:103], 0x300, v[100:101]
	v_add_nc_u64_e32 v[104:105], 0x80, v[94:95]
	s_delay_alu instid0(VALU_DEP_1) | instskip(SKIP_3) | instid1(VALU_DEP_1)
	v_dual_cndmask_b32 v103, v105, v103 :: v_dual_cndmask_b32 v102, v104, v102
	global_load_b32 v106, v[102:103], off
	s_wait_xcnt 0x0
	v_dual_mov_b32 v102, v98 :: v_dual_add_nc_u32 v103, 0xc0, v99
	v_ashrrev_i64 v[104:105], 29, v[102:103]
	v_ashrrev_i64 v[102:103], 30, v[102:103]
	s_delay_alu instid0(VALU_DEP_2) | instskip(NEXT) | instid1(VALU_DEP_2)
	v_add_nc_u64_e32 v[104:105], s[28:29], v[104:105]
	v_add_nc_u64_e32 v[102:103], s[24:25], v[102:103]
	global_store_b64 v[104:105], v[78:79], off
	s_wait_loadcnt 0x0
	global_store_b32 v[102:103], v106, off
	s_wait_xcnt 0x0
	s_or_b32 exec_lo, exec_lo, s6
	s_and_saveexec_b32 s6, s52
	s_cbranch_execnz .LBB142_45
	s_branch .LBB142_46
.LBB142_106:                            ;   in Loop: Header=BB142_21 Depth=1
	v_add_nc_u64_e32 v[102:103], 0x100, v[90:91]
	s_delay_alu instid0(VALU_DEP_3) | instskip(NEXT) | instid1(VALU_DEP_2)
	v_ashrrev_i64 v[104:105], 30, v[98:99]
	v_dual_cndmask_b32 v103, v103, v101 :: v_dual_cndmask_b32 v102, v102, v100
	s_delay_alu instid0(VALU_DEP_2) | instskip(SKIP_3) | instid1(VALU_DEP_1)
	v_add_nc_u64_e32 v[104:105], s[24:25], v[104:105]
	global_load_b32 v106, v[102:103], off
	s_wait_xcnt 0x0
	v_ashrrev_i64 v[102:103], 29, v[98:99]
	v_add_nc_u64_e32 v[102:103], s[28:29], v[102:103]
	global_store_b64 v[102:103], v[76:77], off
	s_wait_loadcnt 0x0
	global_store_b32 v[104:105], v106, off
	s_wait_xcnt 0x0
	s_or_b32 exec_lo, exec_lo, s6
	s_and_saveexec_b32 s6, s54
	s_cbranch_execz .LBB142_48
.LBB142_107:                            ;   in Loop: Header=BB142_21 Depth=1
	s_delay_alu instid0(VALU_DEP_1) | instskip(SKIP_1) | instid1(VALU_DEP_1)
	v_add_nc_u64_e32 v[102:103], 0x80, v[100:101]
	v_add_nc_u64_e32 v[104:105], 0x100, v[82:83]
	v_dual_cndmask_b32 v103, v105, v103 :: v_dual_cndmask_b32 v102, v104, v102
	global_load_b32 v106, v[102:103], off
	s_wait_xcnt 0x0
	v_dual_mov_b32 v102, v98 :: v_dual_add_nc_u32 v103, 32, v99
	s_delay_alu instid0(VALU_DEP_1) | instskip(SKIP_1) | instid1(VALU_DEP_2)
	v_ashrrev_i64 v[104:105], 29, v[102:103]
	v_ashrrev_i64 v[102:103], 30, v[102:103]
	v_add_nc_u64_e32 v[104:105], s[28:29], v[104:105]
	s_delay_alu instid0(VALU_DEP_2)
	v_add_nc_u64_e32 v[102:103], s[24:25], v[102:103]
	global_store_b64 v[104:105], v[66:67], off
	s_wait_loadcnt 0x0
	global_store_b32 v[102:103], v106, off
	s_wait_xcnt 0x0
	s_or_b32 exec_lo, exec_lo, s6
	s_and_saveexec_b32 s6, s55
	s_cbranch_execz .LBB142_49
.LBB142_108:                            ;   in Loop: Header=BB142_21 Depth=1
	v_dual_cndmask_b32 v103, v85, v101 :: v_dual_cndmask_b32 v102, v84, v100
	global_load_b32 v106, v[102:103], off offset:256
	s_wait_xcnt 0x0
	v_dual_mov_b32 v102, v98 :: v_dual_add_nc_u32 v103, 64, v99
	s_delay_alu instid0(VALU_DEP_1) | instskip(SKIP_1) | instid1(VALU_DEP_2)
	v_ashrrev_i64 v[104:105], 29, v[102:103]
	v_ashrrev_i64 v[102:103], 30, v[102:103]
	v_add_nc_u64_e32 v[104:105], s[28:29], v[104:105]
	s_delay_alu instid0(VALU_DEP_2)
	v_add_nc_u64_e32 v[102:103], s[24:25], v[102:103]
	global_store_b64 v[104:105], v[68:69], off
	s_wait_loadcnt 0x0
	global_store_b32 v[102:103], v106, off
	s_wait_xcnt 0x0
	s_or_b32 exec_lo, exec_lo, s6
	s_and_saveexec_b32 s6, s56
	s_cbranch_execz .LBB142_50
.LBB142_109:                            ;   in Loop: Header=BB142_21 Depth=1
	v_add_nc_u64_e32 v[102:103], 0x180, v[100:101]
	v_add_nc_u64_e32 v[104:105], 0x100, v[86:87]
	s_delay_alu instid0(VALU_DEP_1) | instskip(SKIP_3) | instid1(VALU_DEP_1)
	v_dual_cndmask_b32 v103, v105, v103 :: v_dual_cndmask_b32 v102, v104, v102
	global_load_b32 v106, v[102:103], off
	s_wait_xcnt 0x0
	v_dual_mov_b32 v102, v98 :: v_dual_add_nc_u32 v103, 0x60, v99
	v_ashrrev_i64 v[104:105], 29, v[102:103]
	v_ashrrev_i64 v[102:103], 30, v[102:103]
	s_delay_alu instid0(VALU_DEP_2) | instskip(NEXT) | instid1(VALU_DEP_2)
	v_add_nc_u64_e32 v[104:105], s[28:29], v[104:105]
	v_add_nc_u64_e32 v[102:103], s[24:25], v[102:103]
	global_store_b64 v[104:105], v[70:71], off
	s_wait_loadcnt 0x0
	global_store_b32 v[102:103], v106, off
	s_wait_xcnt 0x0
	s_or_b32 exec_lo, exec_lo, s6
	s_and_saveexec_b32 s6, s57
	s_cbranch_execz .LBB142_51
.LBB142_110:                            ;   in Loop: Header=BB142_21 Depth=1
	v_add_nc_u64_e32 v[102:103], 0x200, v[100:101]
	v_add_nc_u64_e32 v[104:105], 0x100, v[88:89]
	s_delay_alu instid0(VALU_DEP_1) | instskip(SKIP_3) | instid1(VALU_DEP_1)
	v_dual_cndmask_b32 v103, v105, v103 :: v_dual_cndmask_b32 v102, v104, v102
	global_load_b32 v106, v[102:103], off
	s_wait_xcnt 0x0
	v_dual_mov_b32 v102, v98 :: v_dual_add_nc_u32 v103, 0x80, v99
	v_ashrrev_i64 v[104:105], 29, v[102:103]
	v_ashrrev_i64 v[102:103], 30, v[102:103]
	s_delay_alu instid0(VALU_DEP_2) | instskip(NEXT) | instid1(VALU_DEP_2)
	v_add_nc_u64_e32 v[104:105], s[28:29], v[104:105]
	v_add_nc_u64_e32 v[102:103], s[24:25], v[102:103]
	global_store_b64 v[104:105], v[72:73], off
	s_wait_loadcnt 0x0
	global_store_b32 v[102:103], v106, off
	s_wait_xcnt 0x0
	s_or_b32 exec_lo, exec_lo, s6
	s_and_saveexec_b32 s6, s58
	s_cbranch_execz .LBB142_52
.LBB142_111:                            ;   in Loop: Header=BB142_21 Depth=1
	v_add_nc_u64_e32 v[102:103], 0x280, v[100:101]
	v_add_nc_u64_e32 v[104:105], 0x100, v[92:93]
	s_delay_alu instid0(VALU_DEP_1) | instskip(SKIP_3) | instid1(VALU_DEP_1)
	v_dual_cndmask_b32 v103, v105, v103 :: v_dual_cndmask_b32 v102, v104, v102
	global_load_b32 v106, v[102:103], off
	s_wait_xcnt 0x0
	v_dual_mov_b32 v102, v98 :: v_dual_add_nc_u32 v103, 0xa0, v99
	v_ashrrev_i64 v[104:105], 29, v[102:103]
	v_ashrrev_i64 v[102:103], 30, v[102:103]
	s_delay_alu instid0(VALU_DEP_2) | instskip(NEXT) | instid1(VALU_DEP_2)
	v_add_nc_u64_e32 v[104:105], s[28:29], v[104:105]
	v_add_nc_u64_e32 v[102:103], s[24:25], v[102:103]
	global_store_b64 v[104:105], v[74:75], off
	s_wait_loadcnt 0x0
	global_store_b32 v[102:103], v106, off
	s_wait_xcnt 0x0
	s_or_b32 exec_lo, exec_lo, s6
	s_and_saveexec_b32 s6, s59
	s_cbranch_execz .LBB142_53
.LBB142_112:                            ;   in Loop: Header=BB142_21 Depth=1
	v_add_nc_u64_e32 v[102:103], 0x300, v[100:101]
	v_add_nc_u64_e32 v[104:105], 0x100, v[94:95]
	s_delay_alu instid0(VALU_DEP_1) | instskip(SKIP_3) | instid1(VALU_DEP_1)
	v_dual_cndmask_b32 v103, v105, v103 :: v_dual_cndmask_b32 v102, v104, v102
	global_load_b32 v106, v[102:103], off
	s_wait_xcnt 0x0
	v_dual_mov_b32 v102, v98 :: v_dual_add_nc_u32 v103, 0xc0, v99
	v_ashrrev_i64 v[104:105], 29, v[102:103]
	v_ashrrev_i64 v[102:103], 30, v[102:103]
	s_delay_alu instid0(VALU_DEP_2) | instskip(NEXT) | instid1(VALU_DEP_2)
	v_add_nc_u64_e32 v[104:105], s[28:29], v[104:105]
	v_add_nc_u64_e32 v[102:103], s[24:25], v[102:103]
	global_store_b64 v[104:105], v[78:79], off
	s_wait_loadcnt 0x0
	global_store_b32 v[102:103], v106, off
	s_wait_xcnt 0x0
	s_or_b32 exec_lo, exec_lo, s6
	s_and_saveexec_b32 s6, s60
	s_cbranch_execnz .LBB142_54
	s_branch .LBB142_55
.LBB142_113:                            ;   in Loop: Header=BB142_21 Depth=1
	v_add_nc_u64_e32 v[102:103], 0x180, v[90:91]
	s_delay_alu instid0(VALU_DEP_3) | instskip(NEXT) | instid1(VALU_DEP_2)
	v_ashrrev_i64 v[104:105], 30, v[98:99]
	v_dual_cndmask_b32 v103, v103, v101 :: v_dual_cndmask_b32 v102, v102, v100
	s_delay_alu instid0(VALU_DEP_2) | instskip(SKIP_3) | instid1(VALU_DEP_1)
	v_add_nc_u64_e32 v[104:105], s[24:25], v[104:105]
	global_load_b32 v106, v[102:103], off
	s_wait_xcnt 0x0
	v_ashrrev_i64 v[102:103], 29, v[98:99]
	v_add_nc_u64_e32 v[102:103], s[28:29], v[102:103]
	global_store_b64 v[102:103], v[76:77], off
	s_wait_loadcnt 0x0
	global_store_b32 v[104:105], v106, off
	s_wait_xcnt 0x0
	s_or_b32 exec_lo, exec_lo, s6
	s_and_saveexec_b32 s6, s62
	s_cbranch_execz .LBB142_57
.LBB142_114:                            ;   in Loop: Header=BB142_21 Depth=1
	s_delay_alu instid0(VALU_DEP_1) | instskip(SKIP_1) | instid1(VALU_DEP_1)
	v_add_nc_u64_e32 v[102:103], 0x80, v[100:101]
	v_add_nc_u64_e32 v[104:105], 0x180, v[82:83]
	v_dual_cndmask_b32 v103, v105, v103 :: v_dual_cndmask_b32 v102, v104, v102
	global_load_b32 v106, v[102:103], off
	s_wait_xcnt 0x0
	v_dual_mov_b32 v102, v98 :: v_dual_add_nc_u32 v103, 32, v99
	s_delay_alu instid0(VALU_DEP_1) | instskip(SKIP_1) | instid1(VALU_DEP_2)
	v_ashrrev_i64 v[104:105], 29, v[102:103]
	v_ashrrev_i64 v[102:103], 30, v[102:103]
	v_add_nc_u64_e32 v[104:105], s[28:29], v[104:105]
	s_delay_alu instid0(VALU_DEP_2)
	v_add_nc_u64_e32 v[102:103], s[24:25], v[102:103]
	global_store_b64 v[104:105], v[66:67], off
	s_wait_loadcnt 0x0
	global_store_b32 v[102:103], v106, off
	s_wait_xcnt 0x0
	s_or_b32 exec_lo, exec_lo, s6
	s_and_saveexec_b32 s6, s63
	s_cbranch_execz .LBB142_58
.LBB142_115:                            ;   in Loop: Header=BB142_21 Depth=1
	v_add_nc_u64_e32 v[102:103], 0x100, v[100:101]
	v_add_nc_u64_e32 v[104:105], 0x180, v[84:85]
	s_delay_alu instid0(VALU_DEP_1) | instskip(SKIP_3) | instid1(VALU_DEP_1)
	v_dual_cndmask_b32 v103, v105, v103 :: v_dual_cndmask_b32 v102, v104, v102
	global_load_b32 v106, v[102:103], off
	s_wait_xcnt 0x0
	v_dual_mov_b32 v102, v98 :: v_dual_add_nc_u32 v103, 64, v99
	v_ashrrev_i64 v[104:105], 29, v[102:103]
	v_ashrrev_i64 v[102:103], 30, v[102:103]
	s_delay_alu instid0(VALU_DEP_2) | instskip(NEXT) | instid1(VALU_DEP_2)
	v_add_nc_u64_e32 v[104:105], s[28:29], v[104:105]
	v_add_nc_u64_e32 v[102:103], s[24:25], v[102:103]
	global_store_b64 v[104:105], v[68:69], off
	s_wait_loadcnt 0x0
	global_store_b32 v[102:103], v106, off
	s_wait_xcnt 0x0
	s_or_b32 exec_lo, exec_lo, s6
	s_and_saveexec_b32 s6, s64
	s_cbranch_execz .LBB142_59
.LBB142_116:                            ;   in Loop: Header=BB142_21 Depth=1
	v_dual_cndmask_b32 v103, v87, v101 :: v_dual_cndmask_b32 v102, v86, v100
	global_load_b32 v106, v[102:103], off offset:384
	s_wait_xcnt 0x0
	v_dual_mov_b32 v102, v98 :: v_dual_add_nc_u32 v103, 0x60, v99
	s_delay_alu instid0(VALU_DEP_1) | instskip(SKIP_1) | instid1(VALU_DEP_2)
	v_ashrrev_i64 v[104:105], 29, v[102:103]
	v_ashrrev_i64 v[102:103], 30, v[102:103]
	v_add_nc_u64_e32 v[104:105], s[28:29], v[104:105]
	s_delay_alu instid0(VALU_DEP_2)
	v_add_nc_u64_e32 v[102:103], s[24:25], v[102:103]
	global_store_b64 v[104:105], v[70:71], off
	s_wait_loadcnt 0x0
	global_store_b32 v[102:103], v106, off
	s_wait_xcnt 0x0
	s_or_b32 exec_lo, exec_lo, s6
	s_and_saveexec_b32 s6, s65
	s_cbranch_execz .LBB142_60
.LBB142_117:                            ;   in Loop: Header=BB142_21 Depth=1
	v_add_nc_u64_e32 v[102:103], 0x200, v[100:101]
	v_add_nc_u64_e32 v[104:105], 0x180, v[88:89]
	s_delay_alu instid0(VALU_DEP_1) | instskip(SKIP_3) | instid1(VALU_DEP_1)
	v_dual_cndmask_b32 v103, v105, v103 :: v_dual_cndmask_b32 v102, v104, v102
	global_load_b32 v106, v[102:103], off
	s_wait_xcnt 0x0
	v_dual_mov_b32 v102, v98 :: v_dual_add_nc_u32 v103, 0x80, v99
	v_ashrrev_i64 v[104:105], 29, v[102:103]
	v_ashrrev_i64 v[102:103], 30, v[102:103]
	s_delay_alu instid0(VALU_DEP_2) | instskip(NEXT) | instid1(VALU_DEP_2)
	v_add_nc_u64_e32 v[104:105], s[28:29], v[104:105]
	v_add_nc_u64_e32 v[102:103], s[24:25], v[102:103]
	global_store_b64 v[104:105], v[72:73], off
	s_wait_loadcnt 0x0
	global_store_b32 v[102:103], v106, off
	s_wait_xcnt 0x0
	s_or_b32 exec_lo, exec_lo, s6
	s_and_saveexec_b32 s6, s66
	s_cbranch_execz .LBB142_61
.LBB142_118:                            ;   in Loop: Header=BB142_21 Depth=1
	v_add_nc_u64_e32 v[102:103], 0x280, v[100:101]
	v_add_nc_u64_e32 v[104:105], 0x180, v[92:93]
	s_delay_alu instid0(VALU_DEP_1) | instskip(SKIP_3) | instid1(VALU_DEP_1)
	v_dual_cndmask_b32 v103, v105, v103 :: v_dual_cndmask_b32 v102, v104, v102
	global_load_b32 v106, v[102:103], off
	s_wait_xcnt 0x0
	v_dual_mov_b32 v102, v98 :: v_dual_add_nc_u32 v103, 0xa0, v99
	v_ashrrev_i64 v[104:105], 29, v[102:103]
	v_ashrrev_i64 v[102:103], 30, v[102:103]
	s_delay_alu instid0(VALU_DEP_2) | instskip(NEXT) | instid1(VALU_DEP_2)
	v_add_nc_u64_e32 v[104:105], s[28:29], v[104:105]
	v_add_nc_u64_e32 v[102:103], s[24:25], v[102:103]
	global_store_b64 v[104:105], v[74:75], off
	s_wait_loadcnt 0x0
	global_store_b32 v[102:103], v106, off
	s_wait_xcnt 0x0
	s_or_b32 exec_lo, exec_lo, s6
	s_and_saveexec_b32 s6, s67
	s_cbranch_execz .LBB142_62
.LBB142_119:                            ;   in Loop: Header=BB142_21 Depth=1
	v_add_nc_u64_e32 v[102:103], 0x300, v[100:101]
	v_add_nc_u64_e32 v[104:105], 0x180, v[94:95]
	s_delay_alu instid0(VALU_DEP_1) | instskip(SKIP_3) | instid1(VALU_DEP_1)
	v_dual_cndmask_b32 v103, v105, v103 :: v_dual_cndmask_b32 v102, v104, v102
	global_load_b32 v106, v[102:103], off
	s_wait_xcnt 0x0
	v_dual_mov_b32 v102, v98 :: v_dual_add_nc_u32 v103, 0xc0, v99
	v_ashrrev_i64 v[104:105], 29, v[102:103]
	v_ashrrev_i64 v[102:103], 30, v[102:103]
	s_delay_alu instid0(VALU_DEP_2) | instskip(NEXT) | instid1(VALU_DEP_2)
	v_add_nc_u64_e32 v[104:105], s[28:29], v[104:105]
	v_add_nc_u64_e32 v[102:103], s[24:25], v[102:103]
	global_store_b64 v[104:105], v[78:79], off
	s_wait_loadcnt 0x0
	global_store_b32 v[102:103], v106, off
	s_wait_xcnt 0x0
	s_or_b32 exec_lo, exec_lo, s6
	s_and_saveexec_b32 s6, s68
	s_cbranch_execnz .LBB142_63
	s_branch .LBB142_64
.LBB142_120:                            ;   in Loop: Header=BB142_21 Depth=1
	v_add_nc_u64_e32 v[102:103], 0x200, v[90:91]
	s_delay_alu instid0(VALU_DEP_3) | instskip(NEXT) | instid1(VALU_DEP_2)
	v_ashrrev_i64 v[104:105], 30, v[98:99]
	v_dual_cndmask_b32 v103, v103, v101 :: v_dual_cndmask_b32 v102, v102, v100
	s_delay_alu instid0(VALU_DEP_2) | instskip(SKIP_3) | instid1(VALU_DEP_1)
	v_add_nc_u64_e32 v[104:105], s[24:25], v[104:105]
	global_load_b32 v106, v[102:103], off
	s_wait_xcnt 0x0
	v_ashrrev_i64 v[102:103], 29, v[98:99]
	v_add_nc_u64_e32 v[102:103], s[28:29], v[102:103]
	global_store_b64 v[102:103], v[76:77], off
	s_wait_loadcnt 0x0
	global_store_b32 v[104:105], v106, off
	s_wait_xcnt 0x0
	s_or_b32 exec_lo, exec_lo, s6
	s_and_saveexec_b32 s6, s70
	s_cbranch_execz .LBB142_66
.LBB142_121:                            ;   in Loop: Header=BB142_21 Depth=1
	s_delay_alu instid0(VALU_DEP_1) | instskip(SKIP_1) | instid1(VALU_DEP_1)
	v_add_nc_u64_e32 v[102:103], 0x80, v[100:101]
	v_add_nc_u64_e32 v[104:105], 0x200, v[82:83]
	v_dual_cndmask_b32 v103, v105, v103 :: v_dual_cndmask_b32 v102, v104, v102
	global_load_b32 v106, v[102:103], off
	s_wait_xcnt 0x0
	v_dual_mov_b32 v102, v98 :: v_dual_add_nc_u32 v103, 32, v99
	s_delay_alu instid0(VALU_DEP_1) | instskip(SKIP_1) | instid1(VALU_DEP_2)
	v_ashrrev_i64 v[104:105], 29, v[102:103]
	v_ashrrev_i64 v[102:103], 30, v[102:103]
	v_add_nc_u64_e32 v[104:105], s[28:29], v[104:105]
	s_delay_alu instid0(VALU_DEP_2)
	v_add_nc_u64_e32 v[102:103], s[24:25], v[102:103]
	global_store_b64 v[104:105], v[66:67], off
	s_wait_loadcnt 0x0
	global_store_b32 v[102:103], v106, off
	s_wait_xcnt 0x0
	s_or_b32 exec_lo, exec_lo, s6
	s_and_saveexec_b32 s6, s71
	s_cbranch_execz .LBB142_67
.LBB142_122:                            ;   in Loop: Header=BB142_21 Depth=1
	v_add_nc_u64_e32 v[102:103], 0x100, v[100:101]
	v_add_nc_u64_e32 v[104:105], 0x200, v[84:85]
	s_delay_alu instid0(VALU_DEP_1) | instskip(SKIP_3) | instid1(VALU_DEP_1)
	v_dual_cndmask_b32 v103, v105, v103 :: v_dual_cndmask_b32 v102, v104, v102
	global_load_b32 v106, v[102:103], off
	s_wait_xcnt 0x0
	v_dual_mov_b32 v102, v98 :: v_dual_add_nc_u32 v103, 64, v99
	v_ashrrev_i64 v[104:105], 29, v[102:103]
	v_ashrrev_i64 v[102:103], 30, v[102:103]
	s_delay_alu instid0(VALU_DEP_2) | instskip(NEXT) | instid1(VALU_DEP_2)
	v_add_nc_u64_e32 v[104:105], s[28:29], v[104:105]
	v_add_nc_u64_e32 v[102:103], s[24:25], v[102:103]
	global_store_b64 v[104:105], v[68:69], off
	s_wait_loadcnt 0x0
	global_store_b32 v[102:103], v106, off
	s_wait_xcnt 0x0
	s_or_b32 exec_lo, exec_lo, s6
	s_and_saveexec_b32 s6, s72
	s_cbranch_execz .LBB142_68
.LBB142_123:                            ;   in Loop: Header=BB142_21 Depth=1
	v_add_nc_u64_e32 v[102:103], 0x180, v[100:101]
	v_add_nc_u64_e32 v[104:105], 0x200, v[86:87]
	s_delay_alu instid0(VALU_DEP_1) | instskip(SKIP_3) | instid1(VALU_DEP_1)
	v_dual_cndmask_b32 v103, v105, v103 :: v_dual_cndmask_b32 v102, v104, v102
	global_load_b32 v106, v[102:103], off
	s_wait_xcnt 0x0
	v_dual_mov_b32 v102, v98 :: v_dual_add_nc_u32 v103, 0x60, v99
	v_ashrrev_i64 v[104:105], 29, v[102:103]
	v_ashrrev_i64 v[102:103], 30, v[102:103]
	s_delay_alu instid0(VALU_DEP_2) | instskip(NEXT) | instid1(VALU_DEP_2)
	v_add_nc_u64_e32 v[104:105], s[28:29], v[104:105]
	v_add_nc_u64_e32 v[102:103], s[24:25], v[102:103]
	global_store_b64 v[104:105], v[70:71], off
	s_wait_loadcnt 0x0
	global_store_b32 v[102:103], v106, off
	s_wait_xcnt 0x0
	s_or_b32 exec_lo, exec_lo, s6
	s_and_saveexec_b32 s6, s73
	s_cbranch_execz .LBB142_69
.LBB142_124:                            ;   in Loop: Header=BB142_21 Depth=1
	v_dual_cndmask_b32 v103, v89, v101 :: v_dual_cndmask_b32 v102, v88, v100
	global_load_b32 v106, v[102:103], off offset:512
	s_wait_xcnt 0x0
	v_dual_mov_b32 v102, v98 :: v_dual_add_nc_u32 v103, 0x80, v99
	s_delay_alu instid0(VALU_DEP_1) | instskip(SKIP_1) | instid1(VALU_DEP_2)
	v_ashrrev_i64 v[104:105], 29, v[102:103]
	v_ashrrev_i64 v[102:103], 30, v[102:103]
	v_add_nc_u64_e32 v[104:105], s[28:29], v[104:105]
	s_delay_alu instid0(VALU_DEP_2)
	v_add_nc_u64_e32 v[102:103], s[24:25], v[102:103]
	global_store_b64 v[104:105], v[72:73], off
	s_wait_loadcnt 0x0
	global_store_b32 v[102:103], v106, off
	s_wait_xcnt 0x0
	s_or_b32 exec_lo, exec_lo, s6
	s_and_saveexec_b32 s6, s74
	s_cbranch_execz .LBB142_70
.LBB142_125:                            ;   in Loop: Header=BB142_21 Depth=1
	v_add_nc_u64_e32 v[102:103], 0x280, v[100:101]
	v_add_nc_u64_e32 v[104:105], 0x200, v[92:93]
	s_delay_alu instid0(VALU_DEP_1) | instskip(SKIP_3) | instid1(VALU_DEP_1)
	v_dual_cndmask_b32 v103, v105, v103 :: v_dual_cndmask_b32 v102, v104, v102
	global_load_b32 v106, v[102:103], off
	s_wait_xcnt 0x0
	v_dual_mov_b32 v102, v98 :: v_dual_add_nc_u32 v103, 0xa0, v99
	v_ashrrev_i64 v[104:105], 29, v[102:103]
	v_ashrrev_i64 v[102:103], 30, v[102:103]
	s_delay_alu instid0(VALU_DEP_2) | instskip(NEXT) | instid1(VALU_DEP_2)
	v_add_nc_u64_e32 v[104:105], s[28:29], v[104:105]
	v_add_nc_u64_e32 v[102:103], s[24:25], v[102:103]
	global_store_b64 v[104:105], v[74:75], off
	s_wait_loadcnt 0x0
	global_store_b32 v[102:103], v106, off
	s_wait_xcnt 0x0
	s_or_b32 exec_lo, exec_lo, s6
	s_and_saveexec_b32 s6, s75
	s_cbranch_execz .LBB142_71
.LBB142_126:                            ;   in Loop: Header=BB142_21 Depth=1
	v_add_nc_u64_e32 v[102:103], 0x300, v[100:101]
	v_add_nc_u64_e32 v[104:105], 0x200, v[94:95]
	s_delay_alu instid0(VALU_DEP_1) | instskip(SKIP_3) | instid1(VALU_DEP_1)
	v_dual_cndmask_b32 v103, v105, v103 :: v_dual_cndmask_b32 v102, v104, v102
	global_load_b32 v106, v[102:103], off
	s_wait_xcnt 0x0
	v_dual_mov_b32 v102, v98 :: v_dual_add_nc_u32 v103, 0xc0, v99
	v_ashrrev_i64 v[104:105], 29, v[102:103]
	v_ashrrev_i64 v[102:103], 30, v[102:103]
	s_delay_alu instid0(VALU_DEP_2) | instskip(NEXT) | instid1(VALU_DEP_2)
	v_add_nc_u64_e32 v[104:105], s[28:29], v[104:105]
	v_add_nc_u64_e32 v[102:103], s[24:25], v[102:103]
	global_store_b64 v[104:105], v[78:79], off
	s_wait_loadcnt 0x0
	global_store_b32 v[102:103], v106, off
	s_wait_xcnt 0x0
	s_or_b32 exec_lo, exec_lo, s6
	s_and_saveexec_b32 s6, s76
	s_cbranch_execnz .LBB142_72
	s_branch .LBB142_73
.LBB142_127:                            ;   in Loop: Header=BB142_21 Depth=1
	v_add_nc_u64_e32 v[102:103], 0x280, v[90:91]
	s_delay_alu instid0(VALU_DEP_3) | instskip(NEXT) | instid1(VALU_DEP_2)
	v_ashrrev_i64 v[104:105], 30, v[98:99]
	v_dual_cndmask_b32 v103, v103, v101 :: v_dual_cndmask_b32 v102, v102, v100
	s_delay_alu instid0(VALU_DEP_2) | instskip(SKIP_3) | instid1(VALU_DEP_1)
	v_add_nc_u64_e32 v[104:105], s[24:25], v[104:105]
	global_load_b32 v106, v[102:103], off
	s_wait_xcnt 0x0
	v_ashrrev_i64 v[102:103], 29, v[98:99]
	v_add_nc_u64_e32 v[102:103], s[28:29], v[102:103]
	global_store_b64 v[102:103], v[76:77], off
	s_wait_loadcnt 0x0
	global_store_b32 v[104:105], v106, off
	s_wait_xcnt 0x0
	s_or_b32 exec_lo, exec_lo, s6
	s_and_saveexec_b32 s6, s78
	s_cbranch_execz .LBB142_75
.LBB142_128:                            ;   in Loop: Header=BB142_21 Depth=1
	s_delay_alu instid0(VALU_DEP_1) | instskip(SKIP_1) | instid1(VALU_DEP_1)
	v_add_nc_u64_e32 v[102:103], 0x80, v[100:101]
	v_add_nc_u64_e32 v[104:105], 0x280, v[82:83]
	v_dual_cndmask_b32 v103, v105, v103 :: v_dual_cndmask_b32 v102, v104, v102
	global_load_b32 v106, v[102:103], off
	s_wait_xcnt 0x0
	v_dual_mov_b32 v102, v98 :: v_dual_add_nc_u32 v103, 32, v99
	s_delay_alu instid0(VALU_DEP_1) | instskip(SKIP_1) | instid1(VALU_DEP_2)
	v_ashrrev_i64 v[104:105], 29, v[102:103]
	v_ashrrev_i64 v[102:103], 30, v[102:103]
	v_add_nc_u64_e32 v[104:105], s[28:29], v[104:105]
	s_delay_alu instid0(VALU_DEP_2)
	v_add_nc_u64_e32 v[102:103], s[24:25], v[102:103]
	global_store_b64 v[104:105], v[66:67], off
	s_wait_loadcnt 0x0
	global_store_b32 v[102:103], v106, off
	s_wait_xcnt 0x0
	s_or_b32 exec_lo, exec_lo, s6
	s_and_saveexec_b32 s6, s79
	s_cbranch_execz .LBB142_76
.LBB142_129:                            ;   in Loop: Header=BB142_21 Depth=1
	v_add_nc_u64_e32 v[102:103], 0x100, v[100:101]
	v_add_nc_u64_e32 v[104:105], 0x280, v[84:85]
	s_delay_alu instid0(VALU_DEP_1) | instskip(SKIP_3) | instid1(VALU_DEP_1)
	v_dual_cndmask_b32 v103, v105, v103 :: v_dual_cndmask_b32 v102, v104, v102
	global_load_b32 v106, v[102:103], off
	s_wait_xcnt 0x0
	v_dual_mov_b32 v102, v98 :: v_dual_add_nc_u32 v103, 64, v99
	v_ashrrev_i64 v[104:105], 29, v[102:103]
	v_ashrrev_i64 v[102:103], 30, v[102:103]
	s_delay_alu instid0(VALU_DEP_2) | instskip(NEXT) | instid1(VALU_DEP_2)
	v_add_nc_u64_e32 v[104:105], s[28:29], v[104:105]
	v_add_nc_u64_e32 v[102:103], s[24:25], v[102:103]
	global_store_b64 v[104:105], v[68:69], off
	s_wait_loadcnt 0x0
	global_store_b32 v[102:103], v106, off
	s_wait_xcnt 0x0
	s_or_b32 exec_lo, exec_lo, s6
	s_and_saveexec_b32 s6, s80
	s_cbranch_execz .LBB142_77
.LBB142_130:                            ;   in Loop: Header=BB142_21 Depth=1
	v_add_nc_u64_e32 v[102:103], 0x180, v[100:101]
	v_add_nc_u64_e32 v[104:105], 0x280, v[86:87]
	s_delay_alu instid0(VALU_DEP_1) | instskip(SKIP_3) | instid1(VALU_DEP_1)
	v_dual_cndmask_b32 v103, v105, v103 :: v_dual_cndmask_b32 v102, v104, v102
	global_load_b32 v106, v[102:103], off
	s_wait_xcnt 0x0
	v_dual_mov_b32 v102, v98 :: v_dual_add_nc_u32 v103, 0x60, v99
	v_ashrrev_i64 v[104:105], 29, v[102:103]
	v_ashrrev_i64 v[102:103], 30, v[102:103]
	s_delay_alu instid0(VALU_DEP_2) | instskip(NEXT) | instid1(VALU_DEP_2)
	v_add_nc_u64_e32 v[104:105], s[28:29], v[104:105]
	v_add_nc_u64_e32 v[102:103], s[24:25], v[102:103]
	global_store_b64 v[104:105], v[70:71], off
	s_wait_loadcnt 0x0
	global_store_b32 v[102:103], v106, off
	s_wait_xcnt 0x0
	s_or_b32 exec_lo, exec_lo, s6
	s_and_saveexec_b32 s6, s81
	s_cbranch_execz .LBB142_78
.LBB142_131:                            ;   in Loop: Header=BB142_21 Depth=1
	v_add_nc_u64_e32 v[102:103], 0x200, v[100:101]
	v_add_nc_u64_e32 v[104:105], 0x280, v[88:89]
	s_delay_alu instid0(VALU_DEP_1) | instskip(SKIP_3) | instid1(VALU_DEP_1)
	v_dual_cndmask_b32 v103, v105, v103 :: v_dual_cndmask_b32 v102, v104, v102
	global_load_b32 v106, v[102:103], off
	s_wait_xcnt 0x0
	v_dual_mov_b32 v102, v98 :: v_dual_add_nc_u32 v103, 0x80, v99
	v_ashrrev_i64 v[104:105], 29, v[102:103]
	v_ashrrev_i64 v[102:103], 30, v[102:103]
	s_delay_alu instid0(VALU_DEP_2) | instskip(NEXT) | instid1(VALU_DEP_2)
	v_add_nc_u64_e32 v[104:105], s[28:29], v[104:105]
	v_add_nc_u64_e32 v[102:103], s[24:25], v[102:103]
	global_store_b64 v[104:105], v[72:73], off
	s_wait_loadcnt 0x0
	global_store_b32 v[102:103], v106, off
	s_wait_xcnt 0x0
	s_or_b32 exec_lo, exec_lo, s6
	s_and_saveexec_b32 s6, s82
	s_cbranch_execz .LBB142_79
.LBB142_132:                            ;   in Loop: Header=BB142_21 Depth=1
	v_dual_cndmask_b32 v103, v93, v101 :: v_dual_cndmask_b32 v102, v92, v100
	global_load_b32 v106, v[102:103], off offset:640
	s_wait_xcnt 0x0
	v_dual_mov_b32 v102, v98 :: v_dual_add_nc_u32 v103, 0xa0, v99
	s_delay_alu instid0(VALU_DEP_1) | instskip(SKIP_1) | instid1(VALU_DEP_2)
	v_ashrrev_i64 v[104:105], 29, v[102:103]
	v_ashrrev_i64 v[102:103], 30, v[102:103]
	v_add_nc_u64_e32 v[104:105], s[28:29], v[104:105]
	s_delay_alu instid0(VALU_DEP_2)
	v_add_nc_u64_e32 v[102:103], s[24:25], v[102:103]
	global_store_b64 v[104:105], v[74:75], off
	s_wait_loadcnt 0x0
	global_store_b32 v[102:103], v106, off
	s_wait_xcnt 0x0
	s_or_b32 exec_lo, exec_lo, s6
	s_and_saveexec_b32 s6, s83
	s_cbranch_execz .LBB142_80
.LBB142_133:                            ;   in Loop: Header=BB142_21 Depth=1
	v_add_nc_u64_e32 v[102:103], 0x300, v[100:101]
	v_add_nc_u64_e32 v[104:105], 0x280, v[94:95]
	s_delay_alu instid0(VALU_DEP_1) | instskip(SKIP_3) | instid1(VALU_DEP_1)
	v_dual_cndmask_b32 v103, v105, v103 :: v_dual_cndmask_b32 v102, v104, v102
	global_load_b32 v106, v[102:103], off
	s_wait_xcnt 0x0
	v_dual_mov_b32 v102, v98 :: v_dual_add_nc_u32 v103, 0xc0, v99
	v_ashrrev_i64 v[104:105], 29, v[102:103]
	v_ashrrev_i64 v[102:103], 30, v[102:103]
	s_delay_alu instid0(VALU_DEP_2) | instskip(NEXT) | instid1(VALU_DEP_2)
	v_add_nc_u64_e32 v[104:105], s[28:29], v[104:105]
	v_add_nc_u64_e32 v[102:103], s[24:25], v[102:103]
	global_store_b64 v[104:105], v[78:79], off
	s_wait_loadcnt 0x0
	global_store_b32 v[102:103], v106, off
	s_wait_xcnt 0x0
	s_or_b32 exec_lo, exec_lo, s6
	s_and_saveexec_b32 s6, s84
	s_cbranch_execnz .LBB142_81
	s_branch .LBB142_82
.LBB142_134:                            ;   in Loop: Header=BB142_21 Depth=1
	v_add_nc_u64_e32 v[102:103], 0x300, v[90:91]
	s_delay_alu instid0(VALU_DEP_3) | instskip(NEXT) | instid1(VALU_DEP_2)
	v_ashrrev_i64 v[104:105], 30, v[98:99]
	v_dual_cndmask_b32 v103, v103, v101 :: v_dual_cndmask_b32 v102, v102, v100
	s_delay_alu instid0(VALU_DEP_2) | instskip(SKIP_3) | instid1(VALU_DEP_1)
	v_add_nc_u64_e32 v[104:105], s[24:25], v[104:105]
	global_load_b32 v106, v[102:103], off
	s_wait_xcnt 0x0
	v_ashrrev_i64 v[102:103], 29, v[98:99]
	v_add_nc_u64_e32 v[102:103], s[28:29], v[102:103]
	global_store_b64 v[102:103], v[76:77], off
	s_wait_loadcnt 0x0
	global_store_b32 v[104:105], v106, off
	s_wait_xcnt 0x0
	s_or_b32 exec_lo, exec_lo, s6
	s_and_saveexec_b32 s6, s86
	s_cbranch_execz .LBB142_84
.LBB142_135:                            ;   in Loop: Header=BB142_21 Depth=1
	s_delay_alu instid0(VALU_DEP_1) | instskip(SKIP_1) | instid1(VALU_DEP_1)
	v_add_nc_u64_e32 v[102:103], 0x80, v[100:101]
	v_add_nc_u64_e32 v[104:105], 0x300, v[82:83]
	v_dual_cndmask_b32 v103, v105, v103 :: v_dual_cndmask_b32 v102, v104, v102
	global_load_b32 v106, v[102:103], off
	s_wait_xcnt 0x0
	v_dual_mov_b32 v102, v98 :: v_dual_add_nc_u32 v103, 32, v99
	s_delay_alu instid0(VALU_DEP_1) | instskip(SKIP_1) | instid1(VALU_DEP_2)
	v_ashrrev_i64 v[104:105], 29, v[102:103]
	v_ashrrev_i64 v[102:103], 30, v[102:103]
	v_add_nc_u64_e32 v[104:105], s[28:29], v[104:105]
	s_delay_alu instid0(VALU_DEP_2)
	v_add_nc_u64_e32 v[102:103], s[24:25], v[102:103]
	global_store_b64 v[104:105], v[66:67], off
	s_wait_loadcnt 0x0
	global_store_b32 v[102:103], v106, off
	s_wait_xcnt 0x0
	s_or_b32 exec_lo, exec_lo, s6
	s_and_saveexec_b32 s6, s87
	s_cbranch_execz .LBB142_85
.LBB142_136:                            ;   in Loop: Header=BB142_21 Depth=1
	v_add_nc_u64_e32 v[102:103], 0x100, v[100:101]
	v_add_nc_u64_e32 v[104:105], 0x300, v[84:85]
	s_delay_alu instid0(VALU_DEP_1) | instskip(SKIP_3) | instid1(VALU_DEP_1)
	v_dual_cndmask_b32 v103, v105, v103 :: v_dual_cndmask_b32 v102, v104, v102
	global_load_b32 v106, v[102:103], off
	s_wait_xcnt 0x0
	v_dual_mov_b32 v102, v98 :: v_dual_add_nc_u32 v103, 64, v99
	v_ashrrev_i64 v[104:105], 29, v[102:103]
	v_ashrrev_i64 v[102:103], 30, v[102:103]
	s_delay_alu instid0(VALU_DEP_2) | instskip(NEXT) | instid1(VALU_DEP_2)
	v_add_nc_u64_e32 v[104:105], s[28:29], v[104:105]
	v_add_nc_u64_e32 v[102:103], s[24:25], v[102:103]
	global_store_b64 v[104:105], v[68:69], off
	s_wait_loadcnt 0x0
	global_store_b32 v[102:103], v106, off
	s_wait_xcnt 0x0
	s_or_b32 exec_lo, exec_lo, s6
	s_and_saveexec_b32 s6, s88
	s_cbranch_execz .LBB142_86
.LBB142_137:                            ;   in Loop: Header=BB142_21 Depth=1
	v_add_nc_u64_e32 v[102:103], 0x180, v[100:101]
	v_add_nc_u64_e32 v[104:105], 0x300, v[86:87]
	s_delay_alu instid0(VALU_DEP_1) | instskip(SKIP_3) | instid1(VALU_DEP_1)
	v_dual_cndmask_b32 v103, v105, v103 :: v_dual_cndmask_b32 v102, v104, v102
	global_load_b32 v106, v[102:103], off
	s_wait_xcnt 0x0
	v_dual_mov_b32 v102, v98 :: v_dual_add_nc_u32 v103, 0x60, v99
	v_ashrrev_i64 v[104:105], 29, v[102:103]
	v_ashrrev_i64 v[102:103], 30, v[102:103]
	s_delay_alu instid0(VALU_DEP_2) | instskip(NEXT) | instid1(VALU_DEP_2)
	v_add_nc_u64_e32 v[104:105], s[28:29], v[104:105]
	v_add_nc_u64_e32 v[102:103], s[24:25], v[102:103]
	global_store_b64 v[104:105], v[70:71], off
	s_wait_loadcnt 0x0
	global_store_b32 v[102:103], v106, off
	s_wait_xcnt 0x0
	s_or_b32 exec_lo, exec_lo, s6
	s_and_saveexec_b32 s6, s89
	s_cbranch_execz .LBB142_87
.LBB142_138:                            ;   in Loop: Header=BB142_21 Depth=1
	v_add_nc_u64_e32 v[102:103], 0x200, v[100:101]
	v_add_nc_u64_e32 v[104:105], 0x300, v[88:89]
	s_delay_alu instid0(VALU_DEP_1) | instskip(SKIP_3) | instid1(VALU_DEP_1)
	v_dual_cndmask_b32 v103, v105, v103 :: v_dual_cndmask_b32 v102, v104, v102
	global_load_b32 v106, v[102:103], off
	s_wait_xcnt 0x0
	v_dual_mov_b32 v102, v98 :: v_dual_add_nc_u32 v103, 0x80, v99
	v_ashrrev_i64 v[104:105], 29, v[102:103]
	v_ashrrev_i64 v[102:103], 30, v[102:103]
	s_delay_alu instid0(VALU_DEP_2) | instskip(NEXT) | instid1(VALU_DEP_2)
	v_add_nc_u64_e32 v[104:105], s[28:29], v[104:105]
	v_add_nc_u64_e32 v[102:103], s[24:25], v[102:103]
	global_store_b64 v[104:105], v[72:73], off
	s_wait_loadcnt 0x0
	global_store_b32 v[102:103], v106, off
	s_wait_xcnt 0x0
	s_or_b32 exec_lo, exec_lo, s6
	s_and_saveexec_b32 s6, s90
	s_cbranch_execz .LBB142_88
.LBB142_139:                            ;   in Loop: Header=BB142_21 Depth=1
	v_add_nc_u64_e32 v[102:103], 0x280, v[100:101]
	v_add_nc_u64_e32 v[104:105], 0x300, v[92:93]
	s_delay_alu instid0(VALU_DEP_1) | instskip(SKIP_3) | instid1(VALU_DEP_1)
	v_dual_cndmask_b32 v103, v105, v103 :: v_dual_cndmask_b32 v102, v104, v102
	global_load_b32 v106, v[102:103], off
	s_wait_xcnt 0x0
	v_dual_mov_b32 v102, v98 :: v_dual_add_nc_u32 v103, 0xa0, v99
	v_ashrrev_i64 v[104:105], 29, v[102:103]
	v_ashrrev_i64 v[102:103], 30, v[102:103]
	s_delay_alu instid0(VALU_DEP_2) | instskip(NEXT) | instid1(VALU_DEP_2)
	v_add_nc_u64_e32 v[104:105], s[28:29], v[104:105]
	v_add_nc_u64_e32 v[102:103], s[24:25], v[102:103]
	global_store_b64 v[104:105], v[74:75], off
	s_wait_loadcnt 0x0
	global_store_b32 v[102:103], v106, off
	s_wait_xcnt 0x0
	s_or_b32 exec_lo, exec_lo, s6
	s_and_saveexec_b32 s6, s91
	s_cbranch_execz .LBB142_89
.LBB142_140:                            ;   in Loop: Header=BB142_21 Depth=1
	v_dual_cndmask_b32 v103, v95, v101 :: v_dual_cndmask_b32 v102, v94, v100
	global_load_b32 v106, v[102:103], off offset:768
	s_wait_xcnt 0x0
	v_dual_mov_b32 v102, v98 :: v_dual_add_nc_u32 v103, 0xc0, v99
	s_delay_alu instid0(VALU_DEP_1) | instskip(SKIP_1) | instid1(VALU_DEP_2)
	v_ashrrev_i64 v[104:105], 29, v[102:103]
	v_ashrrev_i64 v[102:103], 30, v[102:103]
	v_add_nc_u64_e32 v[104:105], s[28:29], v[104:105]
	s_delay_alu instid0(VALU_DEP_2)
	v_add_nc_u64_e32 v[102:103], s[24:25], v[102:103]
	global_store_b64 v[104:105], v[78:79], off
	s_wait_loadcnt 0x0
	global_store_b32 v[102:103], v106, off
	s_wait_xcnt 0x0
	s_or_b32 exec_lo, exec_lo, s6
	s_and_saveexec_b32 s6, s8
	s_cbranch_execnz .LBB142_90
	s_branch .LBB142_91
.LBB142_141:                            ;   in Loop: Header=BB142_21 Depth=1
	v_add_nc_u64_e32 v[90:91], 0x380, v[90:91]
	s_delay_alu instid0(VALU_DEP_3) | instskip(NEXT) | instid1(VALU_DEP_2)
	v_ashrrev_i64 v[102:103], 30, v[98:99]
	v_dual_cndmask_b32 v91, v91, v101 :: v_dual_cndmask_b32 v90, v90, v100
	s_delay_alu instid0(VALU_DEP_2) | instskip(SKIP_3) | instid1(VALU_DEP_1)
	v_add_nc_u64_e32 v[102:103], s[24:25], v[102:103]
	global_load_b32 v104, v[90:91], off
	s_wait_xcnt 0x0
	v_ashrrev_i64 v[90:91], 29, v[98:99]
	v_add_nc_u64_e32 v[90:91], s[28:29], v[90:91]
	global_store_b64 v[90:91], v[76:77], off
	s_wait_loadcnt 0x0
	global_store_b32 v[102:103], v104, off
	s_wait_xcnt 0x0
	s_or_b32 exec_lo, exec_lo, s6
	s_and_saveexec_b32 s6, s93
	s_cbranch_execz .LBB142_93
.LBB142_142:                            ;   in Loop: Header=BB142_21 Depth=1
	s_delay_alu instid0(VALU_DEP_1) | instskip(SKIP_1) | instid1(VALU_DEP_1)
	v_add_nc_u64_e32 v[76:77], 0x80, v[100:101]
	v_add_nc_u64_e32 v[82:83], 0x380, v[82:83]
	v_dual_cndmask_b32 v77, v83, v77 :: v_dual_cndmask_b32 v76, v82, v76
	global_load_b32 v90, v[76:77], off
	s_wait_xcnt 0x0
	v_dual_mov_b32 v76, v98 :: v_dual_add_nc_u32 v77, 32, v99
	s_delay_alu instid0(VALU_DEP_1) | instskip(SKIP_1) | instid1(VALU_DEP_2)
	v_ashrrev_i64 v[82:83], 29, v[76:77]
	v_ashrrev_i64 v[76:77], 30, v[76:77]
	v_add_nc_u64_e32 v[82:83], s[28:29], v[82:83]
	s_delay_alu instid0(VALU_DEP_2)
	v_add_nc_u64_e32 v[76:77], s[24:25], v[76:77]
	global_store_b64 v[82:83], v[66:67], off
	s_wait_loadcnt 0x0
	global_store_b32 v[76:77], v90, off
	s_wait_xcnt 0x0
	s_or_b32 exec_lo, exec_lo, s6
	s_and_saveexec_b32 s6, s10
	s_cbranch_execz .LBB142_94
.LBB142_143:                            ;   in Loop: Header=BB142_21 Depth=1
	v_add_nc_u64_e32 v[66:67], 0x100, v[100:101]
	v_add_nc_u64_e32 v[76:77], 0x380, v[84:85]
	s_delay_alu instid0(VALU_DEP_1) | instskip(SKIP_3) | instid1(VALU_DEP_1)
	v_dual_cndmask_b32 v67, v77, v67 :: v_dual_cndmask_b32 v66, v76, v66
	global_load_b32 v82, v[66:67], off
	s_wait_xcnt 0x0
	v_dual_mov_b32 v66, v98 :: v_dual_add_nc_u32 v67, 64, v99
	v_ashrrev_i64 v[76:77], 29, v[66:67]
	v_ashrrev_i64 v[66:67], 30, v[66:67]
	s_delay_alu instid0(VALU_DEP_2) | instskip(NEXT) | instid1(VALU_DEP_2)
	v_add_nc_u64_e32 v[76:77], s[28:29], v[76:77]
	v_add_nc_u64_e32 v[66:67], s[24:25], v[66:67]
	global_store_b64 v[76:77], v[68:69], off
	s_wait_loadcnt 0x0
	global_store_b32 v[66:67], v82, off
	s_wait_xcnt 0x0
	s_or_b32 exec_lo, exec_lo, s6
	s_and_saveexec_b32 s6, s11
	s_cbranch_execz .LBB142_95
.LBB142_144:                            ;   in Loop: Header=BB142_21 Depth=1
	v_add_nc_u64_e32 v[66:67], 0x180, v[100:101]
	v_add_nc_u64_e32 v[68:69], 0x380, v[86:87]
	s_delay_alu instid0(VALU_DEP_1) | instskip(SKIP_3) | instid1(VALU_DEP_1)
	v_dual_cndmask_b32 v67, v69, v67 :: v_dual_cndmask_b32 v66, v68, v66
	global_load_b32 v76, v[66:67], off
	s_wait_xcnt 0x0
	v_dual_mov_b32 v66, v98 :: v_dual_add_nc_u32 v67, 0x60, v99
	v_ashrrev_i64 v[68:69], 29, v[66:67]
	v_ashrrev_i64 v[66:67], 30, v[66:67]
	s_delay_alu instid0(VALU_DEP_2) | instskip(NEXT) | instid1(VALU_DEP_2)
	v_add_nc_u64_e32 v[68:69], s[28:29], v[68:69]
	v_add_nc_u64_e32 v[66:67], s[24:25], v[66:67]
	global_store_b64 v[68:69], v[70:71], off
	s_wait_loadcnt 0x0
	global_store_b32 v[66:67], v76, off
	s_wait_xcnt 0x0
	s_or_b32 exec_lo, exec_lo, s6
	s_and_saveexec_b32 s6, s12
	s_cbranch_execz .LBB142_96
.LBB142_145:                            ;   in Loop: Header=BB142_21 Depth=1
	v_add_nc_u64_e32 v[66:67], 0x200, v[100:101]
	v_add_nc_u64_e32 v[68:69], 0x380, v[88:89]
	s_delay_alu instid0(VALU_DEP_1) | instskip(SKIP_3) | instid1(VALU_DEP_1)
	v_dual_cndmask_b32 v67, v69, v67 :: v_dual_cndmask_b32 v66, v68, v66
	global_load_b32 v70, v[66:67], off
	s_wait_xcnt 0x0
	v_dual_mov_b32 v66, v98 :: v_dual_add_nc_u32 v67, 0x80, v99
	v_ashrrev_i64 v[68:69], 29, v[66:67]
	v_ashrrev_i64 v[66:67], 30, v[66:67]
	s_delay_alu instid0(VALU_DEP_2) | instskip(NEXT) | instid1(VALU_DEP_2)
	v_add_nc_u64_e32 v[68:69], s[28:29], v[68:69]
	v_add_nc_u64_e32 v[66:67], s[24:25], v[66:67]
	global_store_b64 v[68:69], v[72:73], off
	s_wait_loadcnt 0x0
	global_store_b32 v[66:67], v70, off
	s_wait_xcnt 0x0
	s_or_b32 exec_lo, exec_lo, s6
	s_and_saveexec_b32 s6, s13
	s_cbranch_execz .LBB142_97
.LBB142_146:                            ;   in Loop: Header=BB142_21 Depth=1
	v_add_nc_u64_e32 v[66:67], 0x280, v[100:101]
	v_add_nc_u64_e32 v[68:69], 0x380, v[92:93]
	s_delay_alu instid0(VALU_DEP_1) | instskip(SKIP_3) | instid1(VALU_DEP_1)
	v_dual_cndmask_b32 v67, v69, v67 :: v_dual_cndmask_b32 v66, v68, v66
	global_load_b32 v70, v[66:67], off
	s_wait_xcnt 0x0
	v_dual_mov_b32 v66, v98 :: v_dual_add_nc_u32 v67, 0xa0, v99
	v_ashrrev_i64 v[68:69], 29, v[66:67]
	v_ashrrev_i64 v[66:67], 30, v[66:67]
	s_delay_alu instid0(VALU_DEP_2) | instskip(NEXT) | instid1(VALU_DEP_2)
	v_add_nc_u64_e32 v[68:69], s[28:29], v[68:69]
	v_add_nc_u64_e32 v[66:67], s[24:25], v[66:67]
	global_store_b64 v[68:69], v[74:75], off
	s_wait_loadcnt 0x0
	global_store_b32 v[66:67], v70, off
	s_wait_xcnt 0x0
	s_or_b32 exec_lo, exec_lo, s6
	s_and_saveexec_b32 s6, s14
	s_cbranch_execz .LBB142_98
.LBB142_147:                            ;   in Loop: Header=BB142_21 Depth=1
	v_add_nc_u64_e32 v[66:67], 0x300, v[100:101]
	v_add_nc_u64_e32 v[68:69], 0x380, v[94:95]
	s_delay_alu instid0(VALU_DEP_1) | instskip(SKIP_3) | instid1(VALU_DEP_1)
	v_dual_cndmask_b32 v67, v69, v67 :: v_dual_cndmask_b32 v66, v68, v66
	global_load_b32 v70, v[66:67], off
	s_wait_xcnt 0x0
	v_dual_mov_b32 v66, v98 :: v_dual_add_nc_u32 v67, 0xc0, v99
	v_ashrrev_i64 v[68:69], 29, v[66:67]
	v_ashrrev_i64 v[66:67], 30, v[66:67]
	s_delay_alu instid0(VALU_DEP_2) | instskip(NEXT) | instid1(VALU_DEP_2)
	v_add_nc_u64_e32 v[68:69], s[28:29], v[68:69]
	v_add_nc_u64_e32 v[66:67], s[24:25], v[66:67]
	global_store_b64 v[68:69], v[78:79], off
	s_wait_loadcnt 0x0
	global_store_b32 v[66:67], v70, off
	s_wait_xcnt 0x0
	s_or_b32 exec_lo, exec_lo, s6
	s_and_saveexec_b32 s6, s9
	s_cbranch_execz .LBB142_20
.LBB142_148:                            ;   in Loop: Header=BB142_21 Depth=1
	v_dual_cndmask_b32 v67, v97, v101 :: v_dual_cndmask_b32 v66, v96, v100
	v_add_nc_u32_e32 v99, 0xe0, v99
	global_load_b32 v70, v[66:67], off offset:896
	s_wait_xcnt 0x0
	v_ashrrev_i64 v[66:67], 29, v[98:99]
	v_ashrrev_i64 v[68:69], 30, v[98:99]
	s_delay_alu instid0(VALU_DEP_2) | instskip(NEXT) | instid1(VALU_DEP_2)
	v_add_nc_u64_e32 v[66:67], s[28:29], v[66:67]
	v_add_nc_u64_e32 v[68:69], s[24:25], v[68:69]
	global_store_b64 v[66:67], v[80:81], off
	s_wait_loadcnt 0x0
	global_store_b32 v[68:69], v70, off
	s_branch .LBB142_20
.LBB142_149:
	s_sendmsg sendmsg(MSG_DEALLOC_VGPRS)
	s_endpgm
	.section	.rodata,"a",@progbits
	.p2align	6, 0x0
	.amdhsa_kernel _ZN9rocsparseL35bsr2csr_block_per_row_33_256_kernelILj1024ELj256ELj32EfilEEv20rocsparse_direction_T4_S2_21rocsparse_index_base_PKT2_PKT3_PKS2_S2_S3_PS4_PS7_PS2_
		.amdhsa_group_segment_fixed_size 0
		.amdhsa_private_segment_fixed_size 0
		.amdhsa_kernarg_size 96
		.amdhsa_user_sgpr_count 2
		.amdhsa_user_sgpr_dispatch_ptr 0
		.amdhsa_user_sgpr_queue_ptr 0
		.amdhsa_user_sgpr_kernarg_segment_ptr 1
		.amdhsa_user_sgpr_dispatch_id 0
		.amdhsa_user_sgpr_kernarg_preload_length 0
		.amdhsa_user_sgpr_kernarg_preload_offset 0
		.amdhsa_user_sgpr_private_segment_size 0
		.amdhsa_wavefront_size32 1
		.amdhsa_uses_dynamic_stack 0
		.amdhsa_enable_private_segment 0
		.amdhsa_system_sgpr_workgroup_id_x 1
		.amdhsa_system_sgpr_workgroup_id_y 0
		.amdhsa_system_sgpr_workgroup_id_z 0
		.amdhsa_system_sgpr_workgroup_info 0
		.amdhsa_system_vgpr_workitem_id 0
		.amdhsa_next_free_vgpr 107
		.amdhsa_next_free_sgpr 95
		.amdhsa_named_barrier_count 0
		.amdhsa_reserve_vcc 1
		.amdhsa_float_round_mode_32 0
		.amdhsa_float_round_mode_16_64 0
		.amdhsa_float_denorm_mode_32 3
		.amdhsa_float_denorm_mode_16_64 3
		.amdhsa_fp16_overflow 0
		.amdhsa_memory_ordered 1
		.amdhsa_forward_progress 1
		.amdhsa_inst_pref_size 83
		.amdhsa_round_robin_scheduling 0
		.amdhsa_exception_fp_ieee_invalid_op 0
		.amdhsa_exception_fp_denorm_src 0
		.amdhsa_exception_fp_ieee_div_zero 0
		.amdhsa_exception_fp_ieee_overflow 0
		.amdhsa_exception_fp_ieee_underflow 0
		.amdhsa_exception_fp_ieee_inexact 0
		.amdhsa_exception_int_div_zero 0
	.end_amdhsa_kernel
	.section	.text._ZN9rocsparseL35bsr2csr_block_per_row_33_256_kernelILj1024ELj256ELj32EfilEEv20rocsparse_direction_T4_S2_21rocsparse_index_base_PKT2_PKT3_PKS2_S2_S3_PS4_PS7_PS2_,"axG",@progbits,_ZN9rocsparseL35bsr2csr_block_per_row_33_256_kernelILj1024ELj256ELj32EfilEEv20rocsparse_direction_T4_S2_21rocsparse_index_base_PKT2_PKT3_PKS2_S2_S3_PS4_PS7_PS2_,comdat
.Lfunc_end142:
	.size	_ZN9rocsparseL35bsr2csr_block_per_row_33_256_kernelILj1024ELj256ELj32EfilEEv20rocsparse_direction_T4_S2_21rocsparse_index_base_PKT2_PKT3_PKS2_S2_S3_PS4_PS7_PS2_, .Lfunc_end142-_ZN9rocsparseL35bsr2csr_block_per_row_33_256_kernelILj1024ELj256ELj32EfilEEv20rocsparse_direction_T4_S2_21rocsparse_index_base_PKT2_PKT3_PKS2_S2_S3_PS4_PS7_PS2_
                                        ; -- End function
	.set _ZN9rocsparseL35bsr2csr_block_per_row_33_256_kernelILj1024ELj256ELj32EfilEEv20rocsparse_direction_T4_S2_21rocsparse_index_base_PKT2_PKT3_PKS2_S2_S3_PS4_PS7_PS2_.num_vgpr, 107
	.set _ZN9rocsparseL35bsr2csr_block_per_row_33_256_kernelILj1024ELj256ELj32EfilEEv20rocsparse_direction_T4_S2_21rocsparse_index_base_PKT2_PKT3_PKS2_S2_S3_PS4_PS7_PS2_.num_agpr, 0
	.set _ZN9rocsparseL35bsr2csr_block_per_row_33_256_kernelILj1024ELj256ELj32EfilEEv20rocsparse_direction_T4_S2_21rocsparse_index_base_PKT2_PKT3_PKS2_S2_S3_PS4_PS7_PS2_.numbered_sgpr, 95
	.set _ZN9rocsparseL35bsr2csr_block_per_row_33_256_kernelILj1024ELj256ELj32EfilEEv20rocsparse_direction_T4_S2_21rocsparse_index_base_PKT2_PKT3_PKS2_S2_S3_PS4_PS7_PS2_.num_named_barrier, 0
	.set _ZN9rocsparseL35bsr2csr_block_per_row_33_256_kernelILj1024ELj256ELj32EfilEEv20rocsparse_direction_T4_S2_21rocsparse_index_base_PKT2_PKT3_PKS2_S2_S3_PS4_PS7_PS2_.private_seg_size, 0
	.set _ZN9rocsparseL35bsr2csr_block_per_row_33_256_kernelILj1024ELj256ELj32EfilEEv20rocsparse_direction_T4_S2_21rocsparse_index_base_PKT2_PKT3_PKS2_S2_S3_PS4_PS7_PS2_.uses_vcc, 1
	.set _ZN9rocsparseL35bsr2csr_block_per_row_33_256_kernelILj1024ELj256ELj32EfilEEv20rocsparse_direction_T4_S2_21rocsparse_index_base_PKT2_PKT3_PKS2_S2_S3_PS4_PS7_PS2_.uses_flat_scratch, 0
	.set _ZN9rocsparseL35bsr2csr_block_per_row_33_256_kernelILj1024ELj256ELj32EfilEEv20rocsparse_direction_T4_S2_21rocsparse_index_base_PKT2_PKT3_PKS2_S2_S3_PS4_PS7_PS2_.has_dyn_sized_stack, 0
	.set _ZN9rocsparseL35bsr2csr_block_per_row_33_256_kernelILj1024ELj256ELj32EfilEEv20rocsparse_direction_T4_S2_21rocsparse_index_base_PKT2_PKT3_PKS2_S2_S3_PS4_PS7_PS2_.has_recursion, 0
	.set _ZN9rocsparseL35bsr2csr_block_per_row_33_256_kernelILj1024ELj256ELj32EfilEEv20rocsparse_direction_T4_S2_21rocsparse_index_base_PKT2_PKT3_PKS2_S2_S3_PS4_PS7_PS2_.has_indirect_call, 0
	.section	.AMDGPU.csdata,"",@progbits
; Kernel info:
; codeLenInByte = 10608
; TotalNumSgprs: 97
; NumVgprs: 107
; ScratchSize: 0
; MemoryBound: 0
; FloatMode: 240
; IeeeMode: 1
; LDSByteSize: 0 bytes/workgroup (compile time only)
; SGPRBlocks: 0
; VGPRBlocks: 6
; NumSGPRsForWavesPerEU: 97
; NumVGPRsForWavesPerEU: 107
; NamedBarCnt: 0
; Occupancy: 9
; WaveLimiterHint : 1
; COMPUTE_PGM_RSRC2:SCRATCH_EN: 0
; COMPUTE_PGM_RSRC2:USER_SGPR: 2
; COMPUTE_PGM_RSRC2:TRAP_HANDLER: 0
; COMPUTE_PGM_RSRC2:TGID_X_EN: 1
; COMPUTE_PGM_RSRC2:TGID_Y_EN: 0
; COMPUTE_PGM_RSRC2:TGID_Z_EN: 0
; COMPUTE_PGM_RSRC2:TIDIG_COMP_CNT: 0
	.section	.text._ZN9rocsparseL35bsr2csr_block_dim_equals_one_kernelILj1024EfllEEvT2_S1_21rocsparse_index_base_PKT0_PKT1_PKS1_S2_PS3_PS6_PS1_,"axG",@progbits,_ZN9rocsparseL35bsr2csr_block_dim_equals_one_kernelILj1024EfllEEvT2_S1_21rocsparse_index_base_PKT0_PKT1_PKS1_S2_PS3_PS6_PS1_,comdat
	.globl	_ZN9rocsparseL35bsr2csr_block_dim_equals_one_kernelILj1024EfllEEvT2_S1_21rocsparse_index_base_PKT0_PKT1_PKS1_S2_PS3_PS6_PS1_ ; -- Begin function _ZN9rocsparseL35bsr2csr_block_dim_equals_one_kernelILj1024EfllEEvT2_S1_21rocsparse_index_base_PKT0_PKT1_PKS1_S2_PS3_PS6_PS1_
	.p2align	8
	.type	_ZN9rocsparseL35bsr2csr_block_dim_equals_one_kernelILj1024EfllEEvT2_S1_21rocsparse_index_base_PKT0_PKT1_PKS1_S2_PS3_PS6_PS1_,@function
_ZN9rocsparseL35bsr2csr_block_dim_equals_one_kernelILj1024EfllEEvT2_S1_21rocsparse_index_base_PKT0_PKT1_PKS1_S2_PS3_PS6_PS1_: ; @_ZN9rocsparseL35bsr2csr_block_dim_equals_one_kernelILj1024EfllEEvT2_S1_21rocsparse_index_base_PKT0_PKT1_PKS1_S2_PS3_PS6_PS1_
; %bb.0:
	s_clause 0x3
	s_load_b32 s2, s[0:1], 0x10
	s_load_b64 s[8:9], s[0:1], 0x20
	s_load_b32 s4, s[0:1], 0x30
	s_load_b64 s[6:7], s[0:1], 0x0
	s_bfe_u32 s3, ttmp6, 0x4000c
	s_and_b32 s5, ttmp6, 15
	s_add_co_i32 s3, s3, 1
	s_getreg_b32 s10, hwreg(HW_REG_IB_STS2, 6, 4)
	s_mul_i32 s3, ttmp9, s3
	v_mov_b32_e32 v1, 0
	s_add_co_i32 s5, s5, s3
	s_cmp_eq_u32 s10, 0
	s_mov_b32 s14, exec_lo
	s_cselect_b32 s3, ttmp9, s5
	s_delay_alu instid0(SALU_CYCLE_1) | instskip(SKIP_1) | instid1(VALU_DEP_1)
	v_lshl_or_b32 v0, s3, 10, v0
	s_wait_kmcnt 0x0
	v_cmpx_gt_i64_e64 s[6:7], v[0:1]
	s_cbranch_execz .LBB143_6
; %bb.1:
                                        ; implicit-def: $sgpr12_sgpr13
	s_mov_b32 s3, exec_lo
	v_cmpx_ne_u32_e32 0, v0
	s_xor_b32 s10, exec_lo, s3
; %bb.2:
	s_mov_b32 s3, 0
	s_delay_alu instid0(SALU_CYCLE_1) | instskip(NEXT) | instid1(SALU_CYCLE_1)
	s_mov_b32 s5, s3
	s_sub_nc_u64 s[12:13], s[4:5], s[2:3]
; %bb.3:
	s_or_saveexec_b32 s15, s10
	s_load_b64 s[10:11], s[0:1], 0x40
	v_mov_b64_e32 v[2:3], s[12:13]
	s_xor_b32 exec_lo, exec_lo, s15
	s_cbranch_execz .LBB143_5
; %bb.4:
	s_load_b64 s[12:13], s[8:9], 0x0
	s_mov_b32 s5, 0
	v_mov_b32_e32 v6, 0
	s_mov_b32 s3, s5
	s_delay_alu instid0(SALU_CYCLE_1) | instskip(NEXT) | instid1(SALU_CYCLE_1)
	s_sub_nc_u64 s[16:17], s[4:5], s[2:3]
	v_mov_b64_e32 v[2:3], s[16:17]
	s_wait_kmcnt 0x0
	s_add_nc_u64 s[12:13], s[16:17], s[12:13]
	s_delay_alu instid0(SALU_CYCLE_1)
	v_mov_b64_e32 v[4:5], s[12:13]
	global_store_b64 v6, v[4:5], s[10:11]
.LBB143_5:
	s_wait_xcnt 0x0
	s_or_b32 exec_lo, exec_lo, s15
	v_lshlrev_b64_e32 v[4:5], 3, v[0:1]
	s_delay_alu instid0(VALU_DEP_1)
	v_add_nc_u64_e32 v[6:7], s[8:9], v[4:5]
	s_wait_kmcnt 0x0
	v_add_nc_u64_e32 v[4:5], s[10:11], v[4:5]
	global_load_b64 v[6:7], v[6:7], off offset:8
	s_wait_loadcnt 0x0
	v_add_nc_u64_e32 v[2:3], v[2:3], v[6:7]
	global_store_b64 v[4:5], v[2:3], off offset:8
.LBB143_6:
	s_wait_xcnt 0x0
	s_or_b32 exec_lo, exec_lo, s14
	s_lshl_b64 s[6:7], s[6:7], 3
	s_clause 0x3
	s_load_b64 s[10:11], s[0:1], 0x48
	s_load_b64 s[12:13], s[0:1], 0x18
	;; [unrolled: 1-line block ×4, first 2 shown]
	s_add_nc_u64 s[6:7], s[8:9], s[6:7]
	s_mov_b32 s3, exec_lo
	s_clause 0x1
	s_load_b64 s[18:19], s[6:7], 0x0
	s_load_b64 s[20:21], s[8:9], 0x0
	s_wait_kmcnt 0x0
	s_sub_nc_u64 s[6:7], s[18:19], s[20:21]
	s_delay_alu instid0(SALU_CYCLE_1)
	v_cmpx_gt_i64_e64 s[6:7], v[0:1]
	s_cbranch_execz .LBB143_9
; %bb.7:
	s_load_b32 s8, s[0:1], 0x50
	s_mov_b32 s3, 0
	v_lshlrev_b64_e32 v[2:3], 2, v[0:1]
	v_lshlrev_b64_e32 v[4:5], 3, v[0:1]
	s_mov_b32 s5, s3
	s_mov_b32 s18, s3
	s_wait_xcnt 0x0
	s_sub_nc_u64 s[0:1], s[4:5], s[2:3]
	s_wait_kmcnt 0x0
	s_lshl_b32 s2, s8, 10
	s_delay_alu instid0(SALU_CYCLE_1)
	s_lshl_b64 s[4:5], s[2:3], 2
	s_lshl_b64 s[8:9], s[2:3], 3
.LBB143_8:                              ; =>This Inner Loop Header: Depth=1
	v_add_nc_u64_e32 v[6:7], s[14:15], v[4:5]
	v_add_nc_u64_e32 v[8:9], s[12:13], v[2:3]
	;; [unrolled: 1-line block ×3, first 2 shown]
	global_load_b64 v[10:11], v[6:7], off
	global_load_b32 v12, v[8:9], off
	s_wait_xcnt 0x1
	v_add_nc_u64_e32 v[6:7], s[10:11], v[4:5]
	v_cmp_le_i64_e32 vcc_lo, s[6:7], v[0:1]
	s_wait_xcnt 0x0
	v_add_nc_u64_e32 v[8:9], s[16:17], v[2:3]
	v_add_nc_u64_e32 v[2:3], s[4:5], v[2:3]
	;; [unrolled: 1-line block ×3, first 2 shown]
	s_or_b32 s18, vcc_lo, s18
	s_wait_loadcnt 0x1
	v_add_nc_u64_e32 v[10:11], s[0:1], v[10:11]
	s_wait_loadcnt 0x0
	global_store_b32 v[8:9], v12, off
	global_store_b64 v[6:7], v[10:11], off
	s_wait_xcnt 0x0
	s_and_not1_b32 exec_lo, exec_lo, s18
	s_cbranch_execnz .LBB143_8
.LBB143_9:
	s_endpgm
	.section	.rodata,"a",@progbits
	.p2align	6, 0x0
	.amdhsa_kernel _ZN9rocsparseL35bsr2csr_block_dim_equals_one_kernelILj1024EfllEEvT2_S1_21rocsparse_index_base_PKT0_PKT1_PKS1_S2_PS3_PS6_PS1_
		.amdhsa_group_segment_fixed_size 0
		.amdhsa_private_segment_fixed_size 0
		.amdhsa_kernarg_size 336
		.amdhsa_user_sgpr_count 2
		.amdhsa_user_sgpr_dispatch_ptr 0
		.amdhsa_user_sgpr_queue_ptr 0
		.amdhsa_user_sgpr_kernarg_segment_ptr 1
		.amdhsa_user_sgpr_dispatch_id 0
		.amdhsa_user_sgpr_kernarg_preload_length 0
		.amdhsa_user_sgpr_kernarg_preload_offset 0
		.amdhsa_user_sgpr_private_segment_size 0
		.amdhsa_wavefront_size32 1
		.amdhsa_uses_dynamic_stack 0
		.amdhsa_enable_private_segment 0
		.amdhsa_system_sgpr_workgroup_id_x 1
		.amdhsa_system_sgpr_workgroup_id_y 0
		.amdhsa_system_sgpr_workgroup_id_z 0
		.amdhsa_system_sgpr_workgroup_info 0
		.amdhsa_system_vgpr_workitem_id 0
		.amdhsa_next_free_vgpr 13
		.amdhsa_next_free_sgpr 22
		.amdhsa_named_barrier_count 0
		.amdhsa_reserve_vcc 1
		.amdhsa_float_round_mode_32 0
		.amdhsa_float_round_mode_16_64 0
		.amdhsa_float_denorm_mode_32 3
		.amdhsa_float_denorm_mode_16_64 3
		.amdhsa_fp16_overflow 0
		.amdhsa_memory_ordered 1
		.amdhsa_forward_progress 1
		.amdhsa_inst_pref_size 5
		.amdhsa_round_robin_scheduling 0
		.amdhsa_exception_fp_ieee_invalid_op 0
		.amdhsa_exception_fp_denorm_src 0
		.amdhsa_exception_fp_ieee_div_zero 0
		.amdhsa_exception_fp_ieee_overflow 0
		.amdhsa_exception_fp_ieee_underflow 0
		.amdhsa_exception_fp_ieee_inexact 0
		.amdhsa_exception_int_div_zero 0
	.end_amdhsa_kernel
	.section	.text._ZN9rocsparseL35bsr2csr_block_dim_equals_one_kernelILj1024EfllEEvT2_S1_21rocsparse_index_base_PKT0_PKT1_PKS1_S2_PS3_PS6_PS1_,"axG",@progbits,_ZN9rocsparseL35bsr2csr_block_dim_equals_one_kernelILj1024EfllEEvT2_S1_21rocsparse_index_base_PKT0_PKT1_PKS1_S2_PS3_PS6_PS1_,comdat
.Lfunc_end143:
	.size	_ZN9rocsparseL35bsr2csr_block_dim_equals_one_kernelILj1024EfllEEvT2_S1_21rocsparse_index_base_PKT0_PKT1_PKS1_S2_PS3_PS6_PS1_, .Lfunc_end143-_ZN9rocsparseL35bsr2csr_block_dim_equals_one_kernelILj1024EfllEEvT2_S1_21rocsparse_index_base_PKT0_PKT1_PKS1_S2_PS3_PS6_PS1_
                                        ; -- End function
	.set _ZN9rocsparseL35bsr2csr_block_dim_equals_one_kernelILj1024EfllEEvT2_S1_21rocsparse_index_base_PKT0_PKT1_PKS1_S2_PS3_PS6_PS1_.num_vgpr, 13
	.set _ZN9rocsparseL35bsr2csr_block_dim_equals_one_kernelILj1024EfllEEvT2_S1_21rocsparse_index_base_PKT0_PKT1_PKS1_S2_PS3_PS6_PS1_.num_agpr, 0
	.set _ZN9rocsparseL35bsr2csr_block_dim_equals_one_kernelILj1024EfllEEvT2_S1_21rocsparse_index_base_PKT0_PKT1_PKS1_S2_PS3_PS6_PS1_.numbered_sgpr, 22
	.set _ZN9rocsparseL35bsr2csr_block_dim_equals_one_kernelILj1024EfllEEvT2_S1_21rocsparse_index_base_PKT0_PKT1_PKS1_S2_PS3_PS6_PS1_.num_named_barrier, 0
	.set _ZN9rocsparseL35bsr2csr_block_dim_equals_one_kernelILj1024EfllEEvT2_S1_21rocsparse_index_base_PKT0_PKT1_PKS1_S2_PS3_PS6_PS1_.private_seg_size, 0
	.set _ZN9rocsparseL35bsr2csr_block_dim_equals_one_kernelILj1024EfllEEvT2_S1_21rocsparse_index_base_PKT0_PKT1_PKS1_S2_PS3_PS6_PS1_.uses_vcc, 1
	.set _ZN9rocsparseL35bsr2csr_block_dim_equals_one_kernelILj1024EfllEEvT2_S1_21rocsparse_index_base_PKT0_PKT1_PKS1_S2_PS3_PS6_PS1_.uses_flat_scratch, 0
	.set _ZN9rocsparseL35bsr2csr_block_dim_equals_one_kernelILj1024EfllEEvT2_S1_21rocsparse_index_base_PKT0_PKT1_PKS1_S2_PS3_PS6_PS1_.has_dyn_sized_stack, 0
	.set _ZN9rocsparseL35bsr2csr_block_dim_equals_one_kernelILj1024EfllEEvT2_S1_21rocsparse_index_base_PKT0_PKT1_PKS1_S2_PS3_PS6_PS1_.has_recursion, 0
	.set _ZN9rocsparseL35bsr2csr_block_dim_equals_one_kernelILj1024EfllEEvT2_S1_21rocsparse_index_base_PKT0_PKT1_PKS1_S2_PS3_PS6_PS1_.has_indirect_call, 0
	.section	.AMDGPU.csdata,"",@progbits
; Kernel info:
; codeLenInByte = 556
; TotalNumSgprs: 24
; NumVgprs: 13
; ScratchSize: 0
; MemoryBound: 0
; FloatMode: 240
; IeeeMode: 1
; LDSByteSize: 0 bytes/workgroup (compile time only)
; SGPRBlocks: 0
; VGPRBlocks: 0
; NumSGPRsForWavesPerEU: 24
; NumVGPRsForWavesPerEU: 13
; NamedBarCnt: 0
; Occupancy: 16
; WaveLimiterHint : 0
; COMPUTE_PGM_RSRC2:SCRATCH_EN: 0
; COMPUTE_PGM_RSRC2:USER_SGPR: 2
; COMPUTE_PGM_RSRC2:TRAP_HANDLER: 0
; COMPUTE_PGM_RSRC2:TGID_X_EN: 1
; COMPUTE_PGM_RSRC2:TGID_Y_EN: 0
; COMPUTE_PGM_RSRC2:TGID_Z_EN: 0
; COMPUTE_PGM_RSRC2:TIDIG_COMP_CNT: 0
	.section	.text._ZN9rocsparseL32bsr2csr_block_per_row_2_7_kernelILj256ELj2EfllEEv20rocsparse_direction_T3_S2_21rocsparse_index_base_PKT1_PKT2_PKS2_S2_S3_PS4_PS7_PS2_,"axG",@progbits,_ZN9rocsparseL32bsr2csr_block_per_row_2_7_kernelILj256ELj2EfllEEv20rocsparse_direction_T3_S2_21rocsparse_index_base_PKT1_PKT2_PKS2_S2_S3_PS4_PS7_PS2_,comdat
	.globl	_ZN9rocsparseL32bsr2csr_block_per_row_2_7_kernelILj256ELj2EfllEEv20rocsparse_direction_T3_S2_21rocsparse_index_base_PKT1_PKT2_PKS2_S2_S3_PS4_PS7_PS2_ ; -- Begin function _ZN9rocsparseL32bsr2csr_block_per_row_2_7_kernelILj256ELj2EfllEEv20rocsparse_direction_T3_S2_21rocsparse_index_base_PKT1_PKT2_PKS2_S2_S3_PS4_PS7_PS2_
	.p2align	8
	.type	_ZN9rocsparseL32bsr2csr_block_per_row_2_7_kernelILj256ELj2EfllEEv20rocsparse_direction_T3_S2_21rocsparse_index_base_PKT1_PKT2_PKS2_S2_S3_PS4_PS7_PS2_,@function
_ZN9rocsparseL32bsr2csr_block_per_row_2_7_kernelILj256ELj2EfllEEv20rocsparse_direction_T3_S2_21rocsparse_index_base_PKT1_PKT2_PKS2_S2_S3_PS4_PS7_PS2_: ; @_ZN9rocsparseL32bsr2csr_block_per_row_2_7_kernelILj256ELj2EfllEEv20rocsparse_direction_T3_S2_21rocsparse_index_base_PKT1_PKT2_PKS2_S2_S3_PS4_PS7_PS2_
; %bb.0:
	s_load_b64 s[4:5], s[0:1], 0x28
	s_bfe_u32 s2, ttmp6, 0x4000c
	s_and_b32 s3, ttmp6, 15
	s_add_co_i32 s2, s2, 1
	s_getreg_b32 s6, hwreg(HW_REG_IB_STS2, 6, 4)
	s_mul_i32 s2, ttmp9, s2
	s_clause 0x1
	s_load_b32 s8, s[0:1], 0x40
	s_load_b64 s[12:13], s[0:1], 0x50
	s_add_co_i32 s2, s3, s2
	s_cmp_eq_u32 s6, 0
	s_mov_b32 s3, 0
	s_cselect_b32 s10, ttmp9, s2
	s_mov_b32 s11, s3
	v_or_b32_e32 v1, s10, v0
	s_lshl_b64 s[6:7], s[10:11], 3
	s_mov_b32 s9, s3
	s_mov_b32 s2, exec_lo
	s_wait_kmcnt 0x0
	s_add_nc_u64 s[14:15], s[4:5], s[6:7]
	s_load_b128 s[4:7], s[14:15], 0x0
	v_cmpx_eq_u32_e32 0, v1
	s_cbranch_execz .LBB144_2
; %bb.1:
	v_mov_b64_e32 v[2:3], s[8:9]
	v_mov_b32_e32 v1, 0
	global_store_b64 v1, v[2:3], s[12:13]
.LBB144_2:
	s_wait_xcnt 0x0
	s_or_b32 exec_lo, exec_lo, s2
	s_load_b32 s2, s[0:1], 0x18
	v_dual_mov_b32 v3, 0 :: v_dual_bitop2_b32 v2, 1, v0 bitop3:0x40
	v_lshrrev_b32_e32 v6, 1, v0
	s_lshl_b64 s[10:11], s[10:11], 4
	s_delay_alu instid0(SALU_CYCLE_1) | instskip(NEXT) | instid1(VALU_DEP_2)
	s_add_nc_u64 s[10:11], s[12:13], s[10:11]
	v_mov_b32_e32 v7, v3
	s_wait_kmcnt 0x0
	s_sub_nc_u64 s[14:15], s[4:5], s[2:3]
	s_sub_nc_u64 s[6:7], s[6:7], s[2:3]
	s_delay_alu instid0(VALU_DEP_1) | instskip(SKIP_3) | instid1(SALU_CYCLE_1)
	v_add_nc_u64_e32 v[0:1], s[14:15], v[6:7]
	s_sub_nc_u64 s[16:17], s[6:7], s[14:15]
	s_lshl_b64 s[14:15], s[14:15], 2
	s_lshl_b64 s[16:17], s[16:17], 1
	v_mul_u64_e32 v[4:5], s[16:17], v[2:3]
	s_add_nc_u64 s[16:17], s[16:17], s[8:9]
	s_delay_alu instid0(SALU_CYCLE_1)
	s_add_nc_u64 s[14:15], s[16:17], s[14:15]
	s_delay_alu instid0(VALU_DEP_1) | instid1(SALU_CYCLE_1)
	v_add_nc_u64_e32 v[8:9], s[14:15], v[4:5]
	global_store_b64 v2, v[8:9], s[10:11] offset:8 scale_offset
	s_wait_xcnt 0x0
	s_mov_b32 s10, exec_lo
	v_cmpx_gt_i64_e64 s[6:7], v[0:1]
	s_cbranch_execz .LBB144_5
; %bb.3:
	s_clause 0x4
	s_load_b64 s[10:11], s[0:1], 0x30
	s_load_b64 s[12:13], s[0:1], 0x48
	s_load_b32 s18, s[0:1], 0x0
	s_load_b64 s[14:15], s[0:1], 0x20
	s_load_b64 s[16:17], s[0:1], 0x58
	v_lshl_add_u64 v[8:9], s[4:5], 2, v[4:5]
	v_dual_mov_b32 v11, v3 :: v_dual_lshlrev_b32 v10, 1, v6
	v_dual_mov_b32 v7, v3 :: v_dual_lshlrev_b32 v6, 4, v6
	s_delay_alu instid0(VALU_DEP_2)
	v_add_nc_u64_e32 v[8:9], v[8:9], v[10:11]
	v_lshlrev_b64_e32 v[10:11], 4, v[0:1]
	s_wait_kmcnt 0x0
	s_cmp_eq_u32 s18, 0
	s_cselect_b32 vcc_lo, -1, 0
	s_lshl_b64 s[0:1], s[4:5], 5
	s_mov_b64 s[4:5], 0
	v_lshl_add_u64 v[4:5], v[4:5], 3, s[0:1]
	s_lshl_b64 s[0:1], s[2:3], 2
	s_delay_alu instid0(VALU_DEP_1)
	v_add_nc_u64_e32 v[4:5], v[4:5], v[6:7]
	v_sub_nc_u64_e64 v[6:7], v[8:9], s[0:1]
	s_lshl_b64 s[0:1], s[2:3], 5
	v_lshl_or_b32 v8, v2, 2, v10
	v_mov_b32_e32 v9, v11
	v_lshl_or_b32 v10, v2, 3, v10
	v_sub_nc_u64_e64 v[12:13], v[4:5], s[0:1]
	v_lshl_add_u64 v[4:5], v[6:7], 2, s[12:13]
	s_delay_alu instid0(VALU_DEP_4) | instskip(NEXT) | instid1(VALU_DEP_4)
	v_add_nc_u64_e32 v[2:3], s[14:15], v[8:9]
	v_add_nc_u64_e32 v[8:9], s[14:15], v[10:11]
	v_lshl_add_u64 v[10:11], v[0:1], 3, s[10:11]
	s_mov_b32 s1, 0
	v_add_nc_u64_e32 v[4:5], 4, v[4:5]
	v_add_nc_u64_e32 v[6:7], s[16:17], v[12:13]
.LBB144_4:                              ; =>This Inner Loop Header: Depth=1
	s_delay_alu instid0(VALU_DEP_4)
	v_add_nc_u64_e32 v[12:13], s[4:5], v[8:9]
	v_add_nc_u64_e32 v[14:15], s[4:5], v[2:3]
	global_load_b64 v[16:17], v[10:11], off
	v_add_nc_u64_e32 v[0:1], 0x80, v[0:1]
	s_wait_xcnt 0x0
	v_add_nc_u64_e32 v[10:11], 0x400, v[10:11]
	v_add_nc_u64_e32 v[18:19], 4, v[12:13]
	;; [unrolled: 1-line block ×3, first 2 shown]
	v_dual_cndmask_b32 v13, v15, v13 :: v_dual_cndmask_b32 v12, v14, v12
	v_cmp_le_i64_e64 s0, s[6:7], v[0:1]
	s_delay_alu instid0(VALU_DEP_3)
	v_dual_cndmask_b32 v15, v21, v19 :: v_dual_cndmask_b32 v14, v20, v18
	global_load_b32 v18, v[12:13], off
	global_load_b32 v19, v[14:15], off
	s_or_b32 s1, s0, s1
	s_wait_loadcnt 0x2
	s_wait_xcnt 0x1
	v_sub_nc_u64_e64 v[12:13], v[16:17], s[2:3]
	v_add_nc_u64_e32 v[16:17], s[4:5], v[6:7]
	s_add_nc_u64 s[4:5], s[4:5], 0x800
	s_delay_alu instid0(VALU_DEP_2) | instskip(SKIP_1) | instid1(VALU_DEP_1)
	v_lshl_add_u64 v[12:13], v[12:13], 1, s[8:9]
	s_wait_xcnt 0x0
	v_add_nc_u64_e32 v[14:15], 1, v[12:13]
	s_wait_loadcnt 0x0
	global_store_b64 v[4:5], v[18:19], off offset:-4
	s_wait_xcnt 0x0
	v_add_nc_u64_e32 v[4:5], 0x400, v[4:5]
	global_store_b128 v[16:17], v[12:15], off
	s_wait_xcnt 0x0
	s_and_not1_b32 exec_lo, exec_lo, s1
	s_cbranch_execnz .LBB144_4
.LBB144_5:
	s_endpgm
	.section	.rodata,"a",@progbits
	.p2align	6, 0x0
	.amdhsa_kernel _ZN9rocsparseL32bsr2csr_block_per_row_2_7_kernelILj256ELj2EfllEEv20rocsparse_direction_T3_S2_21rocsparse_index_base_PKT1_PKT2_PKS2_S2_S3_PS4_PS7_PS2_
		.amdhsa_group_segment_fixed_size 0
		.amdhsa_private_segment_fixed_size 0
		.amdhsa_kernarg_size 96
		.amdhsa_user_sgpr_count 2
		.amdhsa_user_sgpr_dispatch_ptr 0
		.amdhsa_user_sgpr_queue_ptr 0
		.amdhsa_user_sgpr_kernarg_segment_ptr 1
		.amdhsa_user_sgpr_dispatch_id 0
		.amdhsa_user_sgpr_kernarg_preload_length 0
		.amdhsa_user_sgpr_kernarg_preload_offset 0
		.amdhsa_user_sgpr_private_segment_size 0
		.amdhsa_wavefront_size32 1
		.amdhsa_uses_dynamic_stack 0
		.amdhsa_enable_private_segment 0
		.amdhsa_system_sgpr_workgroup_id_x 1
		.amdhsa_system_sgpr_workgroup_id_y 0
		.amdhsa_system_sgpr_workgroup_id_z 0
		.amdhsa_system_sgpr_workgroup_info 0
		.amdhsa_system_vgpr_workitem_id 0
		.amdhsa_next_free_vgpr 22
		.amdhsa_next_free_sgpr 19
		.amdhsa_named_barrier_count 0
		.amdhsa_reserve_vcc 1
		.amdhsa_float_round_mode_32 0
		.amdhsa_float_round_mode_16_64 0
		.amdhsa_float_denorm_mode_32 3
		.amdhsa_float_denorm_mode_16_64 3
		.amdhsa_fp16_overflow 0
		.amdhsa_memory_ordered 1
		.amdhsa_forward_progress 1
		.amdhsa_inst_pref_size 6
		.amdhsa_round_robin_scheduling 0
		.amdhsa_exception_fp_ieee_invalid_op 0
		.amdhsa_exception_fp_denorm_src 0
		.amdhsa_exception_fp_ieee_div_zero 0
		.amdhsa_exception_fp_ieee_overflow 0
		.amdhsa_exception_fp_ieee_underflow 0
		.amdhsa_exception_fp_ieee_inexact 0
		.amdhsa_exception_int_div_zero 0
	.end_amdhsa_kernel
	.section	.text._ZN9rocsparseL32bsr2csr_block_per_row_2_7_kernelILj256ELj2EfllEEv20rocsparse_direction_T3_S2_21rocsparse_index_base_PKT1_PKT2_PKS2_S2_S3_PS4_PS7_PS2_,"axG",@progbits,_ZN9rocsparseL32bsr2csr_block_per_row_2_7_kernelILj256ELj2EfllEEv20rocsparse_direction_T3_S2_21rocsparse_index_base_PKT1_PKT2_PKS2_S2_S3_PS4_PS7_PS2_,comdat
.Lfunc_end144:
	.size	_ZN9rocsparseL32bsr2csr_block_per_row_2_7_kernelILj256ELj2EfllEEv20rocsparse_direction_T3_S2_21rocsparse_index_base_PKT1_PKT2_PKS2_S2_S3_PS4_PS7_PS2_, .Lfunc_end144-_ZN9rocsparseL32bsr2csr_block_per_row_2_7_kernelILj256ELj2EfllEEv20rocsparse_direction_T3_S2_21rocsparse_index_base_PKT1_PKT2_PKS2_S2_S3_PS4_PS7_PS2_
                                        ; -- End function
	.set _ZN9rocsparseL32bsr2csr_block_per_row_2_7_kernelILj256ELj2EfllEEv20rocsparse_direction_T3_S2_21rocsparse_index_base_PKT1_PKT2_PKS2_S2_S3_PS4_PS7_PS2_.num_vgpr, 22
	.set _ZN9rocsparseL32bsr2csr_block_per_row_2_7_kernelILj256ELj2EfllEEv20rocsparse_direction_T3_S2_21rocsparse_index_base_PKT1_PKT2_PKS2_S2_S3_PS4_PS7_PS2_.num_agpr, 0
	.set _ZN9rocsparseL32bsr2csr_block_per_row_2_7_kernelILj256ELj2EfllEEv20rocsparse_direction_T3_S2_21rocsparse_index_base_PKT1_PKT2_PKS2_S2_S3_PS4_PS7_PS2_.numbered_sgpr, 19
	.set _ZN9rocsparseL32bsr2csr_block_per_row_2_7_kernelILj256ELj2EfllEEv20rocsparse_direction_T3_S2_21rocsparse_index_base_PKT1_PKT2_PKS2_S2_S3_PS4_PS7_PS2_.num_named_barrier, 0
	.set _ZN9rocsparseL32bsr2csr_block_per_row_2_7_kernelILj256ELj2EfllEEv20rocsparse_direction_T3_S2_21rocsparse_index_base_PKT1_PKT2_PKS2_S2_S3_PS4_PS7_PS2_.private_seg_size, 0
	.set _ZN9rocsparseL32bsr2csr_block_per_row_2_7_kernelILj256ELj2EfllEEv20rocsparse_direction_T3_S2_21rocsparse_index_base_PKT1_PKT2_PKS2_S2_S3_PS4_PS7_PS2_.uses_vcc, 1
	.set _ZN9rocsparseL32bsr2csr_block_per_row_2_7_kernelILj256ELj2EfllEEv20rocsparse_direction_T3_S2_21rocsparse_index_base_PKT1_PKT2_PKS2_S2_S3_PS4_PS7_PS2_.uses_flat_scratch, 0
	.set _ZN9rocsparseL32bsr2csr_block_per_row_2_7_kernelILj256ELj2EfllEEv20rocsparse_direction_T3_S2_21rocsparse_index_base_PKT1_PKT2_PKS2_S2_S3_PS4_PS7_PS2_.has_dyn_sized_stack, 0
	.set _ZN9rocsparseL32bsr2csr_block_per_row_2_7_kernelILj256ELj2EfllEEv20rocsparse_direction_T3_S2_21rocsparse_index_base_PKT1_PKT2_PKS2_S2_S3_PS4_PS7_PS2_.has_recursion, 0
	.set _ZN9rocsparseL32bsr2csr_block_per_row_2_7_kernelILj256ELj2EfllEEv20rocsparse_direction_T3_S2_21rocsparse_index_base_PKT1_PKT2_PKS2_S2_S3_PS4_PS7_PS2_.has_indirect_call, 0
	.section	.AMDGPU.csdata,"",@progbits
; Kernel info:
; codeLenInByte = 680
; TotalNumSgprs: 21
; NumVgprs: 22
; ScratchSize: 0
; MemoryBound: 0
; FloatMode: 240
; IeeeMode: 1
; LDSByteSize: 0 bytes/workgroup (compile time only)
; SGPRBlocks: 0
; VGPRBlocks: 1
; NumSGPRsForWavesPerEU: 21
; NumVGPRsForWavesPerEU: 22
; NamedBarCnt: 0
; Occupancy: 16
; WaveLimiterHint : 1
; COMPUTE_PGM_RSRC2:SCRATCH_EN: 0
; COMPUTE_PGM_RSRC2:USER_SGPR: 2
; COMPUTE_PGM_RSRC2:TRAP_HANDLER: 0
; COMPUTE_PGM_RSRC2:TGID_X_EN: 1
; COMPUTE_PGM_RSRC2:TGID_Y_EN: 0
; COMPUTE_PGM_RSRC2:TGID_Z_EN: 0
; COMPUTE_PGM_RSRC2:TIDIG_COMP_CNT: 0
	.section	.text._ZN9rocsparseL32bsr2csr_block_per_row_2_7_kernelILj256ELj3EfllEEv20rocsparse_direction_T3_S2_21rocsparse_index_base_PKT1_PKT2_PKS2_S2_S3_PS4_PS7_PS2_,"axG",@progbits,_ZN9rocsparseL32bsr2csr_block_per_row_2_7_kernelILj256ELj3EfllEEv20rocsparse_direction_T3_S2_21rocsparse_index_base_PKT1_PKT2_PKS2_S2_S3_PS4_PS7_PS2_,comdat
	.globl	_ZN9rocsparseL32bsr2csr_block_per_row_2_7_kernelILj256ELj3EfllEEv20rocsparse_direction_T3_S2_21rocsparse_index_base_PKT1_PKT2_PKS2_S2_S3_PS4_PS7_PS2_ ; -- Begin function _ZN9rocsparseL32bsr2csr_block_per_row_2_7_kernelILj256ELj3EfllEEv20rocsparse_direction_T3_S2_21rocsparse_index_base_PKT1_PKT2_PKS2_S2_S3_PS4_PS7_PS2_
	.p2align	8
	.type	_ZN9rocsparseL32bsr2csr_block_per_row_2_7_kernelILj256ELj3EfllEEv20rocsparse_direction_T3_S2_21rocsparse_index_base_PKT1_PKT2_PKS2_S2_S3_PS4_PS7_PS2_,@function
_ZN9rocsparseL32bsr2csr_block_per_row_2_7_kernelILj256ELj3EfllEEv20rocsparse_direction_T3_S2_21rocsparse_index_base_PKT1_PKT2_PKS2_S2_S3_PS4_PS7_PS2_: ; @_ZN9rocsparseL32bsr2csr_block_per_row_2_7_kernelILj256ELj3EfllEEv20rocsparse_direction_T3_S2_21rocsparse_index_base_PKT1_PKT2_PKS2_S2_S3_PS4_PS7_PS2_
; %bb.0:
	s_clause 0x1
	s_load_b32 s2, s[0:1], 0x40
	s_load_b64 s[10:11], s[0:1], 0x50
	s_bfe_u32 s3, ttmp6, 0x4000c
	s_and_b32 s4, ttmp6, 15
	s_add_co_i32 s3, s3, 1
	s_getreg_b32 s5, hwreg(HW_REG_IB_STS2, 6, 4)
	s_mul_i32 s3, ttmp9, s3
	s_mov_b32 s13, 0
	s_add_co_i32 s4, s4, s3
	s_cmp_eq_u32 s5, 0
	s_mov_b32 s3, exec_lo
	s_cselect_b32 s12, ttmp9, s4
	s_delay_alu instid0(SALU_CYCLE_1) | instskip(NEXT) | instid1(VALU_DEP_1)
	v_or_b32_e32 v1, s12, v0
	v_cmpx_eq_u32_e32 0, v1
	s_cbranch_execz .LBB145_2
; %bb.1:
	s_wait_kmcnt 0x0
	v_dual_mov_b32 v2, s2 :: v_dual_mov_b32 v3, 0
	global_store_b64 v3, v[2:3], s[10:11]
.LBB145_2:
	s_wait_xcnt 0x0
	s_or_b32 exec_lo, exec_lo, s3
	v_and_b32_e32 v2, 3, v0
	s_mov_b32 s3, exec_lo
	s_delay_alu instid0(VALU_DEP_1)
	v_cmpx_ne_u32_e32 3, v2
	s_cbranch_execz .LBB145_6
; %bb.3:
	s_clause 0x1
	s_load_b64 s[4:5], s[0:1], 0x28
	s_load_b32 s8, s[0:1], 0x18
	s_lshl_b64 s[6:7], s[12:13], 3
	s_mov_b32 s9, 0
	v_dual_mov_b32 v3, 0 :: v_dual_lshrrev_b32 v4, 2, v0
	s_mov_b32 s3, s9
	s_mul_u64 s[12:13], s[12:13], 24
	s_delay_alu instid0(VALU_DEP_1)
	v_mov_b32_e32 v5, v3
	s_wait_kmcnt 0x0
	s_add_nc_u64 s[10:11], s[10:11], s[12:13]
	s_add_nc_u64 s[14:15], s[4:5], s[6:7]
	s_load_b128 s[4:7], s[14:15], 0x0
	s_wait_kmcnt 0x0
	s_sub_nc_u64 s[14:15], s[4:5], s[8:9]
	s_sub_nc_u64 s[6:7], s[6:7], s[8:9]
	v_add_nc_u64_e32 v[0:1], s[14:15], v[4:5]
	s_sub_nc_u64 s[16:17], s[6:7], s[14:15]
	s_mul_u64 s[14:15], s[14:15], 9
	s_mul_u64 s[16:17], s[16:17], 3
	s_delay_alu instid0(SALU_CYCLE_1) | instskip(SKIP_1) | instid1(VALU_DEP_2)
	v_mul_u64_e32 v[6:7], s[16:17], v[2:3]
	s_add_nc_u64 s[16:17], s[16:17], s[2:3]
	v_cmp_gt_i64_e32 vcc_lo, s[6:7], v[0:1]
	s_add_nc_u64 s[14:15], s[16:17], s[14:15]
	s_delay_alu instid0(VALU_DEP_2) | instid1(SALU_CYCLE_1)
	v_add_nc_u64_e32 v[8:9], s[14:15], v[6:7]
	global_store_b64 v2, v[8:9], s[10:11] offset:8 scale_offset
	s_wait_xcnt 0x0
	s_and_b32 exec_lo, exec_lo, vcc_lo
	s_cbranch_execz .LBB145_6
; %bb.4:
	v_mad_nc_u64_u32 v[6:7], s4, 9, v[6:7]
	s_delay_alu instid0(VALU_DEP_1)
	v_mad_u32 v7, s5, 9, v7
	s_clause 0x4
	s_load_b64 s[4:5], s[0:1], 0x20
	s_load_b64 s[10:11], s[0:1], 0x48
	;; [unrolled: 1-line block ×4, first 2 shown]
	s_load_b32 s16, s[0:1], 0x0
	s_wait_xcnt 0x0
	s_mul_u64 s[0:1], s[8:9], 9
	s_delay_alu instid0(VALU_DEP_1) | instskip(SKIP_3) | instid1(VALU_DEP_2)
	v_mad_nc_u64_u32 v[6:7], v4, 3, v[6:7]
	s_wait_kmcnt 0x0
	v_mad_nc_u64_u32 v[4:5], v0, 36, s[4:5]
	s_cmp_eq_u32 s16, 0
	v_sub_nc_u64_e64 v[8:9], v[6:7], s[0:1]
	v_dual_mov_b32 v7, v3 :: v_dual_lshlrev_b32 v6, 2, v2
	v_mul_hi_u32_u24_e32 v3, 12, v2
	v_mul_u32_u24_e32 v2, 12, v2
	s_cselect_b32 vcc_lo, -1, 0
	s_mov_b32 s1, s9
	s_delay_alu instid0(VALU_DEP_4) | instskip(SKIP_3) | instid1(VALU_DEP_4)
	v_lshl_add_u64 v[10:11], v[8:9], 2, s[10:11]
	v_lshl_add_u64 v[12:13], v[8:9], 3, s[12:13]
	v_mad_u32 v5, v1, 36, v5
	v_lshl_add_u64 v[8:9], v[0:1], 3, s[14:15]
	v_add_nc_u64_e32 v[10:11], 4, v[10:11]
	s_delay_alu instid0(VALU_DEP_4)
	v_add_nc_u64_e32 v[12:13], 8, v[12:13]
.LBB145_5:                              ; =>This Inner Loop Header: Depth=1
	global_load_b64 v[14:15], v[8:9], off
	v_add_nc_u64_e32 v[16:17], v[4:5], v[6:7]
	v_add_nc_u64_e32 v[18:19], v[4:5], v[2:3]
	;; [unrolled: 1-line block ×3, first 2 shown]
	s_wait_xcnt 0x0
	v_add_nc_u64_e32 v[8:9], 0x200, v[8:9]
	v_add_nc_u64_e32 v[4:5], 0x900, v[4:5]
	;; [unrolled: 1-line block ×4, first 2 shown]
	v_dual_cndmask_b32 v21, v17, v19 :: v_dual_cndmask_b32 v20, v16, v18
	v_add_nc_u64_e32 v[26:27], 8, v[18:19]
	v_add_nc_u64_e32 v[16:17], 24, v[16:17]
	v_cmp_le_i64_e64 s0, s[6:7], v[0:1]
	v_dual_cndmask_b32 v23, v25, v23 :: v_dual_cndmask_b32 v22, v24, v22
	global_load_b32 v18, v[20:21], off
	v_dual_cndmask_b32 v17, v17, v27 :: v_dual_cndmask_b32 v16, v16, v26
	global_load_b32 v19, v[22:23], off
	global_load_b32 v20, v[16:17], off
	s_or_b32 s1, s0, s1
	s_wait_loadcnt 0x3
	s_wait_xcnt 0x0
	v_sub_nc_u64_e64 v[16:17], v[14:15], s[8:9]
	s_delay_alu instid0(VALU_DEP_1) | instskip(NEXT) | instid1(VALU_DEP_1)
	v_mad_nc_u64_u32 v[14:15], v16, 3, s[2:3]
	v_mad_u32 v15, v17, 3, v15
	s_wait_loadcnt 0x0
	global_store_b96 v[10:11], v[18:20], off offset:-4
	s_wait_xcnt 0x0
	v_add_nc_u64_e32 v[10:11], 0x300, v[10:11]
	v_add_nc_u64_e32 v[16:17], 1, v[14:15]
	;; [unrolled: 1-line block ×3, first 2 shown]
	s_clause 0x1
	global_store_b128 v[12:13], v[14:17], off offset:-8
	global_store_b64 v[12:13], v[22:23], off offset:8
	s_wait_xcnt 0x0
	v_add_nc_u64_e32 v[12:13], 0x600, v[12:13]
	s_and_not1_b32 exec_lo, exec_lo, s1
	s_cbranch_execnz .LBB145_5
.LBB145_6:
	s_endpgm
	.section	.rodata,"a",@progbits
	.p2align	6, 0x0
	.amdhsa_kernel _ZN9rocsparseL32bsr2csr_block_per_row_2_7_kernelILj256ELj3EfllEEv20rocsparse_direction_T3_S2_21rocsparse_index_base_PKT1_PKT2_PKS2_S2_S3_PS4_PS7_PS2_
		.amdhsa_group_segment_fixed_size 0
		.amdhsa_private_segment_fixed_size 0
		.amdhsa_kernarg_size 96
		.amdhsa_user_sgpr_count 2
		.amdhsa_user_sgpr_dispatch_ptr 0
		.amdhsa_user_sgpr_queue_ptr 0
		.amdhsa_user_sgpr_kernarg_segment_ptr 1
		.amdhsa_user_sgpr_dispatch_id 0
		.amdhsa_user_sgpr_kernarg_preload_length 0
		.amdhsa_user_sgpr_kernarg_preload_offset 0
		.amdhsa_user_sgpr_private_segment_size 0
		.amdhsa_wavefront_size32 1
		.amdhsa_uses_dynamic_stack 0
		.amdhsa_enable_private_segment 0
		.amdhsa_system_sgpr_workgroup_id_x 1
		.amdhsa_system_sgpr_workgroup_id_y 0
		.amdhsa_system_sgpr_workgroup_id_z 0
		.amdhsa_system_sgpr_workgroup_info 0
		.amdhsa_system_vgpr_workitem_id 0
		.amdhsa_next_free_vgpr 28
		.amdhsa_next_free_sgpr 18
		.amdhsa_named_barrier_count 0
		.amdhsa_reserve_vcc 1
		.amdhsa_float_round_mode_32 0
		.amdhsa_float_round_mode_16_64 0
		.amdhsa_float_denorm_mode_32 3
		.amdhsa_float_denorm_mode_16_64 3
		.amdhsa_fp16_overflow 0
		.amdhsa_memory_ordered 1
		.amdhsa_forward_progress 1
		.amdhsa_inst_pref_size 6
		.amdhsa_round_robin_scheduling 0
		.amdhsa_exception_fp_ieee_invalid_op 0
		.amdhsa_exception_fp_denorm_src 0
		.amdhsa_exception_fp_ieee_div_zero 0
		.amdhsa_exception_fp_ieee_overflow 0
		.amdhsa_exception_fp_ieee_underflow 0
		.amdhsa_exception_fp_ieee_inexact 0
		.amdhsa_exception_int_div_zero 0
	.end_amdhsa_kernel
	.section	.text._ZN9rocsparseL32bsr2csr_block_per_row_2_7_kernelILj256ELj3EfllEEv20rocsparse_direction_T3_S2_21rocsparse_index_base_PKT1_PKT2_PKS2_S2_S3_PS4_PS7_PS2_,"axG",@progbits,_ZN9rocsparseL32bsr2csr_block_per_row_2_7_kernelILj256ELj3EfllEEv20rocsparse_direction_T3_S2_21rocsparse_index_base_PKT1_PKT2_PKS2_S2_S3_PS4_PS7_PS2_,comdat
.Lfunc_end145:
	.size	_ZN9rocsparseL32bsr2csr_block_per_row_2_7_kernelILj256ELj3EfllEEv20rocsparse_direction_T3_S2_21rocsparse_index_base_PKT1_PKT2_PKS2_S2_S3_PS4_PS7_PS2_, .Lfunc_end145-_ZN9rocsparseL32bsr2csr_block_per_row_2_7_kernelILj256ELj3EfllEEv20rocsparse_direction_T3_S2_21rocsparse_index_base_PKT1_PKT2_PKS2_S2_S3_PS4_PS7_PS2_
                                        ; -- End function
	.set _ZN9rocsparseL32bsr2csr_block_per_row_2_7_kernelILj256ELj3EfllEEv20rocsparse_direction_T3_S2_21rocsparse_index_base_PKT1_PKT2_PKS2_S2_S3_PS4_PS7_PS2_.num_vgpr, 28
	.set _ZN9rocsparseL32bsr2csr_block_per_row_2_7_kernelILj256ELj3EfllEEv20rocsparse_direction_T3_S2_21rocsparse_index_base_PKT1_PKT2_PKS2_S2_S3_PS4_PS7_PS2_.num_agpr, 0
	.set _ZN9rocsparseL32bsr2csr_block_per_row_2_7_kernelILj256ELj3EfllEEv20rocsparse_direction_T3_S2_21rocsparse_index_base_PKT1_PKT2_PKS2_S2_S3_PS4_PS7_PS2_.numbered_sgpr, 18
	.set _ZN9rocsparseL32bsr2csr_block_per_row_2_7_kernelILj256ELj3EfllEEv20rocsparse_direction_T3_S2_21rocsparse_index_base_PKT1_PKT2_PKS2_S2_S3_PS4_PS7_PS2_.num_named_barrier, 0
	.set _ZN9rocsparseL32bsr2csr_block_per_row_2_7_kernelILj256ELj3EfllEEv20rocsparse_direction_T3_S2_21rocsparse_index_base_PKT1_PKT2_PKS2_S2_S3_PS4_PS7_PS2_.private_seg_size, 0
	.set _ZN9rocsparseL32bsr2csr_block_per_row_2_7_kernelILj256ELj3EfllEEv20rocsparse_direction_T3_S2_21rocsparse_index_base_PKT1_PKT2_PKS2_S2_S3_PS4_PS7_PS2_.uses_vcc, 1
	.set _ZN9rocsparseL32bsr2csr_block_per_row_2_7_kernelILj256ELj3EfllEEv20rocsparse_direction_T3_S2_21rocsparse_index_base_PKT1_PKT2_PKS2_S2_S3_PS4_PS7_PS2_.uses_flat_scratch, 0
	.set _ZN9rocsparseL32bsr2csr_block_per_row_2_7_kernelILj256ELj3EfllEEv20rocsparse_direction_T3_S2_21rocsparse_index_base_PKT1_PKT2_PKS2_S2_S3_PS4_PS7_PS2_.has_dyn_sized_stack, 0
	.set _ZN9rocsparseL32bsr2csr_block_per_row_2_7_kernelILj256ELj3EfllEEv20rocsparse_direction_T3_S2_21rocsparse_index_base_PKT1_PKT2_PKS2_S2_S3_PS4_PS7_PS2_.has_recursion, 0
	.set _ZN9rocsparseL32bsr2csr_block_per_row_2_7_kernelILj256ELj3EfllEEv20rocsparse_direction_T3_S2_21rocsparse_index_base_PKT1_PKT2_PKS2_S2_S3_PS4_PS7_PS2_.has_indirect_call, 0
	.section	.AMDGPU.csdata,"",@progbits
; Kernel info:
; codeLenInByte = 720
; TotalNumSgprs: 20
; NumVgprs: 28
; ScratchSize: 0
; MemoryBound: 0
; FloatMode: 240
; IeeeMode: 1
; LDSByteSize: 0 bytes/workgroup (compile time only)
; SGPRBlocks: 0
; VGPRBlocks: 1
; NumSGPRsForWavesPerEU: 20
; NumVGPRsForWavesPerEU: 28
; NamedBarCnt: 0
; Occupancy: 16
; WaveLimiterHint : 0
; COMPUTE_PGM_RSRC2:SCRATCH_EN: 0
; COMPUTE_PGM_RSRC2:USER_SGPR: 2
; COMPUTE_PGM_RSRC2:TRAP_HANDLER: 0
; COMPUTE_PGM_RSRC2:TGID_X_EN: 1
; COMPUTE_PGM_RSRC2:TGID_Y_EN: 0
; COMPUTE_PGM_RSRC2:TGID_Z_EN: 0
; COMPUTE_PGM_RSRC2:TIDIG_COMP_CNT: 0
	.section	.text._ZN9rocsparseL32bsr2csr_block_per_row_2_7_kernelILj256ELj4EfllEEv20rocsparse_direction_T3_S2_21rocsparse_index_base_PKT1_PKT2_PKS2_S2_S3_PS4_PS7_PS2_,"axG",@progbits,_ZN9rocsparseL32bsr2csr_block_per_row_2_7_kernelILj256ELj4EfllEEv20rocsparse_direction_T3_S2_21rocsparse_index_base_PKT1_PKT2_PKS2_S2_S3_PS4_PS7_PS2_,comdat
	.globl	_ZN9rocsparseL32bsr2csr_block_per_row_2_7_kernelILj256ELj4EfllEEv20rocsparse_direction_T3_S2_21rocsparse_index_base_PKT1_PKT2_PKS2_S2_S3_PS4_PS7_PS2_ ; -- Begin function _ZN9rocsparseL32bsr2csr_block_per_row_2_7_kernelILj256ELj4EfllEEv20rocsparse_direction_T3_S2_21rocsparse_index_base_PKT1_PKT2_PKS2_S2_S3_PS4_PS7_PS2_
	.p2align	8
	.type	_ZN9rocsparseL32bsr2csr_block_per_row_2_7_kernelILj256ELj4EfllEEv20rocsparse_direction_T3_S2_21rocsparse_index_base_PKT1_PKT2_PKS2_S2_S3_PS4_PS7_PS2_,@function
_ZN9rocsparseL32bsr2csr_block_per_row_2_7_kernelILj256ELj4EfllEEv20rocsparse_direction_T3_S2_21rocsparse_index_base_PKT1_PKT2_PKS2_S2_S3_PS4_PS7_PS2_: ; @_ZN9rocsparseL32bsr2csr_block_per_row_2_7_kernelILj256ELj4EfllEEv20rocsparse_direction_T3_S2_21rocsparse_index_base_PKT1_PKT2_PKS2_S2_S3_PS4_PS7_PS2_
; %bb.0:
	s_load_b64 s[4:5], s[0:1], 0x28
	s_bfe_u32 s2, ttmp6, 0x4000c
	s_and_b32 s3, ttmp6, 15
	s_add_co_i32 s2, s2, 1
	s_getreg_b32 s6, hwreg(HW_REG_IB_STS2, 6, 4)
	s_mul_i32 s2, ttmp9, s2
	s_clause 0x1
	s_load_b32 s8, s[0:1], 0x40
	s_load_b64 s[12:13], s[0:1], 0x50
	s_add_co_i32 s2, s3, s2
	s_cmp_eq_u32 s6, 0
	s_mov_b32 s3, 0
	s_cselect_b32 s10, ttmp9, s2
	s_mov_b32 s11, s3
	v_or_b32_e32 v1, s10, v0
	s_lshl_b64 s[6:7], s[10:11], 3
	s_mov_b32 s9, s3
	s_mov_b32 s2, exec_lo
	s_wait_kmcnt 0x0
	s_add_nc_u64 s[14:15], s[4:5], s[6:7]
	s_load_b128 s[4:7], s[14:15], 0x0
	v_cmpx_eq_u32_e32 0, v1
	s_cbranch_execz .LBB146_2
; %bb.1:
	v_mov_b64_e32 v[2:3], s[8:9]
	v_mov_b32_e32 v1, 0
	global_store_b64 v1, v[2:3], s[12:13]
.LBB146_2:
	s_wait_xcnt 0x0
	s_or_b32 exec_lo, exec_lo, s2
	s_load_b32 s2, s[0:1], 0x18
	v_dual_mov_b32 v3, 0 :: v_dual_bitop2_b32 v2, 3, v0 bitop3:0x40
	v_lshrrev_b32_e32 v6, 2, v0
	s_lshl_b64 s[10:11], s[10:11], 5
	s_delay_alu instid0(SALU_CYCLE_1) | instskip(NEXT) | instid1(VALU_DEP_2)
	s_add_nc_u64 s[10:11], s[12:13], s[10:11]
	v_mov_b32_e32 v7, v3
	s_wait_kmcnt 0x0
	s_sub_nc_u64 s[14:15], s[4:5], s[2:3]
	s_sub_nc_u64 s[6:7], s[6:7], s[2:3]
	s_delay_alu instid0(VALU_DEP_1) | instskip(SKIP_3) | instid1(SALU_CYCLE_1)
	v_add_nc_u64_e32 v[0:1], s[14:15], v[6:7]
	s_sub_nc_u64 s[16:17], s[6:7], s[14:15]
	s_lshl_b64 s[14:15], s[14:15], 4
	s_lshl_b64 s[16:17], s[16:17], 2
	v_mul_u64_e32 v[4:5], s[16:17], v[2:3]
	s_add_nc_u64 s[16:17], s[16:17], s[8:9]
	s_delay_alu instid0(SALU_CYCLE_1)
	s_add_nc_u64 s[14:15], s[16:17], s[14:15]
	s_delay_alu instid0(VALU_DEP_1) | instid1(SALU_CYCLE_1)
	v_add_nc_u64_e32 v[8:9], s[14:15], v[4:5]
	global_store_b64 v2, v[8:9], s[10:11] offset:8 scale_offset
	s_wait_xcnt 0x0
	s_mov_b32 s10, exec_lo
	v_cmpx_gt_i64_e64 s[6:7], v[0:1]
	s_cbranch_execz .LBB146_5
; %bb.3:
	s_clause 0x3
	s_load_b64 s[10:11], s[0:1], 0x30
	s_load_b64 s[12:13], s[0:1], 0x48
	s_load_b32 s16, s[0:1], 0x0
	s_load_b64 s[14:15], s[0:1], 0x58
	v_lshl_add_u64 v[4:5], s[4:5], 4, v[4:5]
	v_dual_mov_b32 v7, v3 :: v_dual_lshlrev_b32 v6, 2, v6
	s_wait_xcnt 0x0
	s_load_b64 s[0:1], s[0:1], 0x20
	v_mul_hi_u32_u24_e32 v3, 12, v2
	s_delay_alu instid0(VALU_DEP_2) | instskip(SKIP_1) | instid1(VALU_DEP_1)
	v_add_nc_u64_e32 v[4:5], v[4:5], v[6:7]
	v_lshlrev_b64_e32 v[6:7], 6, v[0:1]
	v_lshl_or_b32 v6, v2, 2, v6
	v_mul_u32_u24_e32 v2, 12, v2
	s_wait_kmcnt 0x0
	s_cmp_eq_u32 s16, 0
	s_cselect_b32 vcc_lo, -1, 0
	s_lshl_b64 s[4:5], s[2:3], 4
	s_delay_alu instid0(SALU_CYCLE_1) | instskip(SKIP_2) | instid1(VALU_DEP_2)
	v_sub_nc_u64_e64 v[10:11], v[4:5], s[4:5]
	v_add_nc_u64_e32 v[4:5], s[0:1], v[6:7]
	s_mov_b32 s1, 0
	v_lshl_add_u64 v[8:9], v[10:11], 3, s[14:15]
	v_lshl_add_u64 v[10:11], v[10:11], 2, s[12:13]
	s_delay_alu instid0(VALU_DEP_2)
	v_add_nc_u64_e32 v[6:7], 16, v[8:9]
	v_lshl_add_u64 v[8:9], v[0:1], 3, s[10:11]
.LBB146_4:                              ; =>This Inner Loop Header: Depth=1
	v_add_nc_u64_e32 v[12:13], v[4:5], v[2:3]
	global_load_b64 v[16:17], v[8:9], off
	v_add_nc_u64_e32 v[14:15], 16, v[4:5]
	v_add_nc_u64_e32 v[18:19], 32, v[4:5]
	;; [unrolled: 1-line block ×4, first 2 shown]
	s_wait_xcnt 0x0
	v_add_nc_u64_e32 v[8:9], 0x200, v[8:9]
	v_add_nc_u64_e32 v[24:25], 4, v[12:13]
	;; [unrolled: 1-line block ×3, first 2 shown]
	v_dual_cndmask_b32 v23, v5, v13 :: v_dual_cndmask_b32 v22, v4, v12
	v_add_nc_u64_e32 v[28:29], 12, v[12:13]
	v_cmp_le_i64_e64 s0, s[6:7], v[0:1]
	v_add_nc_u64_e32 v[4:5], 0x1000, v[4:5]
	global_load_b32 v12, v[22:23], off
	s_wait_xcnt 0x0
	v_dual_cndmask_b32 v23, v15, v25 :: v_dual_cndmask_b32 v22, v14, v24
	v_dual_cndmask_b32 v19, v19, v27 :: v_dual_cndmask_b32 v18, v18, v26
	;; [unrolled: 1-line block ×3, first 2 shown]
	global_load_b32 v13, v[22:23], off
	global_load_b32 v14, v[18:19], off
	;; [unrolled: 1-line block ×3, first 2 shown]
	s_or_b32 s1, s0, s1
	s_wait_loadcnt 0x4
	v_sub_nc_u64_e64 v[16:17], v[16:17], s[2:3]
	s_delay_alu instid0(VALU_DEP_1) | instskip(SKIP_1) | instid1(VALU_DEP_1)
	v_lshl_add_u64 v[16:17], v[16:17], 2, s[8:9]
	s_wait_xcnt 0x1
	v_add_nc_u64_e32 v[18:19], 1, v[16:17]
	s_wait_xcnt 0x0
	v_add_nc_u64_e32 v[20:21], 2, v[16:17]
	v_add_nc_u64_e32 v[22:23], 3, v[16:17]
	s_clause 0x1
	global_store_b128 v[6:7], v[16:19], off offset:-16
	global_store_b128 v[6:7], v[20:23], off
	s_wait_loadcnt 0x0
	global_store_b128 v[10:11], v[12:15], off
	s_wait_xcnt 0x0
	v_add_nc_u64_e32 v[10:11], 0x400, v[10:11]
	v_add_nc_u64_e32 v[6:7], 0x800, v[6:7]
	s_and_not1_b32 exec_lo, exec_lo, s1
	s_cbranch_execnz .LBB146_4
.LBB146_5:
	s_endpgm
	.section	.rodata,"a",@progbits
	.p2align	6, 0x0
	.amdhsa_kernel _ZN9rocsparseL32bsr2csr_block_per_row_2_7_kernelILj256ELj4EfllEEv20rocsparse_direction_T3_S2_21rocsparse_index_base_PKT1_PKT2_PKS2_S2_S3_PS4_PS7_PS2_
		.amdhsa_group_segment_fixed_size 0
		.amdhsa_private_segment_fixed_size 0
		.amdhsa_kernarg_size 96
		.amdhsa_user_sgpr_count 2
		.amdhsa_user_sgpr_dispatch_ptr 0
		.amdhsa_user_sgpr_queue_ptr 0
		.amdhsa_user_sgpr_kernarg_segment_ptr 1
		.amdhsa_user_sgpr_dispatch_id 0
		.amdhsa_user_sgpr_kernarg_preload_length 0
		.amdhsa_user_sgpr_kernarg_preload_offset 0
		.amdhsa_user_sgpr_private_segment_size 0
		.amdhsa_wavefront_size32 1
		.amdhsa_uses_dynamic_stack 0
		.amdhsa_enable_private_segment 0
		.amdhsa_system_sgpr_workgroup_id_x 1
		.amdhsa_system_sgpr_workgroup_id_y 0
		.amdhsa_system_sgpr_workgroup_id_z 0
		.amdhsa_system_sgpr_workgroup_info 0
		.amdhsa_system_vgpr_workitem_id 0
		.amdhsa_next_free_vgpr 30
		.amdhsa_next_free_sgpr 18
		.amdhsa_named_barrier_count 0
		.amdhsa_reserve_vcc 1
		.amdhsa_float_round_mode_32 0
		.amdhsa_float_round_mode_16_64 0
		.amdhsa_float_denorm_mode_32 3
		.amdhsa_float_denorm_mode_16_64 3
		.amdhsa_fp16_overflow 0
		.amdhsa_memory_ordered 1
		.amdhsa_forward_progress 1
		.amdhsa_inst_pref_size 6
		.amdhsa_round_robin_scheduling 0
		.amdhsa_exception_fp_ieee_invalid_op 0
		.amdhsa_exception_fp_denorm_src 0
		.amdhsa_exception_fp_ieee_div_zero 0
		.amdhsa_exception_fp_ieee_overflow 0
		.amdhsa_exception_fp_ieee_underflow 0
		.amdhsa_exception_fp_ieee_inexact 0
		.amdhsa_exception_int_div_zero 0
	.end_amdhsa_kernel
	.section	.text._ZN9rocsparseL32bsr2csr_block_per_row_2_7_kernelILj256ELj4EfllEEv20rocsparse_direction_T3_S2_21rocsparse_index_base_PKT1_PKT2_PKS2_S2_S3_PS4_PS7_PS2_,"axG",@progbits,_ZN9rocsparseL32bsr2csr_block_per_row_2_7_kernelILj256ELj4EfllEEv20rocsparse_direction_T3_S2_21rocsparse_index_base_PKT1_PKT2_PKS2_S2_S3_PS4_PS7_PS2_,comdat
.Lfunc_end146:
	.size	_ZN9rocsparseL32bsr2csr_block_per_row_2_7_kernelILj256ELj4EfllEEv20rocsparse_direction_T3_S2_21rocsparse_index_base_PKT1_PKT2_PKS2_S2_S3_PS4_PS7_PS2_, .Lfunc_end146-_ZN9rocsparseL32bsr2csr_block_per_row_2_7_kernelILj256ELj4EfllEEv20rocsparse_direction_T3_S2_21rocsparse_index_base_PKT1_PKT2_PKS2_S2_S3_PS4_PS7_PS2_
                                        ; -- End function
	.set _ZN9rocsparseL32bsr2csr_block_per_row_2_7_kernelILj256ELj4EfllEEv20rocsparse_direction_T3_S2_21rocsparse_index_base_PKT1_PKT2_PKS2_S2_S3_PS4_PS7_PS2_.num_vgpr, 30
	.set _ZN9rocsparseL32bsr2csr_block_per_row_2_7_kernelILj256ELj4EfllEEv20rocsparse_direction_T3_S2_21rocsparse_index_base_PKT1_PKT2_PKS2_S2_S3_PS4_PS7_PS2_.num_agpr, 0
	.set _ZN9rocsparseL32bsr2csr_block_per_row_2_7_kernelILj256ELj4EfllEEv20rocsparse_direction_T3_S2_21rocsparse_index_base_PKT1_PKT2_PKS2_S2_S3_PS4_PS7_PS2_.numbered_sgpr, 18
	.set _ZN9rocsparseL32bsr2csr_block_per_row_2_7_kernelILj256ELj4EfllEEv20rocsparse_direction_T3_S2_21rocsparse_index_base_PKT1_PKT2_PKS2_S2_S3_PS4_PS7_PS2_.num_named_barrier, 0
	.set _ZN9rocsparseL32bsr2csr_block_per_row_2_7_kernelILj256ELj4EfllEEv20rocsparse_direction_T3_S2_21rocsparse_index_base_PKT1_PKT2_PKS2_S2_S3_PS4_PS7_PS2_.private_seg_size, 0
	.set _ZN9rocsparseL32bsr2csr_block_per_row_2_7_kernelILj256ELj4EfllEEv20rocsparse_direction_T3_S2_21rocsparse_index_base_PKT1_PKT2_PKS2_S2_S3_PS4_PS7_PS2_.uses_vcc, 1
	.set _ZN9rocsparseL32bsr2csr_block_per_row_2_7_kernelILj256ELj4EfllEEv20rocsparse_direction_T3_S2_21rocsparse_index_base_PKT1_PKT2_PKS2_S2_S3_PS4_PS7_PS2_.uses_flat_scratch, 0
	.set _ZN9rocsparseL32bsr2csr_block_per_row_2_7_kernelILj256ELj4EfllEEv20rocsparse_direction_T3_S2_21rocsparse_index_base_PKT1_PKT2_PKS2_S2_S3_PS4_PS7_PS2_.has_dyn_sized_stack, 0
	.set _ZN9rocsparseL32bsr2csr_block_per_row_2_7_kernelILj256ELj4EfllEEv20rocsparse_direction_T3_S2_21rocsparse_index_base_PKT1_PKT2_PKS2_S2_S3_PS4_PS7_PS2_.has_recursion, 0
	.set _ZN9rocsparseL32bsr2csr_block_per_row_2_7_kernelILj256ELj4EfllEEv20rocsparse_direction_T3_S2_21rocsparse_index_base_PKT1_PKT2_PKS2_S2_S3_PS4_PS7_PS2_.has_indirect_call, 0
	.section	.AMDGPU.csdata,"",@progbits
; Kernel info:
; codeLenInByte = 708
; TotalNumSgprs: 20
; NumVgprs: 30
; ScratchSize: 0
; MemoryBound: 0
; FloatMode: 240
; IeeeMode: 1
; LDSByteSize: 0 bytes/workgroup (compile time only)
; SGPRBlocks: 0
; VGPRBlocks: 1
; NumSGPRsForWavesPerEU: 20
; NumVGPRsForWavesPerEU: 30
; NamedBarCnt: 0
; Occupancy: 16
; WaveLimiterHint : 0
; COMPUTE_PGM_RSRC2:SCRATCH_EN: 0
; COMPUTE_PGM_RSRC2:USER_SGPR: 2
; COMPUTE_PGM_RSRC2:TRAP_HANDLER: 0
; COMPUTE_PGM_RSRC2:TGID_X_EN: 1
; COMPUTE_PGM_RSRC2:TGID_Y_EN: 0
; COMPUTE_PGM_RSRC2:TGID_Z_EN: 0
; COMPUTE_PGM_RSRC2:TIDIG_COMP_CNT: 0
	.section	.text._ZN9rocsparseL32bsr2csr_block_per_row_2_7_kernelILj256ELj5EfllEEv20rocsparse_direction_T3_S2_21rocsparse_index_base_PKT1_PKT2_PKS2_S2_S3_PS4_PS7_PS2_,"axG",@progbits,_ZN9rocsparseL32bsr2csr_block_per_row_2_7_kernelILj256ELj5EfllEEv20rocsparse_direction_T3_S2_21rocsparse_index_base_PKT1_PKT2_PKS2_S2_S3_PS4_PS7_PS2_,comdat
	.globl	_ZN9rocsparseL32bsr2csr_block_per_row_2_7_kernelILj256ELj5EfllEEv20rocsparse_direction_T3_S2_21rocsparse_index_base_PKT1_PKT2_PKS2_S2_S3_PS4_PS7_PS2_ ; -- Begin function _ZN9rocsparseL32bsr2csr_block_per_row_2_7_kernelILj256ELj5EfllEEv20rocsparse_direction_T3_S2_21rocsparse_index_base_PKT1_PKT2_PKS2_S2_S3_PS4_PS7_PS2_
	.p2align	8
	.type	_ZN9rocsparseL32bsr2csr_block_per_row_2_7_kernelILj256ELj5EfllEEv20rocsparse_direction_T3_S2_21rocsparse_index_base_PKT1_PKT2_PKS2_S2_S3_PS4_PS7_PS2_,@function
_ZN9rocsparseL32bsr2csr_block_per_row_2_7_kernelILj256ELj5EfllEEv20rocsparse_direction_T3_S2_21rocsparse_index_base_PKT1_PKT2_PKS2_S2_S3_PS4_PS7_PS2_: ; @_ZN9rocsparseL32bsr2csr_block_per_row_2_7_kernelILj256ELj5EfllEEv20rocsparse_direction_T3_S2_21rocsparse_index_base_PKT1_PKT2_PKS2_S2_S3_PS4_PS7_PS2_
; %bb.0:
	s_clause 0x1
	s_load_b32 s2, s[0:1], 0x40
	s_load_b64 s[10:11], s[0:1], 0x50
	s_bfe_u32 s3, ttmp6, 0x4000c
	s_and_b32 s4, ttmp6, 15
	s_add_co_i32 s3, s3, 1
	s_getreg_b32 s5, hwreg(HW_REG_IB_STS2, 6, 4)
	s_mul_i32 s3, ttmp9, s3
	s_mov_b32 s13, 0
	s_add_co_i32 s4, s4, s3
	s_cmp_eq_u32 s5, 0
	s_mov_b32 s3, exec_lo
	s_cselect_b32 s12, ttmp9, s4
	s_delay_alu instid0(SALU_CYCLE_1) | instskip(NEXT) | instid1(VALU_DEP_1)
	v_or_b32_e32 v1, s12, v0
	v_cmpx_eq_u32_e32 0, v1
	s_cbranch_execz .LBB147_2
; %bb.1:
	s_wait_kmcnt 0x0
	v_dual_mov_b32 v2, s2 :: v_dual_mov_b32 v3, 0
	global_store_b64 v3, v[2:3], s[10:11]
.LBB147_2:
	s_wait_xcnt 0x0
	s_or_b32 exec_lo, exec_lo, s3
	v_and_b32_e32 v12, 7, v0
	s_mov_b32 s3, exec_lo
	s_delay_alu instid0(VALU_DEP_1)
	v_cmpx_gt_u32_e32 5, v12
	s_cbranch_execz .LBB147_6
; %bb.3:
	s_clause 0x1
	s_load_b64 s[4:5], s[0:1], 0x28
	s_load_b32 s8, s[0:1], 0x18
	s_lshl_b64 s[6:7], s[12:13], 3
	s_mov_b32 s9, 0
	v_dual_mov_b32 v13, 0 :: v_dual_lshrrev_b32 v2, 3, v0
	s_mov_b32 s3, s9
	s_mul_u64 s[12:13], s[12:13], 40
	s_delay_alu instid0(VALU_DEP_1)
	v_mov_b32_e32 v3, v13
	s_wait_kmcnt 0x0
	s_add_nc_u64 s[10:11], s[10:11], s[12:13]
	s_add_nc_u64 s[14:15], s[4:5], s[6:7]
	s_load_b128 s[4:7], s[14:15], 0x0
	s_wait_kmcnt 0x0
	s_sub_nc_u64 s[14:15], s[4:5], s[8:9]
	s_sub_nc_u64 s[6:7], s[6:7], s[8:9]
	v_add_nc_u64_e32 v[0:1], s[14:15], v[2:3]
	s_sub_nc_u64 s[16:17], s[6:7], s[14:15]
	s_mul_u64 s[14:15], s[14:15], 25
	s_mul_u64 s[16:17], s[16:17], 5
	s_delay_alu instid0(SALU_CYCLE_1) | instskip(SKIP_1) | instid1(VALU_DEP_2)
	v_mul_u64_e32 v[4:5], s[16:17], v[12:13]
	s_add_nc_u64 s[16:17], s[16:17], s[2:3]
	v_cmp_gt_i64_e32 vcc_lo, s[6:7], v[0:1]
	s_add_nc_u64 s[14:15], s[16:17], s[14:15]
	s_delay_alu instid0(VALU_DEP_2) | instid1(SALU_CYCLE_1)
	v_add_nc_u64_e32 v[6:7], s[14:15], v[4:5]
	global_store_b64 v12, v[6:7], s[10:11] offset:8 scale_offset
	s_wait_xcnt 0x0
	s_and_b32 exec_lo, exec_lo, vcc_lo
	s_cbranch_execz .LBB147_6
; %bb.4:
	v_mad_nc_u64_u32 v[4:5], s4, 25, v[4:5]
	s_delay_alu instid0(VALU_DEP_1)
	v_mad_u32 v5, s5, 25, v5
	s_clause 0x4
	s_load_b64 s[4:5], s[0:1], 0x20
	s_load_b64 s[10:11], s[0:1], 0x48
	;; [unrolled: 1-line block ×4, first 2 shown]
	s_load_b32 s16, s[0:1], 0x0
	s_wait_xcnt 0x0
	s_mul_u64 s[0:1], s[8:9], 25
	s_delay_alu instid0(VALU_DEP_1) | instskip(SKIP_3) | instid1(VALU_DEP_2)
	v_mad_nc_u64_u32 v[4:5], v2, 5, v[4:5]
	s_wait_kmcnt 0x0
	v_mad_nc_u64_u32 v[2:3], 0x64, v0, s[4:5]
	s_cmp_eq_u32 s16, 0
	v_sub_nc_u64_e64 v[6:7], v[4:5], s[0:1]
	v_dual_mov_b32 v5, v13 :: v_dual_lshlrev_b32 v4, 2, v12
	v_mul_hi_u32_u24_e32 v13, 20, v12
	v_mul_u32_u24_e32 v12, 20, v12
	s_cselect_b32 vcc_lo, -1, 0
	s_mov_b32 s1, s9
	s_delay_alu instid0(VALU_DEP_4) | instskip(SKIP_3) | instid1(VALU_DEP_4)
	v_lshl_add_u64 v[8:9], v[6:7], 2, s[10:11]
	v_lshl_add_u64 v[10:11], v[6:7], 3, s[12:13]
	v_mad_u32 v3, 0x64, v1, v3
	v_lshl_add_u64 v[6:7], v[0:1], 3, s[14:15]
	v_add_nc_u64_e32 v[8:9], 12, v[8:9]
	s_delay_alu instid0(VALU_DEP_4)
	v_add_nc_u64_e32 v[10:11], 16, v[10:11]
.LBB147_5:                              ; =>This Inner Loop Header: Depth=1
	global_load_b64 v[14:15], v[6:7], off
	v_add_nc_u64_e32 v[16:17], v[2:3], v[4:5]
	v_add_nc_u64_e32 v[18:19], v[2:3], v[12:13]
	;; [unrolled: 1-line block ×3, first 2 shown]
	s_wait_xcnt 0x0
	v_add_nc_u64_e32 v[6:7], 0x100, v[6:7]
	v_add_nc_u64_e32 v[2:3], 0xc80, v[2:3]
	;; [unrolled: 1-line block ×6, first 2 shown]
	v_dual_cndmask_b32 v21, v17, v19 :: v_dual_cndmask_b32 v20, v16, v18
	v_add_nc_u64_e32 v[32:33], 12, v[18:19]
	v_add_nc_u64_e32 v[34:35], 60, v[16:17]
	;; [unrolled: 1-line block ×4, first 2 shown]
	global_load_b32 v22, v[20:21], off
	s_wait_xcnt 0x0
	v_dual_cndmask_b32 v21, v27, v25 :: v_dual_cndmask_b32 v20, v26, v24
	v_dual_cndmask_b32 v27, v31, v29 :: v_dual_cndmask_b32 v26, v30, v28
	;; [unrolled: 1-line block ×4, first 2 shown]
	global_load_b32 v23, v[20:21], off
	global_load_b32 v24, v[26:27], off
	;; [unrolled: 1-line block ×4, first 2 shown]
	v_cmp_le_i64_e64 s0, s[6:7], v[0:1]
	s_wait_loadcnt 0x2
	global_store_b96 v[8:9], v[22:24], off offset:-12
	s_wait_loadcnt 0x0
	global_store_b64 v[8:9], v[30:31], off
	s_wait_xcnt 0x2
	v_sub_nc_u64_e64 v[16:17], v[14:15], s[8:9]
	s_wait_xcnt 0x0
	v_add_nc_u64_e32 v[8:9], 0x280, v[8:9]
	s_or_b32 s1, s0, s1
	s_delay_alu instid0(VALU_DEP_2) | instskip(NEXT) | instid1(VALU_DEP_1)
	v_mad_nc_u64_u32 v[14:15], v16, 5, s[2:3]
	v_mad_u32 v15, v17, 5, v15
	s_delay_alu instid0(VALU_DEP_1)
	v_add_nc_u64_e32 v[16:17], 1, v[14:15]
	v_add_nc_u64_e32 v[18:19], 2, v[14:15]
	;; [unrolled: 1-line block ×4, first 2 shown]
	s_clause 0x2
	global_store_b128 v[10:11], v[14:17], off offset:-16
	global_store_b128 v[10:11], v[18:21], off
	global_store_b64 v[10:11], v[26:27], off offset:16
	s_wait_xcnt 0x0
	v_add_nc_u64_e32 v[10:11], 0x500, v[10:11]
	s_and_not1_b32 exec_lo, exec_lo, s1
	s_cbranch_execnz .LBB147_5
.LBB147_6:
	s_endpgm
	.section	.rodata,"a",@progbits
	.p2align	6, 0x0
	.amdhsa_kernel _ZN9rocsparseL32bsr2csr_block_per_row_2_7_kernelILj256ELj5EfllEEv20rocsparse_direction_T3_S2_21rocsparse_index_base_PKT1_PKT2_PKS2_S2_S3_PS4_PS7_PS2_
		.amdhsa_group_segment_fixed_size 0
		.amdhsa_private_segment_fixed_size 0
		.amdhsa_kernarg_size 96
		.amdhsa_user_sgpr_count 2
		.amdhsa_user_sgpr_dispatch_ptr 0
		.amdhsa_user_sgpr_queue_ptr 0
		.amdhsa_user_sgpr_kernarg_segment_ptr 1
		.amdhsa_user_sgpr_dispatch_id 0
		.amdhsa_user_sgpr_kernarg_preload_length 0
		.amdhsa_user_sgpr_kernarg_preload_offset 0
		.amdhsa_user_sgpr_private_segment_size 0
		.amdhsa_wavefront_size32 1
		.amdhsa_uses_dynamic_stack 0
		.amdhsa_enable_private_segment 0
		.amdhsa_system_sgpr_workgroup_id_x 1
		.amdhsa_system_sgpr_workgroup_id_y 0
		.amdhsa_system_sgpr_workgroup_id_z 0
		.amdhsa_system_sgpr_workgroup_info 0
		.amdhsa_system_vgpr_workitem_id 0
		.amdhsa_next_free_vgpr 36
		.amdhsa_next_free_sgpr 18
		.amdhsa_named_barrier_count 0
		.amdhsa_reserve_vcc 1
		.amdhsa_float_round_mode_32 0
		.amdhsa_float_round_mode_16_64 0
		.amdhsa_float_denorm_mode_32 3
		.amdhsa_float_denorm_mode_16_64 3
		.amdhsa_fp16_overflow 0
		.amdhsa_memory_ordered 1
		.amdhsa_forward_progress 1
		.amdhsa_inst_pref_size 7
		.amdhsa_round_robin_scheduling 0
		.amdhsa_exception_fp_ieee_invalid_op 0
		.amdhsa_exception_fp_denorm_src 0
		.amdhsa_exception_fp_ieee_div_zero 0
		.amdhsa_exception_fp_ieee_overflow 0
		.amdhsa_exception_fp_ieee_underflow 0
		.amdhsa_exception_fp_ieee_inexact 0
		.amdhsa_exception_int_div_zero 0
	.end_amdhsa_kernel
	.section	.text._ZN9rocsparseL32bsr2csr_block_per_row_2_7_kernelILj256ELj5EfllEEv20rocsparse_direction_T3_S2_21rocsparse_index_base_PKT1_PKT2_PKS2_S2_S3_PS4_PS7_PS2_,"axG",@progbits,_ZN9rocsparseL32bsr2csr_block_per_row_2_7_kernelILj256ELj5EfllEEv20rocsparse_direction_T3_S2_21rocsparse_index_base_PKT1_PKT2_PKS2_S2_S3_PS4_PS7_PS2_,comdat
.Lfunc_end147:
	.size	_ZN9rocsparseL32bsr2csr_block_per_row_2_7_kernelILj256ELj5EfllEEv20rocsparse_direction_T3_S2_21rocsparse_index_base_PKT1_PKT2_PKS2_S2_S3_PS4_PS7_PS2_, .Lfunc_end147-_ZN9rocsparseL32bsr2csr_block_per_row_2_7_kernelILj256ELj5EfllEEv20rocsparse_direction_T3_S2_21rocsparse_index_base_PKT1_PKT2_PKS2_S2_S3_PS4_PS7_PS2_
                                        ; -- End function
	.set _ZN9rocsparseL32bsr2csr_block_per_row_2_7_kernelILj256ELj5EfllEEv20rocsparse_direction_T3_S2_21rocsparse_index_base_PKT1_PKT2_PKS2_S2_S3_PS4_PS7_PS2_.num_vgpr, 36
	.set _ZN9rocsparseL32bsr2csr_block_per_row_2_7_kernelILj256ELj5EfllEEv20rocsparse_direction_T3_S2_21rocsparse_index_base_PKT1_PKT2_PKS2_S2_S3_PS4_PS7_PS2_.num_agpr, 0
	.set _ZN9rocsparseL32bsr2csr_block_per_row_2_7_kernelILj256ELj5EfllEEv20rocsparse_direction_T3_S2_21rocsparse_index_base_PKT1_PKT2_PKS2_S2_S3_PS4_PS7_PS2_.numbered_sgpr, 18
	.set _ZN9rocsparseL32bsr2csr_block_per_row_2_7_kernelILj256ELj5EfllEEv20rocsparse_direction_T3_S2_21rocsparse_index_base_PKT1_PKT2_PKS2_S2_S3_PS4_PS7_PS2_.num_named_barrier, 0
	.set _ZN9rocsparseL32bsr2csr_block_per_row_2_7_kernelILj256ELj5EfllEEv20rocsparse_direction_T3_S2_21rocsparse_index_base_PKT1_PKT2_PKS2_S2_S3_PS4_PS7_PS2_.private_seg_size, 0
	.set _ZN9rocsparseL32bsr2csr_block_per_row_2_7_kernelILj256ELj5EfllEEv20rocsparse_direction_T3_S2_21rocsparse_index_base_PKT1_PKT2_PKS2_S2_S3_PS4_PS7_PS2_.uses_vcc, 1
	.set _ZN9rocsparseL32bsr2csr_block_per_row_2_7_kernelILj256ELj5EfllEEv20rocsparse_direction_T3_S2_21rocsparse_index_base_PKT1_PKT2_PKS2_S2_S3_PS4_PS7_PS2_.uses_flat_scratch, 0
	.set _ZN9rocsparseL32bsr2csr_block_per_row_2_7_kernelILj256ELj5EfllEEv20rocsparse_direction_T3_S2_21rocsparse_index_base_PKT1_PKT2_PKS2_S2_S3_PS4_PS7_PS2_.has_dyn_sized_stack, 0
	.set _ZN9rocsparseL32bsr2csr_block_per_row_2_7_kernelILj256ELj5EfllEEv20rocsparse_direction_T3_S2_21rocsparse_index_base_PKT1_PKT2_PKS2_S2_S3_PS4_PS7_PS2_.has_recursion, 0
	.set _ZN9rocsparseL32bsr2csr_block_per_row_2_7_kernelILj256ELj5EfllEEv20rocsparse_direction_T3_S2_21rocsparse_index_base_PKT1_PKT2_PKS2_S2_S3_PS4_PS7_PS2_.has_indirect_call, 0
	.section	.AMDGPU.csdata,"",@progbits
; Kernel info:
; codeLenInByte = 828
; TotalNumSgprs: 20
; NumVgprs: 36
; ScratchSize: 0
; MemoryBound: 0
; FloatMode: 240
; IeeeMode: 1
; LDSByteSize: 0 bytes/workgroup (compile time only)
; SGPRBlocks: 0
; VGPRBlocks: 2
; NumSGPRsForWavesPerEU: 20
; NumVGPRsForWavesPerEU: 36
; NamedBarCnt: 0
; Occupancy: 16
; WaveLimiterHint : 0
; COMPUTE_PGM_RSRC2:SCRATCH_EN: 0
; COMPUTE_PGM_RSRC2:USER_SGPR: 2
; COMPUTE_PGM_RSRC2:TRAP_HANDLER: 0
; COMPUTE_PGM_RSRC2:TGID_X_EN: 1
; COMPUTE_PGM_RSRC2:TGID_Y_EN: 0
; COMPUTE_PGM_RSRC2:TGID_Z_EN: 0
; COMPUTE_PGM_RSRC2:TIDIG_COMP_CNT: 0
	.section	.text._ZN9rocsparseL32bsr2csr_block_per_row_2_7_kernelILj256ELj6EfllEEv20rocsparse_direction_T3_S2_21rocsparse_index_base_PKT1_PKT2_PKS2_S2_S3_PS4_PS7_PS2_,"axG",@progbits,_ZN9rocsparseL32bsr2csr_block_per_row_2_7_kernelILj256ELj6EfllEEv20rocsparse_direction_T3_S2_21rocsparse_index_base_PKT1_PKT2_PKS2_S2_S3_PS4_PS7_PS2_,comdat
	.globl	_ZN9rocsparseL32bsr2csr_block_per_row_2_7_kernelILj256ELj6EfllEEv20rocsparse_direction_T3_S2_21rocsparse_index_base_PKT1_PKT2_PKS2_S2_S3_PS4_PS7_PS2_ ; -- Begin function _ZN9rocsparseL32bsr2csr_block_per_row_2_7_kernelILj256ELj6EfllEEv20rocsparse_direction_T3_S2_21rocsparse_index_base_PKT1_PKT2_PKS2_S2_S3_PS4_PS7_PS2_
	.p2align	8
	.type	_ZN9rocsparseL32bsr2csr_block_per_row_2_7_kernelILj256ELj6EfllEEv20rocsparse_direction_T3_S2_21rocsparse_index_base_PKT1_PKT2_PKS2_S2_S3_PS4_PS7_PS2_,@function
_ZN9rocsparseL32bsr2csr_block_per_row_2_7_kernelILj256ELj6EfllEEv20rocsparse_direction_T3_S2_21rocsparse_index_base_PKT1_PKT2_PKS2_S2_S3_PS4_PS7_PS2_: ; @_ZN9rocsparseL32bsr2csr_block_per_row_2_7_kernelILj256ELj6EfllEEv20rocsparse_direction_T3_S2_21rocsparse_index_base_PKT1_PKT2_PKS2_S2_S3_PS4_PS7_PS2_
; %bb.0:
	s_clause 0x1
	s_load_b32 s2, s[0:1], 0x40
	s_load_b64 s[10:11], s[0:1], 0x50
	s_bfe_u32 s3, ttmp6, 0x4000c
	s_and_b32 s4, ttmp6, 15
	s_add_co_i32 s3, s3, 1
	s_getreg_b32 s5, hwreg(HW_REG_IB_STS2, 6, 4)
	s_mul_i32 s3, ttmp9, s3
	s_mov_b32 s13, 0
	s_add_co_i32 s4, s4, s3
	s_cmp_eq_u32 s5, 0
	s_mov_b32 s3, exec_lo
	s_cselect_b32 s12, ttmp9, s4
	s_delay_alu instid0(SALU_CYCLE_1) | instskip(NEXT) | instid1(VALU_DEP_1)
	v_or_b32_e32 v1, s12, v0
	v_cmpx_eq_u32_e32 0, v1
	s_cbranch_execz .LBB148_2
; %bb.1:
	s_wait_kmcnt 0x0
	v_dual_mov_b32 v2, s2 :: v_dual_mov_b32 v3, 0
	global_store_b64 v3, v[2:3], s[10:11]
.LBB148_2:
	s_wait_xcnt 0x0
	s_or_b32 exec_lo, exec_lo, s3
	v_and_b32_e32 v4, 7, v0
	s_mov_b32 s3, exec_lo
	s_delay_alu instid0(VALU_DEP_1)
	v_cmpx_gt_u32_e32 6, v4
	s_cbranch_execz .LBB148_6
; %bb.3:
	s_clause 0x1
	s_load_b64 s[4:5], s[0:1], 0x28
	s_load_b32 s8, s[0:1], 0x18
	s_lshl_b64 s[6:7], s[12:13], 3
	s_mov_b32 s9, 0
	v_dual_mov_b32 v5, 0 :: v_dual_lshrrev_b32 v6, 3, v0
	s_mov_b32 s3, s9
	s_mul_u64 s[12:13], s[12:13], 48
	s_delay_alu instid0(VALU_DEP_1)
	v_mov_b32_e32 v7, v5
	s_wait_kmcnt 0x0
	s_add_nc_u64 s[10:11], s[10:11], s[12:13]
	s_add_nc_u64 s[14:15], s[4:5], s[6:7]
	s_load_b128 s[4:7], s[14:15], 0x0
	s_wait_kmcnt 0x0
	s_sub_nc_u64 s[14:15], s[4:5], s[8:9]
	s_sub_nc_u64 s[6:7], s[6:7], s[8:9]
	v_add_nc_u64_e32 v[0:1], s[14:15], v[6:7]
	s_sub_nc_u64 s[16:17], s[6:7], s[14:15]
	s_mul_u64 s[14:15], s[14:15], 36
	s_mul_u64 s[16:17], s[16:17], 6
	s_delay_alu instid0(SALU_CYCLE_1) | instskip(SKIP_1) | instid1(VALU_DEP_2)
	v_mul_u64_e32 v[2:3], s[16:17], v[4:5]
	s_add_nc_u64 s[16:17], s[16:17], s[2:3]
	v_cmp_gt_i64_e32 vcc_lo, s[6:7], v[0:1]
	s_add_nc_u64 s[14:15], s[16:17], s[14:15]
	s_delay_alu instid0(VALU_DEP_2) | instid1(SALU_CYCLE_1)
	v_add_nc_u64_e32 v[8:9], s[14:15], v[2:3]
	global_store_b64 v4, v[8:9], s[10:11] offset:8 scale_offset
	s_wait_xcnt 0x0
	s_and_b32 exec_lo, exec_lo, vcc_lo
	s_cbranch_execz .LBB148_6
; %bb.4:
	v_mad_nc_u64_u32 v[8:9], s4, 36, v[2:3]
	v_mul_hi_u32_u24_e32 v3, 20, v4
	v_mul_u32_u24_e32 v2, 20, v4
	v_lshlrev_b32_e32 v4, 2, v4
	s_delay_alu instid0(VALU_DEP_1)
	v_mad_nc_u64_u32 v[4:5], 0x90, v0, v[4:5]
	v_mad_u32 v9, s5, 36, v9
	s_clause 0x4
	s_load_b64 s[4:5], s[0:1], 0x48
	s_load_b64 s[10:11], s[0:1], 0x58
	;; [unrolled: 1-line block ×4, first 2 shown]
	s_load_b32 s16, s[0:1], 0x0
	s_wait_xcnt 0x0
	s_mul_u64 s[0:1], s[8:9], 36
	s_delay_alu instid0(VALU_DEP_2) | instskip(NEXT) | instid1(VALU_DEP_2)
	v_mad_u32 v5, 0x90, v1, v5
	v_mad_nc_u64_u32 v[6:7], v6, 6, v[8:9]
	s_wait_kmcnt 0x0
	s_delay_alu instid0(VALU_DEP_2) | instskip(SKIP_1) | instid1(VALU_DEP_2)
	v_add_nc_u64_e32 v[4:5], s[12:13], v[4:5]
	s_cmp_eq_u32 s16, 0
	v_sub_nc_u64_e64 v[6:7], v[6:7], s[0:1]
	s_cselect_b32 vcc_lo, -1, 0
	s_mov_b32 s1, s9
	s_delay_alu instid0(VALU_DEP_1) | instskip(SKIP_1) | instid1(VALU_DEP_2)
	v_lshl_add_u64 v[8:9], v[6:7], 2, s[4:5]
	v_lshl_add_u64 v[10:11], v[6:7], 3, s[10:11]
	v_add_nc_u64_e32 v[6:7], 12, v[8:9]
	s_delay_alu instid0(VALU_DEP_2)
	v_add_nc_u64_e32 v[8:9], 24, v[10:11]
	v_lshl_add_u64 v[10:11], v[0:1], 3, s[14:15]
.LBB148_5:                              ; =>This Inner Loop Header: Depth=1
	global_load_b64 v[12:13], v[10:11], off
	v_add_nc_u64_e32 v[14:15], v[4:5], v[2:3]
	v_add_nc_u64_e32 v[16:17], 24, v[4:5]
	;; [unrolled: 1-line block ×11, first 2 shown]
	v_dual_cndmask_b32 v25, v5, v15 :: v_dual_cndmask_b32 v24, v4, v14
	v_add_nc_u64_e32 v[14:15], 20, v[14:15]
	v_dual_cndmask_b32 v17, v17, v29 :: v_dual_cndmask_b32 v16, v16, v28
	v_dual_cndmask_b32 v19, v19, v31 :: v_dual_cndmask_b32 v18, v18, v30
	;; [unrolled: 1-line block ×5, first 2 shown]
	global_load_b32 v24, v[24:25], off
	global_load_b32 v25, v[16:17], off
	;; [unrolled: 1-line block ×6, first 2 shown]
	v_cmp_le_i64_e64 s0, s[6:7], v[0:1]
	v_add_nc_u64_e32 v[10:11], 0x100, v[10:11]
	v_add_nc_u64_e32 v[4:5], 0x1200, v[4:5]
	s_wait_loadcnt 0x3
	global_store_b96 v[6:7], v[24:26], off offset:-12
	s_wait_loadcnt 0x0
	global_store_b96 v[6:7], v[28:30], off
	s_wait_xcnt 0x2
	v_sub_nc_u64_e64 v[14:15], v[12:13], s[8:9]
	s_wait_xcnt 0x0
	v_add_nc_u64_e32 v[6:7], 0x300, v[6:7]
	s_or_b32 s1, s0, s1
	s_delay_alu instid0(VALU_DEP_2) | instskip(NEXT) | instid1(VALU_DEP_1)
	v_mad_nc_u64_u32 v[12:13], v14, 6, s[2:3]
	v_mad_u32 v13, v15, 6, v13
	s_delay_alu instid0(VALU_DEP_1)
	v_add_nc_u64_e32 v[14:15], 1, v[12:13]
	v_add_nc_u64_e32 v[16:17], 2, v[12:13]
	;; [unrolled: 1-line block ×5, first 2 shown]
	s_clause 0x2
	global_store_b128 v[8:9], v[12:15], off offset:-24
	global_store_b128 v[8:9], v[16:19], off offset:-8
	global_store_b128 v[8:9], v[20:23], off offset:8
	s_wait_xcnt 0x0
	v_add_nc_u64_e32 v[8:9], 0x600, v[8:9]
	s_and_not1_b32 exec_lo, exec_lo, s1
	s_cbranch_execnz .LBB148_5
.LBB148_6:
	s_endpgm
	.section	.rodata,"a",@progbits
	.p2align	6, 0x0
	.amdhsa_kernel _ZN9rocsparseL32bsr2csr_block_per_row_2_7_kernelILj256ELj6EfllEEv20rocsparse_direction_T3_S2_21rocsparse_index_base_PKT1_PKT2_PKS2_S2_S3_PS4_PS7_PS2_
		.amdhsa_group_segment_fixed_size 0
		.amdhsa_private_segment_fixed_size 0
		.amdhsa_kernarg_size 96
		.amdhsa_user_sgpr_count 2
		.amdhsa_user_sgpr_dispatch_ptr 0
		.amdhsa_user_sgpr_queue_ptr 0
		.amdhsa_user_sgpr_kernarg_segment_ptr 1
		.amdhsa_user_sgpr_dispatch_id 0
		.amdhsa_user_sgpr_kernarg_preload_length 0
		.amdhsa_user_sgpr_kernarg_preload_offset 0
		.amdhsa_user_sgpr_private_segment_size 0
		.amdhsa_wavefront_size32 1
		.amdhsa_uses_dynamic_stack 0
		.amdhsa_enable_private_segment 0
		.amdhsa_system_sgpr_workgroup_id_x 1
		.amdhsa_system_sgpr_workgroup_id_y 0
		.amdhsa_system_sgpr_workgroup_id_z 0
		.amdhsa_system_sgpr_workgroup_info 0
		.amdhsa_system_vgpr_workitem_id 0
		.amdhsa_next_free_vgpr 36
		.amdhsa_next_free_sgpr 18
		.amdhsa_named_barrier_count 0
		.amdhsa_reserve_vcc 1
		.amdhsa_float_round_mode_32 0
		.amdhsa_float_round_mode_16_64 0
		.amdhsa_float_denorm_mode_32 3
		.amdhsa_float_denorm_mode_16_64 3
		.amdhsa_fp16_overflow 0
		.amdhsa_memory_ordered 1
		.amdhsa_forward_progress 1
		.amdhsa_inst_pref_size 7
		.amdhsa_round_robin_scheduling 0
		.amdhsa_exception_fp_ieee_invalid_op 0
		.amdhsa_exception_fp_denorm_src 0
		.amdhsa_exception_fp_ieee_div_zero 0
		.amdhsa_exception_fp_ieee_overflow 0
		.amdhsa_exception_fp_ieee_underflow 0
		.amdhsa_exception_fp_ieee_inexact 0
		.amdhsa_exception_int_div_zero 0
	.end_amdhsa_kernel
	.section	.text._ZN9rocsparseL32bsr2csr_block_per_row_2_7_kernelILj256ELj6EfllEEv20rocsparse_direction_T3_S2_21rocsparse_index_base_PKT1_PKT2_PKS2_S2_S3_PS4_PS7_PS2_,"axG",@progbits,_ZN9rocsparseL32bsr2csr_block_per_row_2_7_kernelILj256ELj6EfllEEv20rocsparse_direction_T3_S2_21rocsparse_index_base_PKT1_PKT2_PKS2_S2_S3_PS4_PS7_PS2_,comdat
.Lfunc_end148:
	.size	_ZN9rocsparseL32bsr2csr_block_per_row_2_7_kernelILj256ELj6EfllEEv20rocsparse_direction_T3_S2_21rocsparse_index_base_PKT1_PKT2_PKS2_S2_S3_PS4_PS7_PS2_, .Lfunc_end148-_ZN9rocsparseL32bsr2csr_block_per_row_2_7_kernelILj256ELj6EfllEEv20rocsparse_direction_T3_S2_21rocsparse_index_base_PKT1_PKT2_PKS2_S2_S3_PS4_PS7_PS2_
                                        ; -- End function
	.set _ZN9rocsparseL32bsr2csr_block_per_row_2_7_kernelILj256ELj6EfllEEv20rocsparse_direction_T3_S2_21rocsparse_index_base_PKT1_PKT2_PKS2_S2_S3_PS4_PS7_PS2_.num_vgpr, 36
	.set _ZN9rocsparseL32bsr2csr_block_per_row_2_7_kernelILj256ELj6EfllEEv20rocsparse_direction_T3_S2_21rocsparse_index_base_PKT1_PKT2_PKS2_S2_S3_PS4_PS7_PS2_.num_agpr, 0
	.set _ZN9rocsparseL32bsr2csr_block_per_row_2_7_kernelILj256ELj6EfllEEv20rocsparse_direction_T3_S2_21rocsparse_index_base_PKT1_PKT2_PKS2_S2_S3_PS4_PS7_PS2_.numbered_sgpr, 18
	.set _ZN9rocsparseL32bsr2csr_block_per_row_2_7_kernelILj256ELj6EfllEEv20rocsparse_direction_T3_S2_21rocsparse_index_base_PKT1_PKT2_PKS2_S2_S3_PS4_PS7_PS2_.num_named_barrier, 0
	.set _ZN9rocsparseL32bsr2csr_block_per_row_2_7_kernelILj256ELj6EfllEEv20rocsparse_direction_T3_S2_21rocsparse_index_base_PKT1_PKT2_PKS2_S2_S3_PS4_PS7_PS2_.private_seg_size, 0
	.set _ZN9rocsparseL32bsr2csr_block_per_row_2_7_kernelILj256ELj6EfllEEv20rocsparse_direction_T3_S2_21rocsparse_index_base_PKT1_PKT2_PKS2_S2_S3_PS4_PS7_PS2_.uses_vcc, 1
	.set _ZN9rocsparseL32bsr2csr_block_per_row_2_7_kernelILj256ELj6EfllEEv20rocsparse_direction_T3_S2_21rocsparse_index_base_PKT1_PKT2_PKS2_S2_S3_PS4_PS7_PS2_.uses_flat_scratch, 0
	.set _ZN9rocsparseL32bsr2csr_block_per_row_2_7_kernelILj256ELj6EfllEEv20rocsparse_direction_T3_S2_21rocsparse_index_base_PKT1_PKT2_PKS2_S2_S3_PS4_PS7_PS2_.has_dyn_sized_stack, 0
	.set _ZN9rocsparseL32bsr2csr_block_per_row_2_7_kernelILj256ELj6EfllEEv20rocsparse_direction_T3_S2_21rocsparse_index_base_PKT1_PKT2_PKS2_S2_S3_PS4_PS7_PS2_.has_recursion, 0
	.set _ZN9rocsparseL32bsr2csr_block_per_row_2_7_kernelILj256ELj6EfllEEv20rocsparse_direction_T3_S2_21rocsparse_index_base_PKT1_PKT2_PKS2_S2_S3_PS4_PS7_PS2_.has_indirect_call, 0
	.section	.AMDGPU.csdata,"",@progbits
; Kernel info:
; codeLenInByte = 860
; TotalNumSgprs: 20
; NumVgprs: 36
; ScratchSize: 0
; MemoryBound: 0
; FloatMode: 240
; IeeeMode: 1
; LDSByteSize: 0 bytes/workgroup (compile time only)
; SGPRBlocks: 0
; VGPRBlocks: 2
; NumSGPRsForWavesPerEU: 20
; NumVGPRsForWavesPerEU: 36
; NamedBarCnt: 0
; Occupancy: 16
; WaveLimiterHint : 0
; COMPUTE_PGM_RSRC2:SCRATCH_EN: 0
; COMPUTE_PGM_RSRC2:USER_SGPR: 2
; COMPUTE_PGM_RSRC2:TRAP_HANDLER: 0
; COMPUTE_PGM_RSRC2:TGID_X_EN: 1
; COMPUTE_PGM_RSRC2:TGID_Y_EN: 0
; COMPUTE_PGM_RSRC2:TGID_Z_EN: 0
; COMPUTE_PGM_RSRC2:TIDIG_COMP_CNT: 0
	.section	.text._ZN9rocsparseL32bsr2csr_block_per_row_2_7_kernelILj256ELj7EfllEEv20rocsparse_direction_T3_S2_21rocsparse_index_base_PKT1_PKT2_PKS2_S2_S3_PS4_PS7_PS2_,"axG",@progbits,_ZN9rocsparseL32bsr2csr_block_per_row_2_7_kernelILj256ELj7EfllEEv20rocsparse_direction_T3_S2_21rocsparse_index_base_PKT1_PKT2_PKS2_S2_S3_PS4_PS7_PS2_,comdat
	.globl	_ZN9rocsparseL32bsr2csr_block_per_row_2_7_kernelILj256ELj7EfllEEv20rocsparse_direction_T3_S2_21rocsparse_index_base_PKT1_PKT2_PKS2_S2_S3_PS4_PS7_PS2_ ; -- Begin function _ZN9rocsparseL32bsr2csr_block_per_row_2_7_kernelILj256ELj7EfllEEv20rocsparse_direction_T3_S2_21rocsparse_index_base_PKT1_PKT2_PKS2_S2_S3_PS4_PS7_PS2_
	.p2align	8
	.type	_ZN9rocsparseL32bsr2csr_block_per_row_2_7_kernelILj256ELj7EfllEEv20rocsparse_direction_T3_S2_21rocsparse_index_base_PKT1_PKT2_PKS2_S2_S3_PS4_PS7_PS2_,@function
_ZN9rocsparseL32bsr2csr_block_per_row_2_7_kernelILj256ELj7EfllEEv20rocsparse_direction_T3_S2_21rocsparse_index_base_PKT1_PKT2_PKS2_S2_S3_PS4_PS7_PS2_: ; @_ZN9rocsparseL32bsr2csr_block_per_row_2_7_kernelILj256ELj7EfllEEv20rocsparse_direction_T3_S2_21rocsparse_index_base_PKT1_PKT2_PKS2_S2_S3_PS4_PS7_PS2_
; %bb.0:
	s_clause 0x1
	s_load_b32 s2, s[0:1], 0x40
	s_load_b64 s[10:11], s[0:1], 0x50
	s_bfe_u32 s3, ttmp6, 0x4000c
	s_and_b32 s4, ttmp6, 15
	s_add_co_i32 s3, s3, 1
	s_getreg_b32 s5, hwreg(HW_REG_IB_STS2, 6, 4)
	s_mul_i32 s3, ttmp9, s3
	s_mov_b32 s13, 0
	s_add_co_i32 s4, s4, s3
	s_cmp_eq_u32 s5, 0
	s_mov_b32 s3, exec_lo
	s_cselect_b32 s12, ttmp9, s4
	s_delay_alu instid0(SALU_CYCLE_1) | instskip(NEXT) | instid1(VALU_DEP_1)
	v_or_b32_e32 v1, s12, v0
	v_cmpx_eq_u32_e32 0, v1
	s_cbranch_execz .LBB149_2
; %bb.1:
	s_wait_kmcnt 0x0
	v_dual_mov_b32 v2, s2 :: v_dual_mov_b32 v3, 0
	global_store_b64 v3, v[2:3], s[10:11]
.LBB149_2:
	s_wait_xcnt 0x0
	s_or_b32 exec_lo, exec_lo, s3
	v_and_b32_e32 v4, 7, v0
	s_mov_b32 s3, exec_lo
	s_delay_alu instid0(VALU_DEP_1)
	v_cmpx_ne_u32_e32 7, v4
	s_cbranch_execz .LBB149_6
; %bb.3:
	s_clause 0x1
	s_load_b64 s[4:5], s[0:1], 0x28
	s_load_b32 s8, s[0:1], 0x18
	s_lshl_b64 s[6:7], s[12:13], 3
	s_mov_b32 s9, 0
	v_dual_mov_b32 v5, 0 :: v_dual_lshrrev_b32 v6, 3, v0
	s_mov_b32 s3, s9
	s_mul_u64 s[12:13], s[12:13], 56
	s_delay_alu instid0(VALU_DEP_1)
	v_mov_b32_e32 v7, v5
	s_wait_kmcnt 0x0
	s_add_nc_u64 s[10:11], s[10:11], s[12:13]
	s_add_nc_u64 s[14:15], s[4:5], s[6:7]
	s_load_b128 s[4:7], s[14:15], 0x0
	s_wait_kmcnt 0x0
	s_sub_nc_u64 s[14:15], s[4:5], s[8:9]
	s_sub_nc_u64 s[6:7], s[6:7], s[8:9]
	v_add_nc_u64_e32 v[0:1], s[14:15], v[6:7]
	s_sub_nc_u64 s[16:17], s[6:7], s[14:15]
	s_mul_u64 s[14:15], s[14:15], 49
	s_mul_u64 s[16:17], s[16:17], 7
	s_delay_alu instid0(SALU_CYCLE_1) | instskip(SKIP_1) | instid1(VALU_DEP_2)
	v_mul_u64_e32 v[2:3], s[16:17], v[4:5]
	s_add_nc_u64 s[16:17], s[16:17], s[2:3]
	v_cmp_gt_i64_e32 vcc_lo, s[6:7], v[0:1]
	s_add_nc_u64 s[14:15], s[16:17], s[14:15]
	s_delay_alu instid0(VALU_DEP_2) | instid1(SALU_CYCLE_1)
	v_add_nc_u64_e32 v[8:9], s[14:15], v[2:3]
	global_store_b64 v4, v[8:9], s[10:11] offset:8 scale_offset
	s_wait_xcnt 0x0
	s_and_b32 exec_lo, exec_lo, vcc_lo
	s_cbranch_execz .LBB149_6
; %bb.4:
	v_mad_nc_u64_u32 v[8:9], s4, 49, v[2:3]
	v_mul_hi_u32_u24_e32 v3, 24, v4
	v_mul_u32_u24_e32 v2, 24, v4
	v_lshlrev_b32_e32 v4, 2, v4
	s_delay_alu instid0(VALU_DEP_1)
	v_mad_nc_u64_u32 v[4:5], 0xc4, v0, v[4:5]
	v_mad_u32 v9, s5, 49, v9
	s_clause 0x4
	s_load_b64 s[4:5], s[0:1], 0x48
	s_load_b64 s[10:11], s[0:1], 0x58
	;; [unrolled: 1-line block ×4, first 2 shown]
	s_load_b32 s16, s[0:1], 0x0
	s_wait_xcnt 0x0
	s_mul_u64 s[0:1], s[8:9], 49
	s_delay_alu instid0(VALU_DEP_2) | instskip(NEXT) | instid1(VALU_DEP_2)
	v_mad_u32 v5, 0xc4, v1, v5
	v_mad_nc_u64_u32 v[6:7], v6, 7, v[8:9]
	s_wait_kmcnt 0x0
	s_delay_alu instid0(VALU_DEP_2) | instskip(SKIP_1) | instid1(VALU_DEP_2)
	v_add_nc_u64_e32 v[4:5], s[12:13], v[4:5]
	s_cmp_eq_u32 s16, 0
	v_sub_nc_u64_e64 v[6:7], v[6:7], s[0:1]
	s_cselect_b32 vcc_lo, -1, 0
	s_mov_b32 s1, s9
	s_delay_alu instid0(VALU_DEP_1) | instskip(SKIP_1) | instid1(VALU_DEP_2)
	v_lshl_add_u64 v[8:9], v[6:7], 2, s[4:5]
	v_lshl_add_u64 v[10:11], v[6:7], 3, s[10:11]
	v_add_nc_u64_e32 v[6:7], 12, v[8:9]
	s_delay_alu instid0(VALU_DEP_2)
	v_add_nc_u64_e32 v[8:9], 24, v[10:11]
	v_lshl_add_u64 v[10:11], v[0:1], 3, s[14:15]
.LBB149_5:                              ; =>This Inner Loop Header: Depth=1
	global_load_b64 v[16:17], v[10:11], off
	v_add_nc_u64_e32 v[12:13], v[4:5], v[2:3]
	v_add_nc_u64_e32 v[14:15], 28, v[4:5]
	;; [unrolled: 1-line block ×10, first 2 shown]
	v_dual_cndmask_b32 v19, v5, v13 :: v_dual_cndmask_b32 v18, v4, v12
	v_add_nc_u64_e32 v[36:37], 16, v[12:13]
	v_add_nc_u64_e32 v[38:39], 20, v[12:13]
	;; [unrolled: 1-line block ×3, first 2 shown]
	v_dual_cndmask_b32 v31, v15, v31 :: v_dual_cndmask_b32 v30, v14, v30
	global_load_b32 v18, v[18:19], off
	v_dual_cndmask_b32 v33, v21, v33 :: v_dual_cndmask_b32 v32, v20, v32
	v_dual_cndmask_b32 v23, v23, v35 :: v_dual_cndmask_b32 v22, v22, v34
	;; [unrolled: 1-line block ×5, first 2 shown]
	global_load_b32 v19, v[30:31], off
	global_load_b32 v20, v[32:33], off
	global_load_b32 v12, v[22:23], off
	global_load_b32 v13, v[24:25], off
	global_load_b32 v14, v[26:27], off
	global_load_b32 v15, v[28:29], off
	v_add_nc_u64_e32 v[0:1], 32, v[0:1]
	v_add_nc_u64_e32 v[10:11], 0x100, v[10:11]
	;; [unrolled: 1-line block ×3, first 2 shown]
	s_delay_alu instid0(VALU_DEP_3) | instskip(SKIP_4) | instid1(VALU_DEP_1)
	v_cmp_le_i64_e64 s0, s[6:7], v[0:1]
	s_or_b32 s1, s0, s1
	s_wait_loadcnt 0x7
	s_wait_xcnt 0x3
	v_sub_nc_u64_e64 v[22:23], v[16:17], s[8:9]
	v_mad_nc_u64_u32 v[16:17], v22, 7, s[2:3]
	s_delay_alu instid0(VALU_DEP_1)
	v_mad_u32 v17, v23, 7, v17
	s_wait_loadcnt 0x4
	global_store_b96 v[6:7], v[18:20], off offset:-12
	s_wait_loadcnt 0x0
	global_store_b128 v[6:7], v[12:15], off
	s_wait_xcnt 0x1
	v_add_nc_u64_e32 v[18:19], 1, v[16:17]
	v_add_nc_u64_e32 v[20:21], 2, v[16:17]
	;; [unrolled: 1-line block ×6, first 2 shown]
	s_wait_xcnt 0x0
	v_add_nc_u64_e32 v[6:7], 0x380, v[6:7]
	s_clause 0x3
	global_store_b128 v[8:9], v[16:19], off offset:-24
	global_store_b128 v[8:9], v[20:23], off offset:-8
	global_store_b128 v[8:9], v[24:27], off offset:8
	global_store_b64 v[8:9], v[28:29], off offset:24
	s_wait_xcnt 0x0
	v_add_nc_u64_e32 v[8:9], 0x700, v[8:9]
	s_and_not1_b32 exec_lo, exec_lo, s1
	s_cbranch_execnz .LBB149_5
.LBB149_6:
	s_endpgm
	.section	.rodata,"a",@progbits
	.p2align	6, 0x0
	.amdhsa_kernel _ZN9rocsparseL32bsr2csr_block_per_row_2_7_kernelILj256ELj7EfllEEv20rocsparse_direction_T3_S2_21rocsparse_index_base_PKT1_PKT2_PKS2_S2_S3_PS4_PS7_PS2_
		.amdhsa_group_segment_fixed_size 0
		.amdhsa_private_segment_fixed_size 0
		.amdhsa_kernarg_size 96
		.amdhsa_user_sgpr_count 2
		.amdhsa_user_sgpr_dispatch_ptr 0
		.amdhsa_user_sgpr_queue_ptr 0
		.amdhsa_user_sgpr_kernarg_segment_ptr 1
		.amdhsa_user_sgpr_dispatch_id 0
		.amdhsa_user_sgpr_kernarg_preload_length 0
		.amdhsa_user_sgpr_kernarg_preload_offset 0
		.amdhsa_user_sgpr_private_segment_size 0
		.amdhsa_wavefront_size32 1
		.amdhsa_uses_dynamic_stack 0
		.amdhsa_enable_private_segment 0
		.amdhsa_system_sgpr_workgroup_id_x 1
		.amdhsa_system_sgpr_workgroup_id_y 0
		.amdhsa_system_sgpr_workgroup_id_z 0
		.amdhsa_system_sgpr_workgroup_info 0
		.amdhsa_system_vgpr_workitem_id 0
		.amdhsa_next_free_vgpr 40
		.amdhsa_next_free_sgpr 18
		.amdhsa_named_barrier_count 0
		.amdhsa_reserve_vcc 1
		.amdhsa_float_round_mode_32 0
		.amdhsa_float_round_mode_16_64 0
		.amdhsa_float_denorm_mode_32 3
		.amdhsa_float_denorm_mode_16_64 3
		.amdhsa_fp16_overflow 0
		.amdhsa_memory_ordered 1
		.amdhsa_forward_progress 1
		.amdhsa_inst_pref_size 8
		.amdhsa_round_robin_scheduling 0
		.amdhsa_exception_fp_ieee_invalid_op 0
		.amdhsa_exception_fp_denorm_src 0
		.amdhsa_exception_fp_ieee_div_zero 0
		.amdhsa_exception_fp_ieee_overflow 0
		.amdhsa_exception_fp_ieee_underflow 0
		.amdhsa_exception_fp_ieee_inexact 0
		.amdhsa_exception_int_div_zero 0
	.end_amdhsa_kernel
	.section	.text._ZN9rocsparseL32bsr2csr_block_per_row_2_7_kernelILj256ELj7EfllEEv20rocsparse_direction_T3_S2_21rocsparse_index_base_PKT1_PKT2_PKS2_S2_S3_PS4_PS7_PS2_,"axG",@progbits,_ZN9rocsparseL32bsr2csr_block_per_row_2_7_kernelILj256ELj7EfllEEv20rocsparse_direction_T3_S2_21rocsparse_index_base_PKT1_PKT2_PKS2_S2_S3_PS4_PS7_PS2_,comdat
.Lfunc_end149:
	.size	_ZN9rocsparseL32bsr2csr_block_per_row_2_7_kernelILj256ELj7EfllEEv20rocsparse_direction_T3_S2_21rocsparse_index_base_PKT1_PKT2_PKS2_S2_S3_PS4_PS7_PS2_, .Lfunc_end149-_ZN9rocsparseL32bsr2csr_block_per_row_2_7_kernelILj256ELj7EfllEEv20rocsparse_direction_T3_S2_21rocsparse_index_base_PKT1_PKT2_PKS2_S2_S3_PS4_PS7_PS2_
                                        ; -- End function
	.set _ZN9rocsparseL32bsr2csr_block_per_row_2_7_kernelILj256ELj7EfllEEv20rocsparse_direction_T3_S2_21rocsparse_index_base_PKT1_PKT2_PKS2_S2_S3_PS4_PS7_PS2_.num_vgpr, 40
	.set _ZN9rocsparseL32bsr2csr_block_per_row_2_7_kernelILj256ELj7EfllEEv20rocsparse_direction_T3_S2_21rocsparse_index_base_PKT1_PKT2_PKS2_S2_S3_PS4_PS7_PS2_.num_agpr, 0
	.set _ZN9rocsparseL32bsr2csr_block_per_row_2_7_kernelILj256ELj7EfllEEv20rocsparse_direction_T3_S2_21rocsparse_index_base_PKT1_PKT2_PKS2_S2_S3_PS4_PS7_PS2_.numbered_sgpr, 18
	.set _ZN9rocsparseL32bsr2csr_block_per_row_2_7_kernelILj256ELj7EfllEEv20rocsparse_direction_T3_S2_21rocsparse_index_base_PKT1_PKT2_PKS2_S2_S3_PS4_PS7_PS2_.num_named_barrier, 0
	.set _ZN9rocsparseL32bsr2csr_block_per_row_2_7_kernelILj256ELj7EfllEEv20rocsparse_direction_T3_S2_21rocsparse_index_base_PKT1_PKT2_PKS2_S2_S3_PS4_PS7_PS2_.private_seg_size, 0
	.set _ZN9rocsparseL32bsr2csr_block_per_row_2_7_kernelILj256ELj7EfllEEv20rocsparse_direction_T3_S2_21rocsparse_index_base_PKT1_PKT2_PKS2_S2_S3_PS4_PS7_PS2_.uses_vcc, 1
	.set _ZN9rocsparseL32bsr2csr_block_per_row_2_7_kernelILj256ELj7EfllEEv20rocsparse_direction_T3_S2_21rocsparse_index_base_PKT1_PKT2_PKS2_S2_S3_PS4_PS7_PS2_.uses_flat_scratch, 0
	.set _ZN9rocsparseL32bsr2csr_block_per_row_2_7_kernelILj256ELj7EfllEEv20rocsparse_direction_T3_S2_21rocsparse_index_base_PKT1_PKT2_PKS2_S2_S3_PS4_PS7_PS2_.has_dyn_sized_stack, 0
	.set _ZN9rocsparseL32bsr2csr_block_per_row_2_7_kernelILj256ELj7EfllEEv20rocsparse_direction_T3_S2_21rocsparse_index_base_PKT1_PKT2_PKS2_S2_S3_PS4_PS7_PS2_.has_recursion, 0
	.set _ZN9rocsparseL32bsr2csr_block_per_row_2_7_kernelILj256ELj7EfllEEv20rocsparse_direction_T3_S2_21rocsparse_index_base_PKT1_PKT2_PKS2_S2_S3_PS4_PS7_PS2_.has_indirect_call, 0
	.section	.AMDGPU.csdata,"",@progbits
; Kernel info:
; codeLenInByte = 916
; TotalNumSgprs: 20
; NumVgprs: 40
; ScratchSize: 0
; MemoryBound: 0
; FloatMode: 240
; IeeeMode: 1
; LDSByteSize: 0 bytes/workgroup (compile time only)
; SGPRBlocks: 0
; VGPRBlocks: 2
; NumSGPRsForWavesPerEU: 20
; NumVGPRsForWavesPerEU: 40
; NamedBarCnt: 0
; Occupancy: 16
; WaveLimiterHint : 0
; COMPUTE_PGM_RSRC2:SCRATCH_EN: 0
; COMPUTE_PGM_RSRC2:USER_SGPR: 2
; COMPUTE_PGM_RSRC2:TRAP_HANDLER: 0
; COMPUTE_PGM_RSRC2:TGID_X_EN: 1
; COMPUTE_PGM_RSRC2:TGID_Y_EN: 0
; COMPUTE_PGM_RSRC2:TGID_Z_EN: 0
; COMPUTE_PGM_RSRC2:TIDIG_COMP_CNT: 0
	.section	.text._ZN9rocsparseL33bsr2csr_block_per_row_8_32_kernelILj1024ELj8EfllEEv20rocsparse_direction_T3_S2_21rocsparse_index_base_PKT1_PKT2_PKS2_S2_S3_PS4_PS7_PS2_,"axG",@progbits,_ZN9rocsparseL33bsr2csr_block_per_row_8_32_kernelILj1024ELj8EfllEEv20rocsparse_direction_T3_S2_21rocsparse_index_base_PKT1_PKT2_PKS2_S2_S3_PS4_PS7_PS2_,comdat
	.globl	_ZN9rocsparseL33bsr2csr_block_per_row_8_32_kernelILj1024ELj8EfllEEv20rocsparse_direction_T3_S2_21rocsparse_index_base_PKT1_PKT2_PKS2_S2_S3_PS4_PS7_PS2_ ; -- Begin function _ZN9rocsparseL33bsr2csr_block_per_row_8_32_kernelILj1024ELj8EfllEEv20rocsparse_direction_T3_S2_21rocsparse_index_base_PKT1_PKT2_PKS2_S2_S3_PS4_PS7_PS2_
	.p2align	8
	.type	_ZN9rocsparseL33bsr2csr_block_per_row_8_32_kernelILj1024ELj8EfllEEv20rocsparse_direction_T3_S2_21rocsparse_index_base_PKT1_PKT2_PKS2_S2_S3_PS4_PS7_PS2_,@function
_ZN9rocsparseL33bsr2csr_block_per_row_8_32_kernelILj1024ELj8EfllEEv20rocsparse_direction_T3_S2_21rocsparse_index_base_PKT1_PKT2_PKS2_S2_S3_PS4_PS7_PS2_: ; @_ZN9rocsparseL33bsr2csr_block_per_row_8_32_kernelILj1024ELj8EfllEEv20rocsparse_direction_T3_S2_21rocsparse_index_base_PKT1_PKT2_PKS2_S2_S3_PS4_PS7_PS2_
; %bb.0:
	s_clause 0x1
	s_load_b32 s6, s[0:1], 0x40
	s_load_b64 s[12:13], s[0:1], 0x50
	s_bfe_u32 s2, ttmp6, 0x4000c
	s_and_b32 s3, ttmp6, 15
	s_add_co_i32 s2, s2, 1
	s_getreg_b32 s4, hwreg(HW_REG_IB_STS2, 6, 4)
	s_mul_i32 s2, ttmp9, s2
	s_mov_b32 s15, 0
	s_add_co_i32 s3, s3, s2
	s_cmp_eq_u32 s4, 0
	s_mov_b32 s2, exec_lo
	s_cselect_b32 s14, ttmp9, s3
	s_delay_alu instid0(SALU_CYCLE_1) | instskip(NEXT) | instid1(VALU_DEP_1)
	v_or_b32_e32 v1, s14, v0
	v_cmpx_eq_u32_e32 0, v1
	s_cbranch_execz .LBB150_2
; %bb.1:
	s_wait_kmcnt 0x0
	v_dual_mov_b32 v2, s6 :: v_dual_mov_b32 v3, 0
	global_store_b64 v3, v[2:3], s[12:13]
.LBB150_2:
	s_wait_xcnt 0x0
	s_or_b32 exec_lo, exec_lo, s2
	v_dual_mov_b32 v3, 0 :: v_dual_bitop2_b32 v2, 7, v0 bitop3:0x40
	v_bfe_u32 v4, v0, 3, 3
	s_load_b64 s[2:3], s[0:1], 0x38
	s_mov_b32 s4, exec_lo
	s_delay_alu instid0(VALU_DEP_2) | instskip(NEXT) | instid1(VALU_DEP_1)
	v_mov_b32_e32 v5, v3
	v_max_i64 v[6:7], v[4:5], v[2:3]
	s_wait_kmcnt 0x0
	s_delay_alu instid0(VALU_DEP_1)
	v_cmpx_gt_i64_e64 s[2:3], v[6:7]
	s_cbranch_execz .LBB150_6
; %bb.3:
	s_clause 0x1
	s_load_b64 s[8:9], s[0:1], 0x28
	s_load_b32 s4, s[0:1], 0x18
	s_lshl_b64 s[10:11], s[14:15], 3
	s_mov_b32 s5, 0
	v_dual_mov_b32 v7, v3 :: v_dual_lshrrev_b32 v6, 6, v0
	s_mov_b32 s7, s5
	s_mul_u64 s[14:15], s[2:3], s[14:15]
	s_delay_alu instid0(SALU_CYCLE_1) | instskip(NEXT) | instid1(SALU_CYCLE_1)
	s_lshl_b64 s[14:15], s[14:15], 3
	s_add_nc_u64 s[12:13], s[12:13], s[14:15]
	s_wait_kmcnt 0x0
	s_add_nc_u64 s[16:17], s[8:9], s[10:11]
	s_load_b128 s[8:11], s[16:17], 0x0
	s_wait_kmcnt 0x0
	s_sub_nc_u64 s[16:17], s[8:9], s[4:5]
	s_sub_nc_u64 s[8:9], s[10:11], s[4:5]
	s_mul_u64 s[10:11], s[2:3], s[2:3]
	s_sub_nc_u64 s[18:19], s[8:9], s[16:17]
	s_mul_u64 s[22:23], s[16:17], s[10:11]
	s_mul_u64 s[20:21], s[18:19], s[2:3]
	v_add_nc_u64_e32 v[0:1], s[16:17], v[6:7]
	s_add_nc_u64 s[24:25], s[20:21], s[6:7]
	s_delay_alu instid0(SALU_CYCLE_1) | instskip(NEXT) | instid1(SALU_CYCLE_1)
	s_add_nc_u64 s[22:23], s[24:25], s[22:23]
	v_mad_nc_u64_u32 v[8:9], s20, v4, s[22:23]
	s_delay_alu instid0(VALU_DEP_2) | instskip(NEXT) | instid1(VALU_DEP_2)
	v_cmp_gt_i64_e32 vcc_lo, s[8:9], v[0:1]
	v_mad_u32 v9, s21, v4, v9
	global_store_b64 v4, v[8:9], s[12:13] offset:8 scale_offset
	s_wait_xcnt 0x0
	s_and_b32 exec_lo, exec_lo, vcc_lo
	s_cbranch_execz .LBB150_6
; %bb.4:
	v_mad_nc_u64_u32 v[6:7], s2, s16, v[6:7]
	s_mul_i32 s12, s3, s16
	s_mul_i32 s13, s2, s17
	v_mul_u64_e32 v[8:9], s[2:3], v[2:3]
	v_mul_u64_e32 v[10:11], s[2:3], v[4:5]
	;; [unrolled: 1-line block ×3, first 2 shown]
	v_mov_b32_e32 v5, 0
	v_add3_u32 v7, s13, s12, v7
	s_load_b64 s[12:13], s[0:1], 0x20
	s_delay_alu instid0(VALU_DEP_1) | instskip(SKIP_4) | instid1(VALU_DEP_1)
	v_mad_nc_u64_u32 v[6:7], s18, v4, v[6:7]
	s_clause 0x2
	s_load_b64 s[14:15], s[0:1], 0x30
	s_load_b64 s[16:17], s[0:1], 0x48
	s_load_b32 s18, s[0:1], 0x0
	v_mad_u32 v7, s19, v4, v7
	v_lshlrev_b32_e32 v4, 2, v4
	s_wait_xcnt 0x0
	s_load_b64 s[0:1], s[0:1], 0x58
	s_wait_kmcnt 0x0
	v_lshl_add_u64 v[8:9], v[8:9], 2, s[12:13]
	v_lshl_add_u64 v[10:11], v[10:11], 2, s[12:13]
	s_cmp_eq_u32 s18, 0
	s_delay_alu instid0(VALU_DEP_4) | instskip(SKIP_4) | instid1(VALU_DEP_1)
	v_mul_u64_e32 v[6:7], s[2:3], v[6:7]
	s_cselect_b32 vcc_lo, -1, 0
	v_add_nc_u64_e32 v[8:9], v[8:9], v[4:5]
	v_lshlrev_b32_e32 v4, 2, v2
	s_mov_b32 s12, s5
	v_add_nc_u64_e32 v[10:11], v[10:11], v[4:5]
	s_delay_alu instid0(VALU_DEP_1) | instskip(SKIP_4) | instid1(VALU_DEP_2)
	v_dual_cndmask_b32 v9, v9, v11 :: v_dual_cndmask_b32 v8, v8, v10
	v_lshl_add_u64 v[14:15], v[6:7], 2, v[4:5]
	v_lshlrev_b32_e32 v4, 3, v2
	v_add_nc_u64_e32 v[2:3], s[6:7], v[2:3]
	s_lshl_b64 s[6:7], s[2:3], 6
	v_lshl_add_u64 v[10:11], v[6:7], 3, v[4:5]
	v_lshl_add_u64 v[4:5], v[12:13], 2, v[8:9]
	v_add_nc_u64_e32 v[6:7], s[16:17], v[14:15]
	s_delay_alu instid0(VALU_DEP_3)
	v_add_nc_u64_e32 v[8:9], s[0:1], v[10:11]
	v_lshl_add_u64 v[10:11], v[0:1], 3, s[14:15]
	s_lshl_b64 s[0:1], s[10:11], 6
	s_lshl_b64 s[10:11], s[2:3], 7
.LBB150_5:                              ; =>This Inner Loop Header: Depth=1
	global_load_b64 v[12:13], v[10:11], off
	global_load_b32 v16, v[4:5], off
	v_add_nc_u64_e32 v[0:1], 16, v[0:1]
	s_wait_xcnt 0x0
	v_add_nc_u64_e32 v[4:5], s[0:1], v[4:5]
	v_add_nc_u64_e32 v[10:11], 0x80, v[10:11]
	s_delay_alu instid0(VALU_DEP_3)
	v_cmp_le_i64_e32 vcc_lo, s[8:9], v[0:1]
	s_or_b32 s12, vcc_lo, s12
	s_wait_loadcnt 0x1
	v_sub_nc_u64_e64 v[12:13], v[12:13], s[4:5]
	s_wait_loadcnt 0x0
	global_store_b32 v[6:7], v16, off
	s_wait_xcnt 0x0
	v_add_nc_u64_e32 v[6:7], s[6:7], v[6:7]
	v_mad_nc_u64_u32 v[14:15], v12, s2, v[2:3]
	s_delay_alu instid0(VALU_DEP_1) | instskip(NEXT) | instid1(VALU_DEP_1)
	v_mad_u32 v13, v13, s2, v15
	v_mad_u32 v15, v12, s3, v13
	global_store_b64 v[8:9], v[14:15], off
	s_wait_xcnt 0x0
	v_add_nc_u64_e32 v[8:9], s[10:11], v[8:9]
	s_and_not1_b32 exec_lo, exec_lo, s12
	s_cbranch_execnz .LBB150_5
.LBB150_6:
	s_endpgm
	.section	.rodata,"a",@progbits
	.p2align	6, 0x0
	.amdhsa_kernel _ZN9rocsparseL33bsr2csr_block_per_row_8_32_kernelILj1024ELj8EfllEEv20rocsparse_direction_T3_S2_21rocsparse_index_base_PKT1_PKT2_PKS2_S2_S3_PS4_PS7_PS2_
		.amdhsa_group_segment_fixed_size 0
		.amdhsa_private_segment_fixed_size 0
		.amdhsa_kernarg_size 96
		.amdhsa_user_sgpr_count 2
		.amdhsa_user_sgpr_dispatch_ptr 0
		.amdhsa_user_sgpr_queue_ptr 0
		.amdhsa_user_sgpr_kernarg_segment_ptr 1
		.amdhsa_user_sgpr_dispatch_id 0
		.amdhsa_user_sgpr_kernarg_preload_length 0
		.amdhsa_user_sgpr_kernarg_preload_offset 0
		.amdhsa_user_sgpr_private_segment_size 0
		.amdhsa_wavefront_size32 1
		.amdhsa_uses_dynamic_stack 0
		.amdhsa_enable_private_segment 0
		.amdhsa_system_sgpr_workgroup_id_x 1
		.amdhsa_system_sgpr_workgroup_id_y 0
		.amdhsa_system_sgpr_workgroup_id_z 0
		.amdhsa_system_sgpr_workgroup_info 0
		.amdhsa_system_vgpr_workitem_id 0
		.amdhsa_next_free_vgpr 17
		.amdhsa_next_free_sgpr 26
		.amdhsa_named_barrier_count 0
		.amdhsa_reserve_vcc 1
		.amdhsa_float_round_mode_32 0
		.amdhsa_float_round_mode_16_64 0
		.amdhsa_float_denorm_mode_32 3
		.amdhsa_float_denorm_mode_16_64 3
		.amdhsa_fp16_overflow 0
		.amdhsa_memory_ordered 1
		.amdhsa_forward_progress 1
		.amdhsa_inst_pref_size 6
		.amdhsa_round_robin_scheduling 0
		.amdhsa_exception_fp_ieee_invalid_op 0
		.amdhsa_exception_fp_denorm_src 0
		.amdhsa_exception_fp_ieee_div_zero 0
		.amdhsa_exception_fp_ieee_overflow 0
		.amdhsa_exception_fp_ieee_underflow 0
		.amdhsa_exception_fp_ieee_inexact 0
		.amdhsa_exception_int_div_zero 0
	.end_amdhsa_kernel
	.section	.text._ZN9rocsparseL33bsr2csr_block_per_row_8_32_kernelILj1024ELj8EfllEEv20rocsparse_direction_T3_S2_21rocsparse_index_base_PKT1_PKT2_PKS2_S2_S3_PS4_PS7_PS2_,"axG",@progbits,_ZN9rocsparseL33bsr2csr_block_per_row_8_32_kernelILj1024ELj8EfllEEv20rocsparse_direction_T3_S2_21rocsparse_index_base_PKT1_PKT2_PKS2_S2_S3_PS4_PS7_PS2_,comdat
.Lfunc_end150:
	.size	_ZN9rocsparseL33bsr2csr_block_per_row_8_32_kernelILj1024ELj8EfllEEv20rocsparse_direction_T3_S2_21rocsparse_index_base_PKT1_PKT2_PKS2_S2_S3_PS4_PS7_PS2_, .Lfunc_end150-_ZN9rocsparseL33bsr2csr_block_per_row_8_32_kernelILj1024ELj8EfllEEv20rocsparse_direction_T3_S2_21rocsparse_index_base_PKT1_PKT2_PKS2_S2_S3_PS4_PS7_PS2_
                                        ; -- End function
	.set _ZN9rocsparseL33bsr2csr_block_per_row_8_32_kernelILj1024ELj8EfllEEv20rocsparse_direction_T3_S2_21rocsparse_index_base_PKT1_PKT2_PKS2_S2_S3_PS4_PS7_PS2_.num_vgpr, 17
	.set _ZN9rocsparseL33bsr2csr_block_per_row_8_32_kernelILj1024ELj8EfllEEv20rocsparse_direction_T3_S2_21rocsparse_index_base_PKT1_PKT2_PKS2_S2_S3_PS4_PS7_PS2_.num_agpr, 0
	.set _ZN9rocsparseL33bsr2csr_block_per_row_8_32_kernelILj1024ELj8EfllEEv20rocsparse_direction_T3_S2_21rocsparse_index_base_PKT1_PKT2_PKS2_S2_S3_PS4_PS7_PS2_.numbered_sgpr, 26
	.set _ZN9rocsparseL33bsr2csr_block_per_row_8_32_kernelILj1024ELj8EfllEEv20rocsparse_direction_T3_S2_21rocsparse_index_base_PKT1_PKT2_PKS2_S2_S3_PS4_PS7_PS2_.num_named_barrier, 0
	.set _ZN9rocsparseL33bsr2csr_block_per_row_8_32_kernelILj1024ELj8EfllEEv20rocsparse_direction_T3_S2_21rocsparse_index_base_PKT1_PKT2_PKS2_S2_S3_PS4_PS7_PS2_.private_seg_size, 0
	.set _ZN9rocsparseL33bsr2csr_block_per_row_8_32_kernelILj1024ELj8EfllEEv20rocsparse_direction_T3_S2_21rocsparse_index_base_PKT1_PKT2_PKS2_S2_S3_PS4_PS7_PS2_.uses_vcc, 1
	.set _ZN9rocsparseL33bsr2csr_block_per_row_8_32_kernelILj1024ELj8EfllEEv20rocsparse_direction_T3_S2_21rocsparse_index_base_PKT1_PKT2_PKS2_S2_S3_PS4_PS7_PS2_.uses_flat_scratch, 0
	.set _ZN9rocsparseL33bsr2csr_block_per_row_8_32_kernelILj1024ELj8EfllEEv20rocsparse_direction_T3_S2_21rocsparse_index_base_PKT1_PKT2_PKS2_S2_S3_PS4_PS7_PS2_.has_dyn_sized_stack, 0
	.set _ZN9rocsparseL33bsr2csr_block_per_row_8_32_kernelILj1024ELj8EfllEEv20rocsparse_direction_T3_S2_21rocsparse_index_base_PKT1_PKT2_PKS2_S2_S3_PS4_PS7_PS2_.has_recursion, 0
	.set _ZN9rocsparseL33bsr2csr_block_per_row_8_32_kernelILj1024ELj8EfllEEv20rocsparse_direction_T3_S2_21rocsparse_index_base_PKT1_PKT2_PKS2_S2_S3_PS4_PS7_PS2_.has_indirect_call, 0
	.section	.AMDGPU.csdata,"",@progbits
; Kernel info:
; codeLenInByte = 736
; TotalNumSgprs: 28
; NumVgprs: 17
; ScratchSize: 0
; MemoryBound: 0
; FloatMode: 240
; IeeeMode: 1
; LDSByteSize: 0 bytes/workgroup (compile time only)
; SGPRBlocks: 0
; VGPRBlocks: 1
; NumSGPRsForWavesPerEU: 28
; NumVGPRsForWavesPerEU: 17
; NamedBarCnt: 0
; Occupancy: 16
; WaveLimiterHint : 0
; COMPUTE_PGM_RSRC2:SCRATCH_EN: 0
; COMPUTE_PGM_RSRC2:USER_SGPR: 2
; COMPUTE_PGM_RSRC2:TRAP_HANDLER: 0
; COMPUTE_PGM_RSRC2:TGID_X_EN: 1
; COMPUTE_PGM_RSRC2:TGID_Y_EN: 0
; COMPUTE_PGM_RSRC2:TGID_Z_EN: 0
; COMPUTE_PGM_RSRC2:TIDIG_COMP_CNT: 0
	.section	.text._ZN9rocsparseL33bsr2csr_block_per_row_8_32_kernelILj1024ELj16EfllEEv20rocsparse_direction_T3_S2_21rocsparse_index_base_PKT1_PKT2_PKS2_S2_S3_PS4_PS7_PS2_,"axG",@progbits,_ZN9rocsparseL33bsr2csr_block_per_row_8_32_kernelILj1024ELj16EfllEEv20rocsparse_direction_T3_S2_21rocsparse_index_base_PKT1_PKT2_PKS2_S2_S3_PS4_PS7_PS2_,comdat
	.globl	_ZN9rocsparseL33bsr2csr_block_per_row_8_32_kernelILj1024ELj16EfllEEv20rocsparse_direction_T3_S2_21rocsparse_index_base_PKT1_PKT2_PKS2_S2_S3_PS4_PS7_PS2_ ; -- Begin function _ZN9rocsparseL33bsr2csr_block_per_row_8_32_kernelILj1024ELj16EfllEEv20rocsparse_direction_T3_S2_21rocsparse_index_base_PKT1_PKT2_PKS2_S2_S3_PS4_PS7_PS2_
	.p2align	8
	.type	_ZN9rocsparseL33bsr2csr_block_per_row_8_32_kernelILj1024ELj16EfllEEv20rocsparse_direction_T3_S2_21rocsparse_index_base_PKT1_PKT2_PKS2_S2_S3_PS4_PS7_PS2_,@function
_ZN9rocsparseL33bsr2csr_block_per_row_8_32_kernelILj1024ELj16EfllEEv20rocsparse_direction_T3_S2_21rocsparse_index_base_PKT1_PKT2_PKS2_S2_S3_PS4_PS7_PS2_: ; @_ZN9rocsparseL33bsr2csr_block_per_row_8_32_kernelILj1024ELj16EfllEEv20rocsparse_direction_T3_S2_21rocsparse_index_base_PKT1_PKT2_PKS2_S2_S3_PS4_PS7_PS2_
; %bb.0:
	s_clause 0x1
	s_load_b32 s6, s[0:1], 0x40
	s_load_b64 s[12:13], s[0:1], 0x50
	s_bfe_u32 s2, ttmp6, 0x4000c
	s_and_b32 s3, ttmp6, 15
	s_add_co_i32 s2, s2, 1
	s_getreg_b32 s4, hwreg(HW_REG_IB_STS2, 6, 4)
	s_mul_i32 s2, ttmp9, s2
	s_mov_b32 s15, 0
	s_add_co_i32 s3, s3, s2
	s_cmp_eq_u32 s4, 0
	s_mov_b32 s2, exec_lo
	s_cselect_b32 s14, ttmp9, s3
	s_delay_alu instid0(SALU_CYCLE_1) | instskip(NEXT) | instid1(VALU_DEP_1)
	v_or_b32_e32 v1, s14, v0
	v_cmpx_eq_u32_e32 0, v1
	s_cbranch_execz .LBB151_2
; %bb.1:
	s_wait_kmcnt 0x0
	v_dual_mov_b32 v2, s6 :: v_dual_mov_b32 v3, 0
	global_store_b64 v3, v[2:3], s[12:13]
.LBB151_2:
	s_wait_xcnt 0x0
	s_or_b32 exec_lo, exec_lo, s2
	v_dual_mov_b32 v3, 0 :: v_dual_bitop2_b32 v2, 15, v0 bitop3:0x40
	v_bfe_u32 v4, v0, 4, 4
	s_load_b64 s[2:3], s[0:1], 0x38
	s_mov_b32 s4, exec_lo
	s_delay_alu instid0(VALU_DEP_2) | instskip(NEXT) | instid1(VALU_DEP_1)
	v_mov_b32_e32 v5, v3
	v_max_i64 v[6:7], v[4:5], v[2:3]
	s_wait_kmcnt 0x0
	s_delay_alu instid0(VALU_DEP_1)
	v_cmpx_gt_i64_e64 s[2:3], v[6:7]
	s_cbranch_execz .LBB151_6
; %bb.3:
	s_clause 0x1
	s_load_b64 s[8:9], s[0:1], 0x28
	s_load_b32 s4, s[0:1], 0x18
	s_lshl_b64 s[10:11], s[14:15], 3
	s_mov_b32 s5, 0
	v_dual_mov_b32 v7, v3 :: v_dual_lshrrev_b32 v6, 8, v0
	s_mov_b32 s7, s5
	s_mul_u64 s[14:15], s[2:3], s[14:15]
	s_delay_alu instid0(SALU_CYCLE_1) | instskip(NEXT) | instid1(SALU_CYCLE_1)
	s_lshl_b64 s[14:15], s[14:15], 3
	s_add_nc_u64 s[12:13], s[12:13], s[14:15]
	s_wait_kmcnt 0x0
	s_add_nc_u64 s[16:17], s[8:9], s[10:11]
	s_load_b128 s[8:11], s[16:17], 0x0
	s_wait_kmcnt 0x0
	s_sub_nc_u64 s[16:17], s[8:9], s[4:5]
	s_sub_nc_u64 s[8:9], s[10:11], s[4:5]
	s_mul_u64 s[10:11], s[2:3], s[2:3]
	s_sub_nc_u64 s[18:19], s[8:9], s[16:17]
	s_mul_u64 s[22:23], s[16:17], s[10:11]
	s_mul_u64 s[20:21], s[18:19], s[2:3]
	v_add_nc_u64_e32 v[0:1], s[16:17], v[6:7]
	s_add_nc_u64 s[24:25], s[20:21], s[6:7]
	s_delay_alu instid0(SALU_CYCLE_1) | instskip(NEXT) | instid1(SALU_CYCLE_1)
	s_add_nc_u64 s[22:23], s[24:25], s[22:23]
	v_mad_nc_u64_u32 v[8:9], s20, v4, s[22:23]
	s_delay_alu instid0(VALU_DEP_2) | instskip(NEXT) | instid1(VALU_DEP_2)
	v_cmp_gt_i64_e32 vcc_lo, s[8:9], v[0:1]
	v_mad_u32 v9, s21, v4, v9
	global_store_b64 v4, v[8:9], s[12:13] offset:8 scale_offset
	s_wait_xcnt 0x0
	s_and_b32 exec_lo, exec_lo, vcc_lo
	s_cbranch_execz .LBB151_6
; %bb.4:
	v_mad_nc_u64_u32 v[6:7], s2, s16, v[6:7]
	s_mul_i32 s12, s3, s16
	s_mul_i32 s13, s2, s17
	v_mul_u64_e32 v[8:9], s[2:3], v[2:3]
	v_mul_u64_e32 v[10:11], s[2:3], v[4:5]
	;; [unrolled: 1-line block ×3, first 2 shown]
	v_mov_b32_e32 v5, 0
	v_add3_u32 v7, s13, s12, v7
	s_load_b64 s[12:13], s[0:1], 0x20
	s_delay_alu instid0(VALU_DEP_1) | instskip(SKIP_4) | instid1(VALU_DEP_1)
	v_mad_nc_u64_u32 v[6:7], s18, v4, v[6:7]
	s_clause 0x2
	s_load_b64 s[14:15], s[0:1], 0x30
	s_load_b64 s[16:17], s[0:1], 0x48
	s_load_b32 s18, s[0:1], 0x0
	v_mad_u32 v7, s19, v4, v7
	v_lshlrev_b32_e32 v4, 2, v4
	s_wait_xcnt 0x0
	s_load_b64 s[0:1], s[0:1], 0x58
	s_wait_kmcnt 0x0
	v_lshl_add_u64 v[8:9], v[8:9], 2, s[12:13]
	v_lshl_add_u64 v[10:11], v[10:11], 2, s[12:13]
	s_cmp_eq_u32 s18, 0
	s_delay_alu instid0(VALU_DEP_4) | instskip(SKIP_4) | instid1(VALU_DEP_1)
	v_mul_u64_e32 v[6:7], s[2:3], v[6:7]
	s_cselect_b32 vcc_lo, -1, 0
	v_add_nc_u64_e32 v[8:9], v[8:9], v[4:5]
	v_lshlrev_b32_e32 v4, 2, v2
	s_mov_b32 s12, s5
	v_add_nc_u64_e32 v[10:11], v[10:11], v[4:5]
	s_delay_alu instid0(VALU_DEP_1) | instskip(SKIP_4) | instid1(VALU_DEP_2)
	v_dual_cndmask_b32 v9, v9, v11 :: v_dual_cndmask_b32 v8, v8, v10
	v_lshl_add_u64 v[14:15], v[6:7], 2, v[4:5]
	v_lshlrev_b32_e32 v4, 3, v2
	v_add_nc_u64_e32 v[2:3], s[6:7], v[2:3]
	s_lshl_b64 s[6:7], s[2:3], 4
	v_lshl_add_u64 v[10:11], v[6:7], 3, v[4:5]
	v_lshl_add_u64 v[4:5], v[12:13], 2, v[8:9]
	v_add_nc_u64_e32 v[6:7], s[16:17], v[14:15]
	s_delay_alu instid0(VALU_DEP_3)
	v_add_nc_u64_e32 v[8:9], s[0:1], v[10:11]
	v_lshl_add_u64 v[10:11], v[0:1], 3, s[14:15]
	s_lshl_b64 s[0:1], s[10:11], 4
	s_lshl_b64 s[10:11], s[2:3], 5
.LBB151_5:                              ; =>This Inner Loop Header: Depth=1
	global_load_b64 v[12:13], v[10:11], off
	global_load_b32 v16, v[4:5], off
	v_add_nc_u64_e32 v[0:1], 4, v[0:1]
	s_wait_xcnt 0x0
	v_add_nc_u64_e32 v[4:5], s[0:1], v[4:5]
	v_add_nc_u64_e32 v[10:11], 32, v[10:11]
	s_delay_alu instid0(VALU_DEP_3)
	v_cmp_le_i64_e32 vcc_lo, s[8:9], v[0:1]
	s_or_b32 s12, vcc_lo, s12
	s_wait_loadcnt 0x1
	v_sub_nc_u64_e64 v[12:13], v[12:13], s[4:5]
	s_wait_loadcnt 0x0
	global_store_b32 v[6:7], v16, off
	s_wait_xcnt 0x0
	v_add_nc_u64_e32 v[6:7], s[6:7], v[6:7]
	v_mad_nc_u64_u32 v[14:15], v12, s2, v[2:3]
	s_delay_alu instid0(VALU_DEP_1) | instskip(NEXT) | instid1(VALU_DEP_1)
	v_mad_u32 v13, v13, s2, v15
	v_mad_u32 v15, v12, s3, v13
	global_store_b64 v[8:9], v[14:15], off
	s_wait_xcnt 0x0
	v_add_nc_u64_e32 v[8:9], s[10:11], v[8:9]
	s_and_not1_b32 exec_lo, exec_lo, s12
	s_cbranch_execnz .LBB151_5
.LBB151_6:
	s_endpgm
	.section	.rodata,"a",@progbits
	.p2align	6, 0x0
	.amdhsa_kernel _ZN9rocsparseL33bsr2csr_block_per_row_8_32_kernelILj1024ELj16EfllEEv20rocsparse_direction_T3_S2_21rocsparse_index_base_PKT1_PKT2_PKS2_S2_S3_PS4_PS7_PS2_
		.amdhsa_group_segment_fixed_size 0
		.amdhsa_private_segment_fixed_size 0
		.amdhsa_kernarg_size 96
		.amdhsa_user_sgpr_count 2
		.amdhsa_user_sgpr_dispatch_ptr 0
		.amdhsa_user_sgpr_queue_ptr 0
		.amdhsa_user_sgpr_kernarg_segment_ptr 1
		.amdhsa_user_sgpr_dispatch_id 0
		.amdhsa_user_sgpr_kernarg_preload_length 0
		.amdhsa_user_sgpr_kernarg_preload_offset 0
		.amdhsa_user_sgpr_private_segment_size 0
		.amdhsa_wavefront_size32 1
		.amdhsa_uses_dynamic_stack 0
		.amdhsa_enable_private_segment 0
		.amdhsa_system_sgpr_workgroup_id_x 1
		.amdhsa_system_sgpr_workgroup_id_y 0
		.amdhsa_system_sgpr_workgroup_id_z 0
		.amdhsa_system_sgpr_workgroup_info 0
		.amdhsa_system_vgpr_workitem_id 0
		.amdhsa_next_free_vgpr 17
		.amdhsa_next_free_sgpr 26
		.amdhsa_named_barrier_count 0
		.amdhsa_reserve_vcc 1
		.amdhsa_float_round_mode_32 0
		.amdhsa_float_round_mode_16_64 0
		.amdhsa_float_denorm_mode_32 3
		.amdhsa_float_denorm_mode_16_64 3
		.amdhsa_fp16_overflow 0
		.amdhsa_memory_ordered 1
		.amdhsa_forward_progress 1
		.amdhsa_inst_pref_size 6
		.amdhsa_round_robin_scheduling 0
		.amdhsa_exception_fp_ieee_invalid_op 0
		.amdhsa_exception_fp_denorm_src 0
		.amdhsa_exception_fp_ieee_div_zero 0
		.amdhsa_exception_fp_ieee_overflow 0
		.amdhsa_exception_fp_ieee_underflow 0
		.amdhsa_exception_fp_ieee_inexact 0
		.amdhsa_exception_int_div_zero 0
	.end_amdhsa_kernel
	.section	.text._ZN9rocsparseL33bsr2csr_block_per_row_8_32_kernelILj1024ELj16EfllEEv20rocsparse_direction_T3_S2_21rocsparse_index_base_PKT1_PKT2_PKS2_S2_S3_PS4_PS7_PS2_,"axG",@progbits,_ZN9rocsparseL33bsr2csr_block_per_row_8_32_kernelILj1024ELj16EfllEEv20rocsparse_direction_T3_S2_21rocsparse_index_base_PKT1_PKT2_PKS2_S2_S3_PS4_PS7_PS2_,comdat
.Lfunc_end151:
	.size	_ZN9rocsparseL33bsr2csr_block_per_row_8_32_kernelILj1024ELj16EfllEEv20rocsparse_direction_T3_S2_21rocsparse_index_base_PKT1_PKT2_PKS2_S2_S3_PS4_PS7_PS2_, .Lfunc_end151-_ZN9rocsparseL33bsr2csr_block_per_row_8_32_kernelILj1024ELj16EfllEEv20rocsparse_direction_T3_S2_21rocsparse_index_base_PKT1_PKT2_PKS2_S2_S3_PS4_PS7_PS2_
                                        ; -- End function
	.set _ZN9rocsparseL33bsr2csr_block_per_row_8_32_kernelILj1024ELj16EfllEEv20rocsparse_direction_T3_S2_21rocsparse_index_base_PKT1_PKT2_PKS2_S2_S3_PS4_PS7_PS2_.num_vgpr, 17
	.set _ZN9rocsparseL33bsr2csr_block_per_row_8_32_kernelILj1024ELj16EfllEEv20rocsparse_direction_T3_S2_21rocsparse_index_base_PKT1_PKT2_PKS2_S2_S3_PS4_PS7_PS2_.num_agpr, 0
	.set _ZN9rocsparseL33bsr2csr_block_per_row_8_32_kernelILj1024ELj16EfllEEv20rocsparse_direction_T3_S2_21rocsparse_index_base_PKT1_PKT2_PKS2_S2_S3_PS4_PS7_PS2_.numbered_sgpr, 26
	.set _ZN9rocsparseL33bsr2csr_block_per_row_8_32_kernelILj1024ELj16EfllEEv20rocsparse_direction_T3_S2_21rocsparse_index_base_PKT1_PKT2_PKS2_S2_S3_PS4_PS7_PS2_.num_named_barrier, 0
	.set _ZN9rocsparseL33bsr2csr_block_per_row_8_32_kernelILj1024ELj16EfllEEv20rocsparse_direction_T3_S2_21rocsparse_index_base_PKT1_PKT2_PKS2_S2_S3_PS4_PS7_PS2_.private_seg_size, 0
	.set _ZN9rocsparseL33bsr2csr_block_per_row_8_32_kernelILj1024ELj16EfllEEv20rocsparse_direction_T3_S2_21rocsparse_index_base_PKT1_PKT2_PKS2_S2_S3_PS4_PS7_PS2_.uses_vcc, 1
	.set _ZN9rocsparseL33bsr2csr_block_per_row_8_32_kernelILj1024ELj16EfllEEv20rocsparse_direction_T3_S2_21rocsparse_index_base_PKT1_PKT2_PKS2_S2_S3_PS4_PS7_PS2_.uses_flat_scratch, 0
	.set _ZN9rocsparseL33bsr2csr_block_per_row_8_32_kernelILj1024ELj16EfllEEv20rocsparse_direction_T3_S2_21rocsparse_index_base_PKT1_PKT2_PKS2_S2_S3_PS4_PS7_PS2_.has_dyn_sized_stack, 0
	.set _ZN9rocsparseL33bsr2csr_block_per_row_8_32_kernelILj1024ELj16EfllEEv20rocsparse_direction_T3_S2_21rocsparse_index_base_PKT1_PKT2_PKS2_S2_S3_PS4_PS7_PS2_.has_recursion, 0
	.set _ZN9rocsparseL33bsr2csr_block_per_row_8_32_kernelILj1024ELj16EfllEEv20rocsparse_direction_T3_S2_21rocsparse_index_base_PKT1_PKT2_PKS2_S2_S3_PS4_PS7_PS2_.has_indirect_call, 0
	.section	.AMDGPU.csdata,"",@progbits
; Kernel info:
; codeLenInByte = 732
; TotalNumSgprs: 28
; NumVgprs: 17
; ScratchSize: 0
; MemoryBound: 0
; FloatMode: 240
; IeeeMode: 1
; LDSByteSize: 0 bytes/workgroup (compile time only)
; SGPRBlocks: 0
; VGPRBlocks: 1
; NumSGPRsForWavesPerEU: 28
; NumVGPRsForWavesPerEU: 17
; NamedBarCnt: 0
; Occupancy: 16
; WaveLimiterHint : 0
; COMPUTE_PGM_RSRC2:SCRATCH_EN: 0
; COMPUTE_PGM_RSRC2:USER_SGPR: 2
; COMPUTE_PGM_RSRC2:TRAP_HANDLER: 0
; COMPUTE_PGM_RSRC2:TGID_X_EN: 1
; COMPUTE_PGM_RSRC2:TGID_Y_EN: 0
; COMPUTE_PGM_RSRC2:TGID_Z_EN: 0
; COMPUTE_PGM_RSRC2:TIDIG_COMP_CNT: 0
	.section	.text._ZN9rocsparseL33bsr2csr_block_per_row_8_32_kernelILj1024ELj32EfllEEv20rocsparse_direction_T3_S2_21rocsparse_index_base_PKT1_PKT2_PKS2_S2_S3_PS4_PS7_PS2_,"axG",@progbits,_ZN9rocsparseL33bsr2csr_block_per_row_8_32_kernelILj1024ELj32EfllEEv20rocsparse_direction_T3_S2_21rocsparse_index_base_PKT1_PKT2_PKS2_S2_S3_PS4_PS7_PS2_,comdat
	.globl	_ZN9rocsparseL33bsr2csr_block_per_row_8_32_kernelILj1024ELj32EfllEEv20rocsparse_direction_T3_S2_21rocsparse_index_base_PKT1_PKT2_PKS2_S2_S3_PS4_PS7_PS2_ ; -- Begin function _ZN9rocsparseL33bsr2csr_block_per_row_8_32_kernelILj1024ELj32EfllEEv20rocsparse_direction_T3_S2_21rocsparse_index_base_PKT1_PKT2_PKS2_S2_S3_PS4_PS7_PS2_
	.p2align	8
	.type	_ZN9rocsparseL33bsr2csr_block_per_row_8_32_kernelILj1024ELj32EfllEEv20rocsparse_direction_T3_S2_21rocsparse_index_base_PKT1_PKT2_PKS2_S2_S3_PS4_PS7_PS2_,@function
_ZN9rocsparseL33bsr2csr_block_per_row_8_32_kernelILj1024ELj32EfllEEv20rocsparse_direction_T3_S2_21rocsparse_index_base_PKT1_PKT2_PKS2_S2_S3_PS4_PS7_PS2_: ; @_ZN9rocsparseL33bsr2csr_block_per_row_8_32_kernelILj1024ELj32EfllEEv20rocsparse_direction_T3_S2_21rocsparse_index_base_PKT1_PKT2_PKS2_S2_S3_PS4_PS7_PS2_
; %bb.0:
	s_clause 0x1
	s_load_b32 s14, s[0:1], 0x40
	s_load_b64 s[18:19], s[0:1], 0x50
	s_bfe_u32 s2, ttmp6, 0x4000c
	s_and_b32 s3, ttmp6, 15
	s_add_co_i32 s2, s2, 1
	s_getreg_b32 s4, hwreg(HW_REG_IB_STS2, 6, 4)
	s_mul_i32 s2, ttmp9, s2
	s_mov_b32 s23, 0
	s_add_co_i32 s3, s3, s2
	s_cmp_eq_u32 s4, 0
	s_mov_b32 s2, exec_lo
	s_cselect_b32 s22, ttmp9, s3
	s_delay_alu instid0(SALU_CYCLE_1) | instskip(NEXT) | instid1(VALU_DEP_1)
	v_or_b32_e32 v1, s22, v0
	v_cmpx_eq_u32_e32 0, v1
	s_cbranch_execz .LBB152_2
; %bb.1:
	s_wait_kmcnt 0x0
	v_dual_mov_b32 v2, s14 :: v_dual_mov_b32 v3, 0
	global_store_b64 v3, v[2:3], s[18:19]
.LBB152_2:
	s_wait_xcnt 0x0
	s_or_b32 exec_lo, exec_lo, s2
	v_dual_mov_b32 v3, 0 :: v_dual_bitop2_b32 v2, 31, v0 bitop3:0x40
	v_lshrrev_b32_e32 v0, 5, v0
	s_load_b64 s[2:3], s[0:1], 0x38
	s_mov_b32 s4, exec_lo
	s_delay_alu instid0(VALU_DEP_2) | instskip(NEXT) | instid1(VALU_DEP_1)
	v_mov_b32_e32 v1, v3
	v_max_i64 v[4:5], v[0:1], v[2:3]
	s_wait_kmcnt 0x0
	s_delay_alu instid0(VALU_DEP_1)
	v_cmpx_gt_i64_e64 s[2:3], v[4:5]
	s_cbranch_execz .LBB152_6
; %bb.3:
	s_clause 0x1
	s_load_b64 s[4:5], s[0:1], 0x28
	s_load_b32 s8, s[0:1], 0x18
	s_lshl_b64 s[6:7], s[22:23], 3
	s_mov_b32 s9, 0
	s_mul_u64 s[16:17], s[2:3], s[2:3]
	s_mov_b32 s15, s9
	s_wait_kmcnt 0x0
	s_add_nc_u64 s[10:11], s[4:5], s[6:7]
	s_load_b128 s[4:7], s[10:11], 0x0
	s_wait_kmcnt 0x0
	s_sub_nc_u64 s[10:11], s[4:5], s[8:9]
	s_sub_nc_u64 s[12:13], s[6:7], s[8:9]
	s_mul_u64 s[20:21], s[10:11], s[16:17]
	s_sub_nc_u64 s[24:25], s[12:13], s[10:11]
	s_delay_alu instid0(SALU_CYCLE_1) | instskip(NEXT) | instid1(SALU_CYCLE_1)
	s_mul_u64 s[26:27], s[24:25], s[2:3]
	s_add_nc_u64 s[28:29], s[26:27], s[14:15]
	s_delay_alu instid0(SALU_CYCLE_1) | instskip(NEXT) | instid1(SALU_CYCLE_1)
	s_add_nc_u64 s[28:29], s[28:29], s[20:21]
	v_mad_nc_u64_u32 v[4:5], s26, v0, s[28:29]
	v_cmp_ge_i64_e64 s26, s[4:5], s[6:7]
	s_mul_u64 s[6:7], s[2:3], s[22:23]
	s_delay_alu instid0(SALU_CYCLE_1) | instskip(NEXT) | instid1(SALU_CYCLE_1)
	s_lshl_b64 s[6:7], s[6:7], 3
	s_add_nc_u64 s[6:7], s[18:19], s[6:7]
	s_and_b32 vcc_lo, exec_lo, s26
	v_mad_u32 v5, s27, v0, v5
	global_store_b64 v0, v[4:5], s[6:7] offset:8 scale_offset
	s_cbranch_vccnz .LBB152_6
; %bb.4:
	s_wait_xcnt 0x0
	s_mul_u64 s[6:7], s[2:3], s[10:11]
	v_mul_u64_e32 v[6:7], s[2:3], v[2:3]
	v_mad_nc_u64_u32 v[4:5], v0, s24, s[6:7]
	v_mul_u64_e32 v[8:9], s[2:3], v[0:1]
	s_clause 0x3
	s_load_b64 s[6:7], s[0:1], 0x20
	s_load_b64 s[18:19], s[0:1], 0x30
	;; [unrolled: 1-line block ×3, first 2 shown]
	s_load_b32 s26, s[0:1], 0x0
	v_mov_b32_e32 v1, 0
	s_delay_alu instid0(VALU_DEP_3) | instskip(SKIP_2) | instid1(VALU_DEP_2)
	v_mad_u32 v5, v0, s25, v5
	v_lshlrev_b32_e32 v0, 2, v0
	s_load_b64 s[24:25], s[0:1], 0x58
	v_mul_u64_e32 v[4:5], s[2:3], v[4:5]
	s_wait_kmcnt 0x0
	s_cmp_eq_u32 s26, 0
	s_cselect_b32 vcc_lo, -1, 0
	s_lshl_b64 s[0:1], s[16:17], 2
	v_lshl_add_u64 v[6:7], v[6:7], 2, s[6:7]
	v_lshl_add_u64 v[8:9], v[8:9], 2, s[6:7]
	s_lshl_b64 s[6:7], s[4:5], 3
	s_lshl_b64 s[4:5], s[2:3], 2
	s_delay_alu instid0(VALU_DEP_2) | instskip(SKIP_1) | instid1(VALU_DEP_1)
	v_add_nc_u64_e32 v[6:7], v[6:7], v[0:1]
	v_lshlrev_b32_e32 v0, 2, v2
	v_add_nc_u64_e32 v[8:9], v[8:9], v[0:1]
	s_delay_alu instid0(VALU_DEP_1) | instskip(SKIP_2) | instid1(VALU_DEP_1)
	v_dual_cndmask_b32 v7, v7, v9 :: v_dual_cndmask_b32 v6, v6, v8
	v_lshl_add_u64 v[10:11], v[4:5], 2, v[0:1]
	v_lshlrev_b32_e32 v0, 3, v2
	v_lshl_add_u64 v[8:9], v[4:5], 3, v[0:1]
	v_add_nc_u64_e32 v[0:1], s[14:15], v[2:3]
	v_lshl_add_u64 v[2:3], s[20:21], 2, v[6:7]
	v_add_nc_u64_e32 v[4:5], s[22:23], v[10:11]
	s_lshl_b64 s[14:15], s[8:9], 3
	v_add_nc_u64_e32 v[6:7], s[24:25], v[8:9]
	s_sub_nc_u64 s[14:15], s[6:7], s[14:15]
	s_lshl_b64 s[6:7], s[2:3], 3
	s_add_nc_u64 s[14:15], s[18:19], s[14:15]
.LBB152_5:                              ; =>This Inner Loop Header: Depth=1
	global_load_b32 v10, v[2:3], off
	s_load_b64 s[16:17], s[14:15], 0x0
	s_add_nc_u64 s[10:11], s[10:11], 1
	v_add_nc_u64_e32 v[2:3], s[0:1], v[2:3]
	v_cmp_lt_i64_e64 s18, s[10:11], s[12:13]
	s_wait_xcnt 0x0
	s_add_nc_u64 s[14:15], s[14:15], 8
	s_and_b32 vcc_lo, exec_lo, s18
	s_wait_kmcnt 0x0
	s_sub_nc_u64 s[16:17], s[16:17], s[8:9]
	s_delay_alu instid0(SALU_CYCLE_1)
	v_mad_nc_u64_u32 v[8:9], s16, s2, v[0:1]
	s_mul_i32 s17, s17, s2
	s_mul_i32 s16, s16, s3
	s_delay_alu instid0(VALU_DEP_1) | instid1(SALU_CYCLE_1)
	v_add3_u32 v9, s16, s17, v9
	global_store_b64 v[6:7], v[8:9], off
	s_wait_xcnt 0x0
	v_add_nc_u64_e32 v[6:7], s[6:7], v[6:7]
	s_wait_loadcnt 0x0
	global_store_b32 v[4:5], v10, off
	s_wait_xcnt 0x0
	v_add_nc_u64_e32 v[4:5], s[4:5], v[4:5]
	s_cbranch_vccnz .LBB152_5
.LBB152_6:
	s_endpgm
	.section	.rodata,"a",@progbits
	.p2align	6, 0x0
	.amdhsa_kernel _ZN9rocsparseL33bsr2csr_block_per_row_8_32_kernelILj1024ELj32EfllEEv20rocsparse_direction_T3_S2_21rocsparse_index_base_PKT1_PKT2_PKS2_S2_S3_PS4_PS7_PS2_
		.amdhsa_group_segment_fixed_size 0
		.amdhsa_private_segment_fixed_size 0
		.amdhsa_kernarg_size 96
		.amdhsa_user_sgpr_count 2
		.amdhsa_user_sgpr_dispatch_ptr 0
		.amdhsa_user_sgpr_queue_ptr 0
		.amdhsa_user_sgpr_kernarg_segment_ptr 1
		.amdhsa_user_sgpr_dispatch_id 0
		.amdhsa_user_sgpr_kernarg_preload_length 0
		.amdhsa_user_sgpr_kernarg_preload_offset 0
		.amdhsa_user_sgpr_private_segment_size 0
		.amdhsa_wavefront_size32 1
		.amdhsa_uses_dynamic_stack 0
		.amdhsa_enable_private_segment 0
		.amdhsa_system_sgpr_workgroup_id_x 1
		.amdhsa_system_sgpr_workgroup_id_y 0
		.amdhsa_system_sgpr_workgroup_id_z 0
		.amdhsa_system_sgpr_workgroup_info 0
		.amdhsa_system_vgpr_workitem_id 0
		.amdhsa_next_free_vgpr 12
		.amdhsa_next_free_sgpr 30
		.amdhsa_named_barrier_count 0
		.amdhsa_reserve_vcc 1
		.amdhsa_float_round_mode_32 0
		.amdhsa_float_round_mode_16_64 0
		.amdhsa_float_denorm_mode_32 3
		.amdhsa_float_denorm_mode_16_64 3
		.amdhsa_fp16_overflow 0
		.amdhsa_memory_ordered 1
		.amdhsa_forward_progress 1
		.amdhsa_inst_pref_size 6
		.amdhsa_round_robin_scheduling 0
		.amdhsa_exception_fp_ieee_invalid_op 0
		.amdhsa_exception_fp_denorm_src 0
		.amdhsa_exception_fp_ieee_div_zero 0
		.amdhsa_exception_fp_ieee_overflow 0
		.amdhsa_exception_fp_ieee_underflow 0
		.amdhsa_exception_fp_ieee_inexact 0
		.amdhsa_exception_int_div_zero 0
	.end_amdhsa_kernel
	.section	.text._ZN9rocsparseL33bsr2csr_block_per_row_8_32_kernelILj1024ELj32EfllEEv20rocsparse_direction_T3_S2_21rocsparse_index_base_PKT1_PKT2_PKS2_S2_S3_PS4_PS7_PS2_,"axG",@progbits,_ZN9rocsparseL33bsr2csr_block_per_row_8_32_kernelILj1024ELj32EfllEEv20rocsparse_direction_T3_S2_21rocsparse_index_base_PKT1_PKT2_PKS2_S2_S3_PS4_PS7_PS2_,comdat
.Lfunc_end152:
	.size	_ZN9rocsparseL33bsr2csr_block_per_row_8_32_kernelILj1024ELj32EfllEEv20rocsparse_direction_T3_S2_21rocsparse_index_base_PKT1_PKT2_PKS2_S2_S3_PS4_PS7_PS2_, .Lfunc_end152-_ZN9rocsparseL33bsr2csr_block_per_row_8_32_kernelILj1024ELj32EfllEEv20rocsparse_direction_T3_S2_21rocsparse_index_base_PKT1_PKT2_PKS2_S2_S3_PS4_PS7_PS2_
                                        ; -- End function
	.set _ZN9rocsparseL33bsr2csr_block_per_row_8_32_kernelILj1024ELj32EfllEEv20rocsparse_direction_T3_S2_21rocsparse_index_base_PKT1_PKT2_PKS2_S2_S3_PS4_PS7_PS2_.num_vgpr, 12
	.set _ZN9rocsparseL33bsr2csr_block_per_row_8_32_kernelILj1024ELj32EfllEEv20rocsparse_direction_T3_S2_21rocsparse_index_base_PKT1_PKT2_PKS2_S2_S3_PS4_PS7_PS2_.num_agpr, 0
	.set _ZN9rocsparseL33bsr2csr_block_per_row_8_32_kernelILj1024ELj32EfllEEv20rocsparse_direction_T3_S2_21rocsparse_index_base_PKT1_PKT2_PKS2_S2_S3_PS4_PS7_PS2_.numbered_sgpr, 30
	.set _ZN9rocsparseL33bsr2csr_block_per_row_8_32_kernelILj1024ELj32EfllEEv20rocsparse_direction_T3_S2_21rocsparse_index_base_PKT1_PKT2_PKS2_S2_S3_PS4_PS7_PS2_.num_named_barrier, 0
	.set _ZN9rocsparseL33bsr2csr_block_per_row_8_32_kernelILj1024ELj32EfllEEv20rocsparse_direction_T3_S2_21rocsparse_index_base_PKT1_PKT2_PKS2_S2_S3_PS4_PS7_PS2_.private_seg_size, 0
	.set _ZN9rocsparseL33bsr2csr_block_per_row_8_32_kernelILj1024ELj32EfllEEv20rocsparse_direction_T3_S2_21rocsparse_index_base_PKT1_PKT2_PKS2_S2_S3_PS4_PS7_PS2_.uses_vcc, 1
	.set _ZN9rocsparseL33bsr2csr_block_per_row_8_32_kernelILj1024ELj32EfllEEv20rocsparse_direction_T3_S2_21rocsparse_index_base_PKT1_PKT2_PKS2_S2_S3_PS4_PS7_PS2_.uses_flat_scratch, 0
	.set _ZN9rocsparseL33bsr2csr_block_per_row_8_32_kernelILj1024ELj32EfllEEv20rocsparse_direction_T3_S2_21rocsparse_index_base_PKT1_PKT2_PKS2_S2_S3_PS4_PS7_PS2_.has_dyn_sized_stack, 0
	.set _ZN9rocsparseL33bsr2csr_block_per_row_8_32_kernelILj1024ELj32EfllEEv20rocsparse_direction_T3_S2_21rocsparse_index_base_PKT1_PKT2_PKS2_S2_S3_PS4_PS7_PS2_.has_recursion, 0
	.set _ZN9rocsparseL33bsr2csr_block_per_row_8_32_kernelILj1024ELj32EfllEEv20rocsparse_direction_T3_S2_21rocsparse_index_base_PKT1_PKT2_PKS2_S2_S3_PS4_PS7_PS2_.has_indirect_call, 0
	.section	.AMDGPU.csdata,"",@progbits
; Kernel info:
; codeLenInByte = 684
; TotalNumSgprs: 32
; NumVgprs: 12
; ScratchSize: 0
; MemoryBound: 0
; FloatMode: 240
; IeeeMode: 1
; LDSByteSize: 0 bytes/workgroup (compile time only)
; SGPRBlocks: 0
; VGPRBlocks: 0
; NumSGPRsForWavesPerEU: 32
; NumVGPRsForWavesPerEU: 12
; NamedBarCnt: 0
; Occupancy: 16
; WaveLimiterHint : 0
; COMPUTE_PGM_RSRC2:SCRATCH_EN: 0
; COMPUTE_PGM_RSRC2:USER_SGPR: 2
; COMPUTE_PGM_RSRC2:TRAP_HANDLER: 0
; COMPUTE_PGM_RSRC2:TGID_X_EN: 1
; COMPUTE_PGM_RSRC2:TGID_Y_EN: 0
; COMPUTE_PGM_RSRC2:TGID_Z_EN: 0
; COMPUTE_PGM_RSRC2:TIDIG_COMP_CNT: 0
	.section	.text._ZN9rocsparseL35bsr2csr_block_per_row_33_256_kernelILj1024ELj64ELj32EfllEEv20rocsparse_direction_T4_S2_21rocsparse_index_base_PKT2_PKT3_PKS2_S2_S3_PS4_PS7_PS2_,"axG",@progbits,_ZN9rocsparseL35bsr2csr_block_per_row_33_256_kernelILj1024ELj64ELj32EfllEEv20rocsparse_direction_T4_S2_21rocsparse_index_base_PKT2_PKT3_PKS2_S2_S3_PS4_PS7_PS2_,comdat
	.globl	_ZN9rocsparseL35bsr2csr_block_per_row_33_256_kernelILj1024ELj64ELj32EfllEEv20rocsparse_direction_T4_S2_21rocsparse_index_base_PKT2_PKT3_PKS2_S2_S3_PS4_PS7_PS2_ ; -- Begin function _ZN9rocsparseL35bsr2csr_block_per_row_33_256_kernelILj1024ELj64ELj32EfllEEv20rocsparse_direction_T4_S2_21rocsparse_index_base_PKT2_PKT3_PKS2_S2_S3_PS4_PS7_PS2_
	.p2align	8
	.type	_ZN9rocsparseL35bsr2csr_block_per_row_33_256_kernelILj1024ELj64ELj32EfllEEv20rocsparse_direction_T4_S2_21rocsparse_index_base_PKT2_PKT3_PKS2_S2_S3_PS4_PS7_PS2_,@function
_ZN9rocsparseL35bsr2csr_block_per_row_33_256_kernelILj1024ELj64ELj32EfllEEv20rocsparse_direction_T4_S2_21rocsparse_index_base_PKT2_PKT3_PKS2_S2_S3_PS4_PS7_PS2_: ; @_ZN9rocsparseL35bsr2csr_block_per_row_33_256_kernelILj1024ELj64ELj32EfllEEv20rocsparse_direction_T4_S2_21rocsparse_index_base_PKT2_PKT3_PKS2_S2_S3_PS4_PS7_PS2_
; %bb.0:
	s_load_b64 s[8:9], s[0:1], 0x28
	s_bfe_u32 s2, ttmp6, 0x4000c
	s_and_b32 s3, ttmp6, 15
	s_add_co_i32 s2, s2, 1
	s_getreg_b32 s4, hwreg(HW_REG_IB_STS2, 6, 4)
	s_mul_i32 s2, ttmp9, s2
	s_mov_b32 s7, 0
	s_add_co_i32 s3, s3, s2
	s_cmp_eq_u32 s4, 0
	s_clause 0x1
	s_load_b32 s12, s[0:1], 0x40
	s_load_b64 s[4:5], s[0:1], 0x50
	s_cselect_b32 s2, ttmp9, s3
	s_mov_b32 s3, s7
	v_or_b32_e32 v1, s2, v0
	s_lshl_b64 s[10:11], s[2:3], 3
	s_mov_b32 s13, s7
	s_mov_b32 s6, exec_lo
	s_wait_kmcnt 0x0
	s_add_nc_u64 s[14:15], s[8:9], s[10:11]
	s_load_b128 s[8:11], s[14:15], 0x0
	v_cmpx_eq_u32_e32 0, v1
	s_cbranch_execz .LBB153_2
; %bb.1:
	v_mov_b64_e32 v[2:3], s[12:13]
	v_mov_b32_e32 v1, 0
	global_store_b64 v1, v[2:3], s[4:5]
.LBB153_2:
	s_wait_xcnt 0x0
	s_or_b32 exec_lo, exec_lo, s6
	s_clause 0x1
	s_load_b32 s6, s[0:1], 0x18
	s_load_b64 s[14:15], s[0:1], 0x38
	v_dual_mov_b32 v3, 0 :: v_dual_lshrrev_b32 v2, 5, v0
	s_wait_kmcnt 0x0
	s_sub_nc_u64 s[16:17], s[8:9], s[6:7]
	s_sub_nc_u64 s[18:19], s[10:11], s[6:7]
	s_mul_u64 s[22:23], s[14:15], s[16:17]
	s_mul_u64 s[24:25], s[14:15], s[2:3]
	v_cmp_gt_i64_e64 s3, s[14:15], v[2:3]
	s_sub_nc_u64 s[26:27], s[18:19], s[16:17]
	s_mul_u64 s[28:29], s[22:23], s[14:15]
	s_mul_u64 s[20:21], s[26:27], s[14:15]
	s_add_nc_u64 s[28:29], s[28:29], s[12:13]
	s_lshl_b64 s[24:25], s[24:25], 3
	s_add_nc_u64 s[28:29], s[28:29], s[20:21]
	s_add_nc_u64 s[24:25], s[4:5], s[24:25]
	s_and_saveexec_b32 s2, s3
	s_cbranch_execz .LBB153_4
; %bb.3:
	v_mad_nc_u64_u32 v[4:5], v2, s20, s[28:29]
	s_delay_alu instid0(VALU_DEP_1)
	v_mad_u32 v5, v2, s21, v5
	global_store_b64 v2, v[4:5], s[24:25] offset:8 scale_offset
.LBB153_4:
	s_wait_xcnt 0x0
	s_or_b32 exec_lo, exec_lo, s2
	v_dual_mov_b32 v5, v3 :: v_dual_bitop2_b32 v4, 32, v2 bitop3:0x54
	s_delay_alu instid0(VALU_DEP_1)
	v_cmp_gt_i64_e64 s4, s[14:15], v[4:5]
	s_and_saveexec_b32 s2, s4
	s_cbranch_execz .LBB153_6
; %bb.5:
	v_mad_nc_u64_u32 v[6:7], v4, s20, s[28:29]
	s_delay_alu instid0(VALU_DEP_1)
	v_mad_u32 v7, v4, s21, v7
	global_store_b64 v2, v[6:7], s[24:25] offset:264 scale_offset
.LBB153_6:
	s_wait_xcnt 0x0
	s_or_b32 exec_lo, exec_lo, s2
	v_cmp_lt_i64_e64 s2, s[8:9], s[10:11]
	s_and_b32 vcc_lo, exec_lo, s2
	s_cbranch_vccz .LBB153_17
; %bb.7:
	s_clause 0x2
	s_load_b64 s[20:21], s[0:1], 0x30
	s_load_b64 s[24:25], s[0:1], 0x48
	s_load_b32 s2, s[0:1], 0x0
	v_mad_nc_u64_u32 v[4:5], v2, s26, s[22:23]
	v_dual_mov_b32 v1, 0 :: v_dual_bitop2_b32 v0, 31, v0 bitop3:0x40
	v_lshlrev_b32_e32 v10, 2, v2
	s_mul_u64 s[28:29], s[14:15], s[14:15]
	s_delay_alu instid0(VALU_DEP_2)
	v_dual_mov_b32 v11, v1 :: v_dual_lshlrev_b32 v14, 2, v0
	v_mov_b32_e32 v15, v1
	v_cmp_gt_i64_e32 vcc_lo, s[14:15], v[0:1]
	v_dual_mov_b32 v13, v1 :: v_dual_lshlrev_b32 v12, 3, v0
	v_mad_u32 v5, v2, s27, v5
	s_wait_kmcnt 0x0
	s_cmp_eq_u32 s2, 0
	s_cselect_b32 s2, -1, 0
	s_lshl_b64 s[10:11], s[10:11], 5
	s_delay_alu instid0(VALU_DEP_1)
	v_mul_u64_e32 v[26:27], s[14:15], v[4:5]
	v_add_nc_u64_e32 v[2:3], s[10:11], v[4:5]
	s_lshl_b64 s[10:11], s[22:23], 2
	s_lshl_b64 s[22:23], s[8:9], 5
	v_add_nc_u64_e32 v[16:17], s[10:11], v[10:11]
	v_add_nc_u64_e32 v[18:19], s[10:11], v[14:15]
	s_load_b64 s[10:11], s[0:1], 0x20
	s_delay_alu instid0(VALU_DEP_3) | instskip(SKIP_1) | instid1(VALU_DEP_3)
	v_sub_nc_u64_e64 v[2:3], v[2:3], s[22:23]
	s_load_b64 s[22:23], s[0:1], 0x58
	v_add_nc_u64_e32 v[20:21], 0x80, v[16:17]
	s_delay_alu instid0(VALU_DEP_3)
	v_add_nc_u64_e32 v[22:23], 0x80, v[18:19]
	v_mad_nc_u64_u32 v[4:5], s14, v16, v[14:15]
	v_mad_nc_u64_u32 v[6:7], s14, v18, v[10:11]
	v_mul_u64_e32 v[24:25], s[14:15], v[2:3]
	v_dual_mov_b32 v3, v1 :: v_dual_bitop2_b32 v2, 32, v0 bitop3:0x54
	v_mad_nc_u64_u32 v[8:9], s14, v20, v[14:15]
	v_mad_nc_u64_u32 v[10:11], s14, v22, v[10:11]
	v_add_nc_u64_e32 v[14:15], s[24:25], v[14:15]
	s_and_b32 s25, s4, vcc_lo
	s_wait_xcnt 0x0
	v_cmp_gt_i64_e64 s0, s[14:15], v[2:3]
	s_and_b32 s24, s3, vcc_lo
	v_mad_u32 v5, s15, v16, v5
	v_mad_u32 v7, s15, v18, v7
	s_and_b32 s26, s4, s0
	v_mad_u32 v9, s15, v20, v9
	v_mad_u32 v11, s15, v22, v11
	s_wait_kmcnt 0x0
	v_add_nc_u64_e32 v[12:13], s[22:23], v[12:13]
	s_lshl_b64 s[4:5], s[8:9], 3
	s_lshl_b64 s[8:9], s[6:7], 3
	v_mad_u32 v5, s14, v17, v5
	v_mad_u32 v7, s14, v19, v7
	s_sub_nc_u64 s[4:5], s[4:5], s[8:9]
	s_and_b32 s3, s3, s0
	s_lshl_b64 s[0:1], s[28:29], 2
	s_add_nc_u64 s[4:5], s[20:21], s[4:5]
	v_mad_u32 v9, s14, v21, v9
	v_mad_u32 v11, s14, v23, v11
	v_lshl_add_u64 v[20:21], v[26:27], 3, 0x100
	v_lshl_add_u64 v[22:23], v[26:27], 2, 0x80
	s_lshl_b64 s[8:9], s[14:15], 3
	s_lshl_b64 s[20:21], s[14:15], 2
	v_lshlrev_b64_e32 v[16:17], 2, v[24:25]
	v_lshlrev_b64_e32 v[18:19], 3, v[24:25]
	s_branch .LBB153_9
.LBB153_8:                              ;   in Loop: Header=BB153_9 Depth=1
	s_wait_xcnt 0x0
	s_or_b32 exec_lo, exec_lo, s22
	s_add_nc_u64 s[16:17], s[16:17], 1
	v_add_nc_u64_e32 v[12:13], s[8:9], v[12:13]
	v_cmp_ge_i64_e64 s22, s[16:17], s[18:19]
	v_add_nc_u64_e32 v[14:15], s[20:21], v[14:15]
	s_add_nc_u64 s[10:11], s[10:11], s[0:1]
	s_add_nc_u64 s[4:5], s[4:5], 8
	s_and_b32 vcc_lo, exec_lo, s22
	s_cbranch_vccnz .LBB153_17
.LBB153_9:                              ; =>This Inner Loop Header: Depth=1
	s_load_b64 s[22:23], s[4:5], 0x0
	v_add_nc_u64_e32 v[32:33], v[12:13], v[20:21]
	v_add_nc_u64_e32 v[34:35], v[14:15], v[22:23]
	;; [unrolled: 1-line block ×4, first 2 shown]
	s_wait_kmcnt 0x0
	s_sub_nc_u64 s[22:23], s[22:23], s[6:7]
	s_delay_alu instid0(SALU_CYCLE_1) | instskip(NEXT) | instid1(SALU_CYCLE_1)
	s_mul_u64 s[22:23], s[22:23], s[14:15]
	s_add_nc_u64 s[22:23], s[22:23], s[12:13]
	s_delay_alu instid0(SALU_CYCLE_1)
	v_add_nc_u64_e32 v[24:25], s[22:23], v[0:1]
	s_and_saveexec_b32 s27, s24
	s_cbranch_execz .LBB153_11
; %bb.10:                               ;   in Loop: Header=BB153_9 Depth=1
	v_dual_cndmask_b32 v27, v31, v37, s2 :: v_dual_cndmask_b32 v26, v30, v36, s2
	global_load_b32 v26, v[26:27], off
	global_store_b64 v[32:33], v[24:25], off offset:-256
	s_wait_loadcnt 0x0
	global_store_b32 v[34:35], v26, off offset:-128
.LBB153_11:                             ;   in Loop: Header=BB153_9 Depth=1
	s_wait_xcnt 0x0
	s_or_b32 exec_lo, exec_lo, s27
	v_add_nc_u64_e32 v[26:27], s[22:23], v[2:3]
	v_add_nc_u64_e32 v[28:29], s[10:11], v[10:11]
	s_and_saveexec_b32 s22, s3
	s_cbranch_execz .LBB153_13
; %bb.12:                               ;   in Loop: Header=BB153_9 Depth=1
	v_add_nc_u64_e32 v[36:37], 0x80, v[36:37]
	s_delay_alu instid0(VALU_DEP_1)
	v_dual_cndmask_b32 v37, v29, v37, s2 :: v_dual_cndmask_b32 v36, v28, v36, s2
	global_load_b32 v36, v[36:37], off
	global_store_b64 v[32:33], v[26:27], off
	s_wait_loadcnt 0x0
	global_store_b32 v[34:35], v36, off
.LBB153_13:                             ;   in Loop: Header=BB153_9 Depth=1
	s_wait_xcnt 0x0
	s_or_b32 exec_lo, exec_lo, s22
	v_add_nc_u64_e32 v[32:33], v[12:13], v[18:19]
	v_add_nc_u64_e32 v[34:35], v[14:15], v[16:17]
	;; [unrolled: 1-line block ×3, first 2 shown]
	s_and_saveexec_b32 s22, s25
	s_cbranch_execz .LBB153_15
; %bb.14:                               ;   in Loop: Header=BB153_9 Depth=1
	v_add_nc_u64_e32 v[30:31], 0x80, v[30:31]
	s_delay_alu instid0(VALU_DEP_1)
	v_dual_cndmask_b32 v31, v31, v37, s2 :: v_dual_cndmask_b32 v30, v30, v36, s2
	global_load_b32 v30, v[30:31], off
	global_store_b64 v[32:33], v[24:25], off
	s_wait_loadcnt 0x0
	global_store_b32 v[34:35], v30, off
.LBB153_15:                             ;   in Loop: Header=BB153_9 Depth=1
	s_wait_xcnt 0x0
	s_or_b32 exec_lo, exec_lo, s22
	s_and_saveexec_b32 s22, s26
	s_cbranch_execz .LBB153_8
; %bb.16:                               ;   in Loop: Header=BB153_9 Depth=1
	v_dual_cndmask_b32 v25, v29, v37, s2 :: v_dual_cndmask_b32 v24, v28, v36, s2
	global_load_b32 v24, v[24:25], off offset:128
	global_store_b64 v[32:33], v[26:27], off offset:256
	s_wait_loadcnt 0x0
	global_store_b32 v[34:35], v24, off offset:128
	s_branch .LBB153_8
.LBB153_17:
	s_endpgm
	.section	.rodata,"a",@progbits
	.p2align	6, 0x0
	.amdhsa_kernel _ZN9rocsparseL35bsr2csr_block_per_row_33_256_kernelILj1024ELj64ELj32EfllEEv20rocsparse_direction_T4_S2_21rocsparse_index_base_PKT2_PKT3_PKS2_S2_S3_PS4_PS7_PS2_
		.amdhsa_group_segment_fixed_size 0
		.amdhsa_private_segment_fixed_size 0
		.amdhsa_kernarg_size 96
		.amdhsa_user_sgpr_count 2
		.amdhsa_user_sgpr_dispatch_ptr 0
		.amdhsa_user_sgpr_queue_ptr 0
		.amdhsa_user_sgpr_kernarg_segment_ptr 1
		.amdhsa_user_sgpr_dispatch_id 0
		.amdhsa_user_sgpr_kernarg_preload_length 0
		.amdhsa_user_sgpr_kernarg_preload_offset 0
		.amdhsa_user_sgpr_private_segment_size 0
		.amdhsa_wavefront_size32 1
		.amdhsa_uses_dynamic_stack 0
		.amdhsa_enable_private_segment 0
		.amdhsa_system_sgpr_workgroup_id_x 1
		.amdhsa_system_sgpr_workgroup_id_y 0
		.amdhsa_system_sgpr_workgroup_id_z 0
		.amdhsa_system_sgpr_workgroup_info 0
		.amdhsa_system_vgpr_workitem_id 0
		.amdhsa_next_free_vgpr 38
		.amdhsa_next_free_sgpr 30
		.amdhsa_named_barrier_count 0
		.amdhsa_reserve_vcc 1
		.amdhsa_float_round_mode_32 0
		.amdhsa_float_round_mode_16_64 0
		.amdhsa_float_denorm_mode_32 3
		.amdhsa_float_denorm_mode_16_64 3
		.amdhsa_fp16_overflow 0
		.amdhsa_memory_ordered 1
		.amdhsa_forward_progress 1
		.amdhsa_inst_pref_size 10
		.amdhsa_round_robin_scheduling 0
		.amdhsa_exception_fp_ieee_invalid_op 0
		.amdhsa_exception_fp_denorm_src 0
		.amdhsa_exception_fp_ieee_div_zero 0
		.amdhsa_exception_fp_ieee_overflow 0
		.amdhsa_exception_fp_ieee_underflow 0
		.amdhsa_exception_fp_ieee_inexact 0
		.amdhsa_exception_int_div_zero 0
	.end_amdhsa_kernel
	.section	.text._ZN9rocsparseL35bsr2csr_block_per_row_33_256_kernelILj1024ELj64ELj32EfllEEv20rocsparse_direction_T4_S2_21rocsparse_index_base_PKT2_PKT3_PKS2_S2_S3_PS4_PS7_PS2_,"axG",@progbits,_ZN9rocsparseL35bsr2csr_block_per_row_33_256_kernelILj1024ELj64ELj32EfllEEv20rocsparse_direction_T4_S2_21rocsparse_index_base_PKT2_PKT3_PKS2_S2_S3_PS4_PS7_PS2_,comdat
.Lfunc_end153:
	.size	_ZN9rocsparseL35bsr2csr_block_per_row_33_256_kernelILj1024ELj64ELj32EfllEEv20rocsparse_direction_T4_S2_21rocsparse_index_base_PKT2_PKT3_PKS2_S2_S3_PS4_PS7_PS2_, .Lfunc_end153-_ZN9rocsparseL35bsr2csr_block_per_row_33_256_kernelILj1024ELj64ELj32EfllEEv20rocsparse_direction_T4_S2_21rocsparse_index_base_PKT2_PKT3_PKS2_S2_S3_PS4_PS7_PS2_
                                        ; -- End function
	.set _ZN9rocsparseL35bsr2csr_block_per_row_33_256_kernelILj1024ELj64ELj32EfllEEv20rocsparse_direction_T4_S2_21rocsparse_index_base_PKT2_PKT3_PKS2_S2_S3_PS4_PS7_PS2_.num_vgpr, 38
	.set _ZN9rocsparseL35bsr2csr_block_per_row_33_256_kernelILj1024ELj64ELj32EfllEEv20rocsparse_direction_T4_S2_21rocsparse_index_base_PKT2_PKT3_PKS2_S2_S3_PS4_PS7_PS2_.num_agpr, 0
	.set _ZN9rocsparseL35bsr2csr_block_per_row_33_256_kernelILj1024ELj64ELj32EfllEEv20rocsparse_direction_T4_S2_21rocsparse_index_base_PKT2_PKT3_PKS2_S2_S3_PS4_PS7_PS2_.numbered_sgpr, 30
	.set _ZN9rocsparseL35bsr2csr_block_per_row_33_256_kernelILj1024ELj64ELj32EfllEEv20rocsparse_direction_T4_S2_21rocsparse_index_base_PKT2_PKT3_PKS2_S2_S3_PS4_PS7_PS2_.num_named_barrier, 0
	.set _ZN9rocsparseL35bsr2csr_block_per_row_33_256_kernelILj1024ELj64ELj32EfllEEv20rocsparse_direction_T4_S2_21rocsparse_index_base_PKT2_PKT3_PKS2_S2_S3_PS4_PS7_PS2_.private_seg_size, 0
	.set _ZN9rocsparseL35bsr2csr_block_per_row_33_256_kernelILj1024ELj64ELj32EfllEEv20rocsparse_direction_T4_S2_21rocsparse_index_base_PKT2_PKT3_PKS2_S2_S3_PS4_PS7_PS2_.uses_vcc, 1
	.set _ZN9rocsparseL35bsr2csr_block_per_row_33_256_kernelILj1024ELj64ELj32EfllEEv20rocsparse_direction_T4_S2_21rocsparse_index_base_PKT2_PKT3_PKS2_S2_S3_PS4_PS7_PS2_.uses_flat_scratch, 0
	.set _ZN9rocsparseL35bsr2csr_block_per_row_33_256_kernelILj1024ELj64ELj32EfllEEv20rocsparse_direction_T4_S2_21rocsparse_index_base_PKT2_PKT3_PKS2_S2_S3_PS4_PS7_PS2_.has_dyn_sized_stack, 0
	.set _ZN9rocsparseL35bsr2csr_block_per_row_33_256_kernelILj1024ELj64ELj32EfllEEv20rocsparse_direction_T4_S2_21rocsparse_index_base_PKT2_PKT3_PKS2_S2_S3_PS4_PS7_PS2_.has_recursion, 0
	.set _ZN9rocsparseL35bsr2csr_block_per_row_33_256_kernelILj1024ELj64ELj32EfllEEv20rocsparse_direction_T4_S2_21rocsparse_index_base_PKT2_PKT3_PKS2_S2_S3_PS4_PS7_PS2_.has_indirect_call, 0
	.section	.AMDGPU.csdata,"",@progbits
; Kernel info:
; codeLenInByte = 1172
; TotalNumSgprs: 32
; NumVgprs: 38
; ScratchSize: 0
; MemoryBound: 0
; FloatMode: 240
; IeeeMode: 1
; LDSByteSize: 0 bytes/workgroup (compile time only)
; SGPRBlocks: 0
; VGPRBlocks: 2
; NumSGPRsForWavesPerEU: 32
; NumVGPRsForWavesPerEU: 38
; NamedBarCnt: 0
; Occupancy: 16
; WaveLimiterHint : 1
; COMPUTE_PGM_RSRC2:SCRATCH_EN: 0
; COMPUTE_PGM_RSRC2:USER_SGPR: 2
; COMPUTE_PGM_RSRC2:TRAP_HANDLER: 0
; COMPUTE_PGM_RSRC2:TGID_X_EN: 1
; COMPUTE_PGM_RSRC2:TGID_Y_EN: 0
; COMPUTE_PGM_RSRC2:TGID_Z_EN: 0
; COMPUTE_PGM_RSRC2:TIDIG_COMP_CNT: 0
	.section	.text._ZN9rocsparseL35bsr2csr_block_per_row_33_256_kernelILj1024ELj128ELj32EfllEEv20rocsparse_direction_T4_S2_21rocsparse_index_base_PKT2_PKT3_PKS2_S2_S3_PS4_PS7_PS2_,"axG",@progbits,_ZN9rocsparseL35bsr2csr_block_per_row_33_256_kernelILj1024ELj128ELj32EfllEEv20rocsparse_direction_T4_S2_21rocsparse_index_base_PKT2_PKT3_PKS2_S2_S3_PS4_PS7_PS2_,comdat
	.globl	_ZN9rocsparseL35bsr2csr_block_per_row_33_256_kernelILj1024ELj128ELj32EfllEEv20rocsparse_direction_T4_S2_21rocsparse_index_base_PKT2_PKT3_PKS2_S2_S3_PS4_PS7_PS2_ ; -- Begin function _ZN9rocsparseL35bsr2csr_block_per_row_33_256_kernelILj1024ELj128ELj32EfllEEv20rocsparse_direction_T4_S2_21rocsparse_index_base_PKT2_PKT3_PKS2_S2_S3_PS4_PS7_PS2_
	.p2align	8
	.type	_ZN9rocsparseL35bsr2csr_block_per_row_33_256_kernelILj1024ELj128ELj32EfllEEv20rocsparse_direction_T4_S2_21rocsparse_index_base_PKT2_PKT3_PKS2_S2_S3_PS4_PS7_PS2_,@function
_ZN9rocsparseL35bsr2csr_block_per_row_33_256_kernelILj1024ELj128ELj32EfllEEv20rocsparse_direction_T4_S2_21rocsparse_index_base_PKT2_PKT3_PKS2_S2_S3_PS4_PS7_PS2_: ; @_ZN9rocsparseL35bsr2csr_block_per_row_33_256_kernelILj1024ELj128ELj32EfllEEv20rocsparse_direction_T4_S2_21rocsparse_index_base_PKT2_PKT3_PKS2_S2_S3_PS4_PS7_PS2_
; %bb.0:
	s_load_b64 s[6:7], s[0:1], 0x28
	s_bfe_u32 s2, ttmp6, 0x4000c
	s_and_b32 s3, ttmp6, 15
	s_add_co_i32 s2, s2, 1
	s_getreg_b32 s4, hwreg(HW_REG_IB_STS2, 6, 4)
	s_mul_i32 s2, ttmp9, s2
	s_mov_b32 s13, 0
	s_add_co_i32 s3, s3, s2
	s_cmp_eq_u32 s4, 0
	s_clause 0x1
	s_load_b32 s14, s[0:1], 0x40
	s_load_b64 s[4:5], s[0:1], 0x50
	s_cselect_b32 s2, ttmp9, s3
	s_mov_b32 s3, s13
	v_or_b32_e32 v1, s2, v0
	s_lshl_b64 s[8:9], s[2:3], 3
	s_mov_b32 s15, s13
	s_wait_kmcnt 0x0
	s_add_nc_u64 s[6:7], s[6:7], s[8:9]
	s_load_b128 s[8:11], s[6:7], 0x0
	s_wait_xcnt 0x0
	s_mov_b32 s6, exec_lo
	v_cmpx_eq_u32_e32 0, v1
	s_cbranch_execz .LBB154_2
; %bb.1:
	v_mov_b64_e32 v[2:3], s[14:15]
	v_mov_b32_e32 v1, 0
	global_store_b64 v1, v[2:3], s[4:5]
.LBB154_2:
	s_wait_xcnt 0x0
	s_or_b32 exec_lo, exec_lo, s6
	s_clause 0x1
	s_load_b32 s12, s[0:1], 0x18
	s_load_b64 s[16:17], s[0:1], 0x38
	v_dual_mov_b32 v9, 0 :: v_dual_lshrrev_b32 v8, 5, v0
	s_wait_kmcnt 0x0
	s_sub_nc_u64 s[18:19], s[8:9], s[12:13]
	s_sub_nc_u64 s[20:21], s[10:11], s[12:13]
	s_mul_u64 s[30:31], s[16:17], s[18:19]
	s_mul_u64 s[22:23], s[16:17], s[2:3]
	v_cmp_gt_i64_e64 s3, s[16:17], v[8:9]
	s_sub_nc_u64 s[34:35], s[20:21], s[18:19]
	s_mul_u64 s[24:25], s[30:31], s[16:17]
	s_mul_u64 s[6:7], s[34:35], s[16:17]
	s_add_nc_u64 s[24:25], s[24:25], s[14:15]
	s_lshl_b64 s[22:23], s[22:23], 3
	s_add_nc_u64 s[24:25], s[24:25], s[6:7]
	s_add_nc_u64 s[22:23], s[4:5], s[22:23]
	s_and_saveexec_b32 s2, s3
	s_cbranch_execz .LBB154_4
; %bb.3:
	v_mad_nc_u64_u32 v[2:3], v8, s6, s[24:25]
	s_delay_alu instid0(VALU_DEP_1)
	v_mad_u32 v3, v8, s7, v3
	global_store_b64 v8, v[2:3], s[22:23] offset:8 scale_offset
.LBB154_4:
	s_wait_xcnt 0x0
	s_or_b32 exec_lo, exec_lo, s2
	v_dual_mov_b32 v3, v9 :: v_dual_bitop2_b32 v2, 32, v8 bitop3:0x54
	s_delay_alu instid0(VALU_DEP_1)
	v_cmp_gt_i64_e64 s5, s[16:17], v[2:3]
	s_and_saveexec_b32 s2, s5
	s_cbranch_execz .LBB154_6
; %bb.5:
	v_mad_nc_u64_u32 v[4:5], v2, s6, s[24:25]
	s_delay_alu instid0(VALU_DEP_1)
	v_mad_u32 v5, v2, s7, v5
	global_store_b64 v8, v[4:5], s[22:23] offset:264 scale_offset
.LBB154_6:
	s_wait_xcnt 0x0
	s_or_b32 exec_lo, exec_lo, s2
	v_dual_mov_b32 v3, v9 :: v_dual_bitop2_b32 v2, 64, v8 bitop3:0x54
	s_delay_alu instid0(VALU_DEP_1)
	v_cmp_gt_i64_e64 s4, s[16:17], v[2:3]
	s_and_saveexec_b32 s2, s4
	s_cbranch_execz .LBB154_8
; %bb.7:
	v_mad_nc_u64_u32 v[4:5], v2, s6, s[24:25]
	s_delay_alu instid0(VALU_DEP_1)
	v_mad_u32 v5, v2, s7, v5
	global_store_b64 v8, v[4:5], s[22:23] offset:520 scale_offset
.LBB154_8:
	s_wait_xcnt 0x0
	s_or_b32 exec_lo, exec_lo, s2
	v_or_b32_e32 v2, 0x60, v8
	v_mov_b32_e32 v3, v9
	s_delay_alu instid0(VALU_DEP_1)
	v_cmp_gt_i64_e64 s2, s[16:17], v[2:3]
	s_and_saveexec_b32 s26, s2
	s_cbranch_execz .LBB154_10
; %bb.9:
	v_mad_nc_u64_u32 v[4:5], v2, s6, s[24:25]
	s_delay_alu instid0(VALU_DEP_1)
	v_mad_u32 v5, v2, s7, v5
	global_store_b64 v8, v[4:5], s[22:23] offset:776 scale_offset
.LBB154_10:
	s_wait_xcnt 0x0
	s_or_b32 exec_lo, exec_lo, s26
	v_cmp_lt_i64_e64 s6, s[8:9], s[10:11]
	s_and_b32 vcc_lo, exec_lo, s6
	s_cbranch_vccz .LBB154_45
; %bb.11:
	s_clause 0x2
	s_load_b64 s[24:25], s[0:1], 0x30
	s_load_b64 s[26:27], s[0:1], 0x48
	s_load_b32 s7, s[0:1], 0x0
	v_mad_nc_u64_u32 v[20:21], v8, s34, s[30:31]
	v_dual_mov_b32 v1, 0 :: v_dual_bitop2_b32 v0, 31, v0 bitop3:0x40
	s_clause 0x1
	s_load_b64 s[22:23], s[0:1], 0x20
	s_load_b64 s[28:29], s[0:1], 0x58
	v_lshlrev_b32_e32 v24, 2, v8
	v_dual_mov_b32 v3, v1 :: v_dual_bitop2_b32 v2, 32, v0 bitop3:0x54
	v_dual_mov_b32 v7, v1 :: v_dual_mov_b32 v25, v1
	v_dual_mov_b32 v5, v1 :: v_dual_bitop2_b32 v4, 64, v0 bitop3:0x54
	v_mad_u32 v21, v8, s35, v21
	v_or_b32_e32 v6, 0x60, v0
	v_dual_mov_b32 v9, v1 :: v_dual_lshlrev_b32 v8, 2, v0
	v_cmp_gt_i64_e32 vcc_lo, s[16:17], v[0:1]
	s_wait_xcnt 0x0
	v_cmp_gt_i64_e64 s1, s[16:17], v[2:3]
	v_cmp_gt_i64_e64 s6, s[16:17], v[4:5]
	s_wait_kmcnt 0x0
	s_cmp_eq_u32 s7, 0
	v_cmp_gt_i64_e64 s7, s[16:17], v[6:7]
	s_cselect_b32 s0, -1, 0
	s_lshl_b64 s[44:45], s[30:31], 2
	v_mad_nc_u64_u32 v[22:23], 0x60, s10, v[20:21]
	v_add_nc_u64_e32 v[26:27], s[44:45], v[24:25]
	s_and_b32 s38, s5, vcc_lo
	s_and_b32 s30, s5, s1
	s_and_b32 s31, s5, s6
	s_and_b32 s35, s5, s7
	s_and_b32 s39, s4, vcc_lo
	s_and_b32 s40, s4, s1
	v_mad_nc_u64_u32 v[16:17], s16, v26, v[8:9]
	s_and_b32 s41, s4, s6
	s_and_b32 s42, s4, s7
	v_mad_u32 v23, 0x60, s11, v23
	s_lshl_b64 s[4:5], s[10:11], 5
	v_add_nc_u64_e32 v[28:29], 0x180, v[26:27]
	v_add_nc_u64_e32 v[36:37], s[4:5], v[20:21]
	s_lshl_b64 s[4:5], s[10:11], 6
	v_add_nc_u64_e32 v[30:31], 0x100, v[26:27]
	v_add_nc_u64_e32 v[42:43], s[4:5], v[20:21]
	s_lshl_b64 s[4:5], s[8:9], 5
	v_add_nc_u64_e32 v[32:33], 0x80, v[26:27]
	v_mad_u32 v17, s17, v26, v17
	v_lshlrev_b32_e32 v26, 3, v0
	v_add_nc_u64_e32 v[34:35], s[44:45], v[8:9]
	s_mul_u64 s[10:11], s[8:9], 0x60
	v_sub_nc_u64_e64 v[36:37], v[36:37], s[4:5]
	s_lshl_b64 s[4:5], s[8:9], 6
	v_sub_nc_u64_e64 v[44:45], v[22:23], s[10:11]
	v_sub_nc_u64_e64 v[42:43], v[42:43], s[4:5]
	v_mul_u64_e32 v[48:49], s[16:17], v[20:21]
	v_add_nc_u64_e32 v[38:39], 0x80, v[34:35]
	v_add_nc_u64_e32 v[40:41], 0x100, v[34:35]
	;; [unrolled: 1-line block ×3, first 2 shown]
	v_mul_u64_e32 v[36:37], s[16:17], v[36:37]
	v_mul_u64_e32 v[44:45], s[16:17], v[44:45]
	;; [unrolled: 1-line block ×3, first 2 shown]
	v_mad_nc_u64_u32 v[10:11], s16, v28, v[8:9]
	v_mad_nc_u64_u32 v[12:13], s16, v30, v[8:9]
	;; [unrolled: 1-line block ×7, first 2 shown]
	v_mad_u32 v17, s16, v27, v17
	s_and_b32 s36, s3, s6
	s_and_b32 s37, s3, s7
	s_and_b32 s44, s2, s6
	v_mad_u32 v11, s17, v28, v11
	v_mad_u32 v13, s17, v30, v13
	v_mad_u32 v15, s17, v32, v15
	v_mad_u32 v19, s17, v34, v19
	v_mad_u32 v21, s17, v38, v21
	v_mad_u32 v23, s17, v40, v23
	v_mad_u32 v25, s17, v46, v25
	s_and_b32 s45, s2, s7
	s_lshl_b64 s[4:5], s[8:9], 3
	s_lshl_b64 s[6:7], s[12:13], 3
	v_mov_b32_e32 v27, v1
	v_mad_u32 v11, s16, v29, v11
	v_mad_u32 v13, s16, v31, v13
	;; [unrolled: 1-line block ×7, first 2 shown]
	v_lshl_add_u64 v[28:29], v[48:49], 3, s[28:29]
	v_lshl_add_u64 v[30:31], v[48:49], 2, s[26:27]
	;; [unrolled: 1-line block ×8, first 2 shown]
	s_and_b32 s33, s3, vcc_lo
	s_and_b32 s34, s3, s1
	s_and_b32 s43, s2, vcc_lo
	s_and_b32 s1, s2, s1
	s_mul_u64 s[2:3], s[16:17], s[16:17]
	s_sub_nc_u64 s[4:5], s[4:5], s[6:7]
	s_lshl_b64 s[2:3], s[2:3], 2
	s_add_nc_u64 s[4:5], s[24:25], s[4:5]
	s_lshl_b64 s[6:7], s[16:17], 3
	s_lshl_b64 s[8:9], s[16:17], 2
	s_branch .LBB154_13
.LBB154_12:                             ;   in Loop: Header=BB154_13 Depth=1
	s_wait_xcnt 0x0
	s_or_b32 exec_lo, exec_lo, s10
	s_add_nc_u64 s[18:19], s[18:19], 1
	v_add_nc_u64_e32 v[28:29], s[6:7], v[28:29]
	v_cmp_ge_i64_e64 s10, s[18:19], s[20:21]
	v_add_nc_u64_e32 v[30:31], s[8:9], v[30:31]
	v_add_nc_u64_e32 v[32:33], s[8:9], v[32:33]
	;; [unrolled: 1-line block ×7, first 2 shown]
	s_add_nc_u64 s[22:23], s[22:23], s[2:3]
	s_and_b32 vcc_lo, exec_lo, s10
	s_add_nc_u64 s[4:5], s[4:5], 8
	s_cbranch_vccnz .LBB154_45
.LBB154_13:                             ; =>This Inner Loop Header: Depth=1
	s_load_b64 s[10:11], s[4:5], 0x0
	v_add_nc_u64_e32 v[60:61], v[28:29], v[26:27]
	v_add_nc_u64_e32 v[62:63], v[30:31], v[8:9]
	;; [unrolled: 1-line block ×4, first 2 shown]
	s_wait_kmcnt 0x0
	s_sub_nc_u64 s[10:11], s[10:11], s[12:13]
	s_delay_alu instid0(SALU_CYCLE_1) | instskip(NEXT) | instid1(SALU_CYCLE_1)
	s_mul_u64 s[10:11], s[10:11], s[16:17]
	s_add_nc_u64 s[10:11], s[10:11], s[14:15]
	s_delay_alu instid0(SALU_CYCLE_1)
	v_add_nc_u64_e32 v[46:47], s[10:11], v[0:1]
	s_and_saveexec_b32 s24, s33
	s_cbranch_execz .LBB154_15
; %bb.14:                               ;   in Loop: Header=BB154_13 Depth=1
	v_dual_cndmask_b32 v45, v55, v65, s0 :: v_dual_cndmask_b32 v44, v54, v64, s0
	global_load_b32 v44, v[44:45], off
	global_store_b64 v[60:61], v[46:47], off
	s_wait_loadcnt 0x0
	global_store_b32 v[62:63], v44, off
.LBB154_15:                             ;   in Loop: Header=BB154_13 Depth=1
	s_wait_xcnt 0x0
	s_or_b32 exec_lo, exec_lo, s24
	v_add_nc_u64_e32 v[44:45], s[10:11], v[2:3]
	v_add_nc_u64_e32 v[52:53], s[22:23], v[20:21]
	s_and_saveexec_b32 s24, s34
	s_cbranch_execz .LBB154_17
; %bb.16:                               ;   in Loop: Header=BB154_13 Depth=1
	v_add_nc_u64_e32 v[48:49], 0x80, v[64:65]
	s_delay_alu instid0(VALU_DEP_1)
	v_dual_cndmask_b32 v49, v53, v49, s0 :: v_dual_cndmask_b32 v48, v52, v48, s0
	global_load_b32 v48, v[48:49], off
	global_store_b64 v[60:61], v[44:45], off offset:256
	s_wait_loadcnt 0x0
	global_store_b32 v[62:63], v48, off offset:128
.LBB154_17:                             ;   in Loop: Header=BB154_13 Depth=1
	s_wait_xcnt 0x0
	s_or_b32 exec_lo, exec_lo, s24
	v_add_nc_u64_e32 v[48:49], s[10:11], v[4:5]
	v_add_nc_u64_e32 v[56:57], s[22:23], v[22:23]
	s_and_saveexec_b32 s24, s36
	s_cbranch_execz .LBB154_19
; %bb.18:                               ;   in Loop: Header=BB154_13 Depth=1
	v_add_nc_u64_e32 v[50:51], 0x100, v[64:65]
	s_delay_alu instid0(VALU_DEP_1)
	v_dual_cndmask_b32 v51, v57, v51, s0 :: v_dual_cndmask_b32 v50, v56, v50, s0
	global_load_b32 v50, v[50:51], off
	global_store_b64 v[60:61], v[48:49], off offset:512
	s_wait_loadcnt 0x0
	global_store_b32 v[62:63], v50, off offset:256
.LBB154_19:                             ;   in Loop: Header=BB154_13 Depth=1
	;; [unrolled: 15-line block ×3, first 2 shown]
	s_wait_xcnt 0x0
	s_or_b32 exec_lo, exec_lo, s10
	v_add_nc_u64_e32 v[60:61], v[34:35], v[26:27]
	v_add_nc_u64_e32 v[62:63], v[32:33], v[8:9]
	;; [unrolled: 1-line block ×3, first 2 shown]
	s_and_saveexec_b32 s10, s38
	s_cbranch_execnz .LBB154_35
; %bb.22:                               ;   in Loop: Header=BB154_13 Depth=1
	s_or_b32 exec_lo, exec_lo, s10
	s_and_saveexec_b32 s10, s30
	s_cbranch_execnz .LBB154_36
.LBB154_23:                             ;   in Loop: Header=BB154_13 Depth=1
	s_or_b32 exec_lo, exec_lo, s10
	s_and_saveexec_b32 s10, s31
	s_cbranch_execnz .LBB154_37
.LBB154_24:                             ;   in Loop: Header=BB154_13 Depth=1
	s_or_b32 exec_lo, exec_lo, s10
	s_and_saveexec_b32 s10, s35
	s_cbranch_execz .LBB154_26
.LBB154_25:                             ;   in Loop: Header=BB154_13 Depth=1
	v_add_nc_u64_e32 v[64:65], 0x180, v[64:65]
	v_add_nc_u64_e32 v[66:67], 0x80, v[58:59]
	s_delay_alu instid0(VALU_DEP_1)
	v_dual_cndmask_b32 v65, v67, v65, s0 :: v_dual_cndmask_b32 v64, v66, v64, s0
	global_load_b32 v64, v[64:65], off
	global_store_b64 v[60:61], v[50:51], off offset:768
	s_wait_loadcnt 0x0
	global_store_b32 v[62:63], v64, off offset:384
.LBB154_26:                             ;   in Loop: Header=BB154_13 Depth=1
	s_wait_xcnt 0x0
	s_or_b32 exec_lo, exec_lo, s10
	v_add_nc_u64_e32 v[60:61], v[42:43], v[26:27]
	v_add_nc_u64_e32 v[62:63], v[40:41], v[8:9]
	;; [unrolled: 1-line block ×3, first 2 shown]
	s_and_saveexec_b32 s10, s39
	s_cbranch_execnz .LBB154_38
; %bb.27:                               ;   in Loop: Header=BB154_13 Depth=1
	s_or_b32 exec_lo, exec_lo, s10
	s_and_saveexec_b32 s10, s40
	s_cbranch_execnz .LBB154_39
.LBB154_28:                             ;   in Loop: Header=BB154_13 Depth=1
	s_or_b32 exec_lo, exec_lo, s10
	s_and_saveexec_b32 s10, s41
	s_cbranch_execnz .LBB154_40
.LBB154_29:                             ;   in Loop: Header=BB154_13 Depth=1
	s_or_b32 exec_lo, exec_lo, s10
	s_and_saveexec_b32 s10, s42
	s_cbranch_execz .LBB154_31
.LBB154_30:                             ;   in Loop: Header=BB154_13 Depth=1
	v_add_nc_u64_e32 v[64:65], 0x180, v[64:65]
	v_add_nc_u64_e32 v[66:67], 0x100, v[58:59]
	s_delay_alu instid0(VALU_DEP_1)
	v_dual_cndmask_b32 v65, v67, v65, s0 :: v_dual_cndmask_b32 v64, v66, v64, s0
	global_load_b32 v64, v[64:65], off
	global_store_b64 v[60:61], v[50:51], off offset:768
	s_wait_loadcnt 0x0
	global_store_b32 v[62:63], v64, off offset:384
.LBB154_31:                             ;   in Loop: Header=BB154_13 Depth=1
	s_wait_xcnt 0x0
	s_or_b32 exec_lo, exec_lo, s10
	v_add_nc_u64_e32 v[60:61], v[36:37], v[26:27]
	v_add_nc_u64_e32 v[62:63], v[38:39], v[8:9]
	;; [unrolled: 1-line block ×3, first 2 shown]
	s_and_saveexec_b32 s10, s43
	s_cbranch_execnz .LBB154_41
; %bb.32:                               ;   in Loop: Header=BB154_13 Depth=1
	s_or_b32 exec_lo, exec_lo, s10
	s_and_saveexec_b32 s10, s1
	s_cbranch_execnz .LBB154_42
.LBB154_33:                             ;   in Loop: Header=BB154_13 Depth=1
	s_or_b32 exec_lo, exec_lo, s10
	s_and_saveexec_b32 s10, s44
	s_cbranch_execnz .LBB154_43
.LBB154_34:                             ;   in Loop: Header=BB154_13 Depth=1
	s_or_b32 exec_lo, exec_lo, s10
	s_and_saveexec_b32 s10, s45
	s_cbranch_execz .LBB154_12
	s_branch .LBB154_44
.LBB154_35:                             ;   in Loop: Header=BB154_13 Depth=1
	v_add_nc_u64_e32 v[66:67], 0x80, v[54:55]
	s_delay_alu instid0(VALU_DEP_1)
	v_dual_cndmask_b32 v67, v67, v65, s0 :: v_dual_cndmask_b32 v66, v66, v64, s0
	global_load_b32 v66, v[66:67], off
	global_store_b64 v[60:61], v[46:47], off
	s_wait_loadcnt 0x0
	global_store_b32 v[62:63], v66, off
	s_wait_xcnt 0x0
	s_or_b32 exec_lo, exec_lo, s10
	s_and_saveexec_b32 s10, s30
	s_cbranch_execz .LBB154_23
.LBB154_36:                             ;   in Loop: Header=BB154_13 Depth=1
	s_delay_alu instid0(VALU_DEP_1)
	v_dual_cndmask_b32 v67, v53, v65, s0 :: v_dual_cndmask_b32 v66, v52, v64, s0
	global_load_b32 v66, v[66:67], off offset:128
	global_store_b64 v[60:61], v[44:45], off offset:256
	s_wait_loadcnt 0x0
	global_store_b32 v[62:63], v66, off offset:128
	s_wait_xcnt 0x0
	s_or_b32 exec_lo, exec_lo, s10
	s_and_saveexec_b32 s10, s31
	s_cbranch_execz .LBB154_24
.LBB154_37:                             ;   in Loop: Header=BB154_13 Depth=1
	v_add_nc_u64_e32 v[66:67], 0x100, v[64:65]
	v_add_nc_u64_e32 v[68:69], 0x80, v[56:57]
	s_delay_alu instid0(VALU_DEP_1)
	v_dual_cndmask_b32 v67, v69, v67, s0 :: v_dual_cndmask_b32 v66, v68, v66, s0
	global_load_b32 v66, v[66:67], off
	global_store_b64 v[60:61], v[48:49], off offset:512
	s_wait_loadcnt 0x0
	global_store_b32 v[62:63], v66, off offset:256
	s_wait_xcnt 0x0
	s_or_b32 exec_lo, exec_lo, s10
	s_and_saveexec_b32 s10, s35
	s_cbranch_execnz .LBB154_25
	s_branch .LBB154_26
.LBB154_38:                             ;   in Loop: Header=BB154_13 Depth=1
	v_add_nc_u64_e32 v[66:67], 0x100, v[54:55]
	s_delay_alu instid0(VALU_DEP_1)
	v_dual_cndmask_b32 v67, v67, v65, s0 :: v_dual_cndmask_b32 v66, v66, v64, s0
	global_load_b32 v66, v[66:67], off
	global_store_b64 v[60:61], v[46:47], off
	s_wait_loadcnt 0x0
	global_store_b32 v[62:63], v66, off
	s_wait_xcnt 0x0
	s_or_b32 exec_lo, exec_lo, s10
	s_and_saveexec_b32 s10, s40
	s_cbranch_execz .LBB154_28
.LBB154_39:                             ;   in Loop: Header=BB154_13 Depth=1
	s_delay_alu instid0(VALU_DEP_1) | instskip(SKIP_1) | instid1(VALU_DEP_1)
	v_add_nc_u64_e32 v[66:67], 0x80, v[64:65]
	v_add_nc_u64_e32 v[68:69], 0x100, v[52:53]
	v_dual_cndmask_b32 v67, v69, v67, s0 :: v_dual_cndmask_b32 v66, v68, v66, s0
	global_load_b32 v66, v[66:67], off
	global_store_b64 v[60:61], v[44:45], off offset:256
	s_wait_loadcnt 0x0
	global_store_b32 v[62:63], v66, off offset:128
	s_wait_xcnt 0x0
	s_or_b32 exec_lo, exec_lo, s10
	s_and_saveexec_b32 s10, s41
	s_cbranch_execz .LBB154_29
.LBB154_40:                             ;   in Loop: Header=BB154_13 Depth=1
	v_dual_cndmask_b32 v67, v57, v65, s0 :: v_dual_cndmask_b32 v66, v56, v64, s0
	global_load_b32 v66, v[66:67], off offset:256
	global_store_b64 v[60:61], v[48:49], off offset:512
	s_wait_loadcnt 0x0
	global_store_b32 v[62:63], v66, off offset:256
	s_wait_xcnt 0x0
	s_or_b32 exec_lo, exec_lo, s10
	s_and_saveexec_b32 s10, s42
	s_cbranch_execnz .LBB154_30
	s_branch .LBB154_31
.LBB154_41:                             ;   in Loop: Header=BB154_13 Depth=1
	v_add_nc_u64_e32 v[54:55], 0x180, v[54:55]
	s_delay_alu instid0(VALU_DEP_1)
	v_dual_cndmask_b32 v55, v55, v65, s0 :: v_dual_cndmask_b32 v54, v54, v64, s0
	global_load_b32 v54, v[54:55], off
	global_store_b64 v[60:61], v[46:47], off
	s_wait_loadcnt 0x0
	global_store_b32 v[62:63], v54, off
	s_wait_xcnt 0x0
	s_or_b32 exec_lo, exec_lo, s10
	s_and_saveexec_b32 s10, s1
	s_cbranch_execz .LBB154_33
.LBB154_42:                             ;   in Loop: Header=BB154_13 Depth=1
	s_delay_alu instid0(VALU_DEP_1) | instskip(SKIP_1) | instid1(VALU_DEP_1)
	v_add_nc_u64_e32 v[46:47], 0x80, v[64:65]
	v_add_nc_u64_e32 v[52:53], 0x180, v[52:53]
	v_dual_cndmask_b32 v47, v53, v47, s0 :: v_dual_cndmask_b32 v46, v52, v46, s0
	global_load_b32 v46, v[46:47], off
	global_store_b64 v[60:61], v[44:45], off offset:256
	s_wait_loadcnt 0x0
	global_store_b32 v[62:63], v46, off offset:128
	s_wait_xcnt 0x0
	s_or_b32 exec_lo, exec_lo, s10
	s_and_saveexec_b32 s10, s44
	s_cbranch_execz .LBB154_34
.LBB154_43:                             ;   in Loop: Header=BB154_13 Depth=1
	v_add_nc_u64_e32 v[44:45], 0x100, v[64:65]
	v_add_nc_u64_e32 v[46:47], 0x180, v[56:57]
	s_delay_alu instid0(VALU_DEP_1)
	v_dual_cndmask_b32 v45, v47, v45, s0 :: v_dual_cndmask_b32 v44, v46, v44, s0
	global_load_b32 v44, v[44:45], off
	global_store_b64 v[60:61], v[48:49], off offset:512
	s_wait_loadcnt 0x0
	global_store_b32 v[62:63], v44, off offset:256
	s_wait_xcnt 0x0
	s_or_b32 exec_lo, exec_lo, s10
	s_and_saveexec_b32 s10, s45
	s_cbranch_execz .LBB154_12
.LBB154_44:                             ;   in Loop: Header=BB154_13 Depth=1
	v_dual_cndmask_b32 v45, v59, v65, s0 :: v_dual_cndmask_b32 v44, v58, v64, s0
	global_load_b32 v44, v[44:45], off offset:384
	global_store_b64 v[60:61], v[50:51], off offset:768
	s_wait_loadcnt 0x0
	global_store_b32 v[62:63], v44, off offset:384
	s_branch .LBB154_12
.LBB154_45:
	s_sendmsg sendmsg(MSG_DEALLOC_VGPRS)
	s_endpgm
	.section	.rodata,"a",@progbits
	.p2align	6, 0x0
	.amdhsa_kernel _ZN9rocsparseL35bsr2csr_block_per_row_33_256_kernelILj1024ELj128ELj32EfllEEv20rocsparse_direction_T4_S2_21rocsparse_index_base_PKT2_PKT3_PKS2_S2_S3_PS4_PS7_PS2_
		.amdhsa_group_segment_fixed_size 0
		.amdhsa_private_segment_fixed_size 0
		.amdhsa_kernarg_size 96
		.amdhsa_user_sgpr_count 2
		.amdhsa_user_sgpr_dispatch_ptr 0
		.amdhsa_user_sgpr_queue_ptr 0
		.amdhsa_user_sgpr_kernarg_segment_ptr 1
		.amdhsa_user_sgpr_dispatch_id 0
		.amdhsa_user_sgpr_kernarg_preload_length 0
		.amdhsa_user_sgpr_kernarg_preload_offset 0
		.amdhsa_user_sgpr_private_segment_size 0
		.amdhsa_wavefront_size32 1
		.amdhsa_uses_dynamic_stack 0
		.amdhsa_enable_private_segment 0
		.amdhsa_system_sgpr_workgroup_id_x 1
		.amdhsa_system_sgpr_workgroup_id_y 0
		.amdhsa_system_sgpr_workgroup_id_z 0
		.amdhsa_system_sgpr_workgroup_info 0
		.amdhsa_system_vgpr_workitem_id 0
		.amdhsa_next_free_vgpr 70
		.amdhsa_next_free_sgpr 46
		.amdhsa_named_barrier_count 0
		.amdhsa_reserve_vcc 1
		.amdhsa_float_round_mode_32 0
		.amdhsa_float_round_mode_16_64 0
		.amdhsa_float_denorm_mode_32 3
		.amdhsa_float_denorm_mode_16_64 3
		.amdhsa_fp16_overflow 0
		.amdhsa_memory_ordered 1
		.amdhsa_forward_progress 1
		.amdhsa_inst_pref_size 22
		.amdhsa_round_robin_scheduling 0
		.amdhsa_exception_fp_ieee_invalid_op 0
		.amdhsa_exception_fp_denorm_src 0
		.amdhsa_exception_fp_ieee_div_zero 0
		.amdhsa_exception_fp_ieee_overflow 0
		.amdhsa_exception_fp_ieee_underflow 0
		.amdhsa_exception_fp_ieee_inexact 0
		.amdhsa_exception_int_div_zero 0
	.end_amdhsa_kernel
	.section	.text._ZN9rocsparseL35bsr2csr_block_per_row_33_256_kernelILj1024ELj128ELj32EfllEEv20rocsparse_direction_T4_S2_21rocsparse_index_base_PKT2_PKT3_PKS2_S2_S3_PS4_PS7_PS2_,"axG",@progbits,_ZN9rocsparseL35bsr2csr_block_per_row_33_256_kernelILj1024ELj128ELj32EfllEEv20rocsparse_direction_T4_S2_21rocsparse_index_base_PKT2_PKT3_PKS2_S2_S3_PS4_PS7_PS2_,comdat
.Lfunc_end154:
	.size	_ZN9rocsparseL35bsr2csr_block_per_row_33_256_kernelILj1024ELj128ELj32EfllEEv20rocsparse_direction_T4_S2_21rocsparse_index_base_PKT2_PKT3_PKS2_S2_S3_PS4_PS7_PS2_, .Lfunc_end154-_ZN9rocsparseL35bsr2csr_block_per_row_33_256_kernelILj1024ELj128ELj32EfllEEv20rocsparse_direction_T4_S2_21rocsparse_index_base_PKT2_PKT3_PKS2_S2_S3_PS4_PS7_PS2_
                                        ; -- End function
	.set _ZN9rocsparseL35bsr2csr_block_per_row_33_256_kernelILj1024ELj128ELj32EfllEEv20rocsparse_direction_T4_S2_21rocsparse_index_base_PKT2_PKT3_PKS2_S2_S3_PS4_PS7_PS2_.num_vgpr, 70
	.set _ZN9rocsparseL35bsr2csr_block_per_row_33_256_kernelILj1024ELj128ELj32EfllEEv20rocsparse_direction_T4_S2_21rocsparse_index_base_PKT2_PKT3_PKS2_S2_S3_PS4_PS7_PS2_.num_agpr, 0
	.set _ZN9rocsparseL35bsr2csr_block_per_row_33_256_kernelILj1024ELj128ELj32EfllEEv20rocsparse_direction_T4_S2_21rocsparse_index_base_PKT2_PKT3_PKS2_S2_S3_PS4_PS7_PS2_.numbered_sgpr, 46
	.set _ZN9rocsparseL35bsr2csr_block_per_row_33_256_kernelILj1024ELj128ELj32EfllEEv20rocsparse_direction_T4_S2_21rocsparse_index_base_PKT2_PKT3_PKS2_S2_S3_PS4_PS7_PS2_.num_named_barrier, 0
	.set _ZN9rocsparseL35bsr2csr_block_per_row_33_256_kernelILj1024ELj128ELj32EfllEEv20rocsparse_direction_T4_S2_21rocsparse_index_base_PKT2_PKT3_PKS2_S2_S3_PS4_PS7_PS2_.private_seg_size, 0
	.set _ZN9rocsparseL35bsr2csr_block_per_row_33_256_kernelILj1024ELj128ELj32EfllEEv20rocsparse_direction_T4_S2_21rocsparse_index_base_PKT2_PKT3_PKS2_S2_S3_PS4_PS7_PS2_.uses_vcc, 1
	.set _ZN9rocsparseL35bsr2csr_block_per_row_33_256_kernelILj1024ELj128ELj32EfllEEv20rocsparse_direction_T4_S2_21rocsparse_index_base_PKT2_PKT3_PKS2_S2_S3_PS4_PS7_PS2_.uses_flat_scratch, 0
	.set _ZN9rocsparseL35bsr2csr_block_per_row_33_256_kernelILj1024ELj128ELj32EfllEEv20rocsparse_direction_T4_S2_21rocsparse_index_base_PKT2_PKT3_PKS2_S2_S3_PS4_PS7_PS2_.has_dyn_sized_stack, 0
	.set _ZN9rocsparseL35bsr2csr_block_per_row_33_256_kernelILj1024ELj128ELj32EfllEEv20rocsparse_direction_T4_S2_21rocsparse_index_base_PKT2_PKT3_PKS2_S2_S3_PS4_PS7_PS2_.has_recursion, 0
	.set _ZN9rocsparseL35bsr2csr_block_per_row_33_256_kernelILj1024ELj128ELj32EfllEEv20rocsparse_direction_T4_S2_21rocsparse_index_base_PKT2_PKT3_PKS2_S2_S3_PS4_PS7_PS2_.has_indirect_call, 0
	.section	.AMDGPU.csdata,"",@progbits
; Kernel info:
; codeLenInByte = 2792
; TotalNumSgprs: 48
; NumVgprs: 70
; ScratchSize: 0
; MemoryBound: 0
; FloatMode: 240
; IeeeMode: 1
; LDSByteSize: 0 bytes/workgroup (compile time only)
; SGPRBlocks: 0
; VGPRBlocks: 4
; NumSGPRsForWavesPerEU: 48
; NumVGPRsForWavesPerEU: 70
; NamedBarCnt: 0
; Occupancy: 12
; WaveLimiterHint : 1
; COMPUTE_PGM_RSRC2:SCRATCH_EN: 0
; COMPUTE_PGM_RSRC2:USER_SGPR: 2
; COMPUTE_PGM_RSRC2:TRAP_HANDLER: 0
; COMPUTE_PGM_RSRC2:TGID_X_EN: 1
; COMPUTE_PGM_RSRC2:TGID_Y_EN: 0
; COMPUTE_PGM_RSRC2:TGID_Z_EN: 0
; COMPUTE_PGM_RSRC2:TIDIG_COMP_CNT: 0
	.section	.text._ZN9rocsparseL35bsr2csr_block_per_row_33_256_kernelILj1024ELj256ELj32EfllEEv20rocsparse_direction_T4_S2_21rocsparse_index_base_PKT2_PKT3_PKS2_S2_S3_PS4_PS7_PS2_,"axG",@progbits,_ZN9rocsparseL35bsr2csr_block_per_row_33_256_kernelILj1024ELj256ELj32EfllEEv20rocsparse_direction_T4_S2_21rocsparse_index_base_PKT2_PKT3_PKS2_S2_S3_PS4_PS7_PS2_,comdat
	.globl	_ZN9rocsparseL35bsr2csr_block_per_row_33_256_kernelILj1024ELj256ELj32EfllEEv20rocsparse_direction_T4_S2_21rocsparse_index_base_PKT2_PKT3_PKS2_S2_S3_PS4_PS7_PS2_ ; -- Begin function _ZN9rocsparseL35bsr2csr_block_per_row_33_256_kernelILj1024ELj256ELj32EfllEEv20rocsparse_direction_T4_S2_21rocsparse_index_base_PKT2_PKT3_PKS2_S2_S3_PS4_PS7_PS2_
	.p2align	8
	.type	_ZN9rocsparseL35bsr2csr_block_per_row_33_256_kernelILj1024ELj256ELj32EfllEEv20rocsparse_direction_T4_S2_21rocsparse_index_base_PKT2_PKT3_PKS2_S2_S3_PS4_PS7_PS2_,@function
_ZN9rocsparseL35bsr2csr_block_per_row_33_256_kernelILj1024ELj256ELj32EfllEEv20rocsparse_direction_T4_S2_21rocsparse_index_base_PKT2_PKT3_PKS2_S2_S3_PS4_PS7_PS2_: ; @_ZN9rocsparseL35bsr2csr_block_per_row_33_256_kernelILj1024ELj256ELj32EfllEEv20rocsparse_direction_T4_S2_21rocsparse_index_base_PKT2_PKT3_PKS2_S2_S3_PS4_PS7_PS2_
; %bb.0:
	s_load_b64 s[6:7], s[0:1], 0x28
	s_bfe_u32 s2, ttmp6, 0x4000c
	s_and_b32 s3, ttmp6, 15
	s_add_co_i32 s2, s2, 1
	s_getreg_b32 s4, hwreg(HW_REG_IB_STS2, 6, 4)
	s_mul_i32 s2, ttmp9, s2
	s_mov_b32 s17, 0
	s_add_co_i32 s3, s3, s2
	s_cmp_eq_u32 s4, 0
	s_clause 0x1
	s_load_b32 s18, s[0:1], 0x40
	s_load_b64 s[4:5], s[0:1], 0x50
	s_cselect_b32 s2, ttmp9, s3
	s_mov_b32 s3, s17
	v_or_b32_e32 v1, s2, v0
	s_lshl_b64 s[8:9], s[2:3], 3
	s_mov_b32 s19, s17
	s_wait_kmcnt 0x0
	s_add_nc_u64 s[6:7], s[6:7], s[8:9]
	s_load_b128 s[12:15], s[6:7], 0x0
	s_wait_xcnt 0x0
	s_mov_b32 s6, exec_lo
	v_cmpx_eq_u32_e32 0, v1
	s_cbranch_execz .LBB155_2
; %bb.1:
	v_mov_b64_e32 v[2:3], s[18:19]
	v_mov_b32_e32 v1, 0
	global_store_b64 v1, v[2:3], s[4:5]
.LBB155_2:
	s_wait_xcnt 0x0
	s_or_b32 exec_lo, exec_lo, s6
	s_clause 0x1
	s_load_b32 s16, s[0:1], 0x18
	s_load_b64 s[20:21], s[0:1], 0x38
	v_dual_mov_b32 v51, 0 :: v_dual_lshrrev_b32 v50, 5, v0
	s_wait_kmcnt 0x0
	s_sub_nc_u64 s[22:23], s[12:13], s[16:17]
	s_sub_nc_u64 s[24:25], s[14:15], s[16:17]
	s_mul_u64 s[8:9], s[20:21], s[22:23]
	s_mul_u64 s[6:7], s[20:21], s[2:3]
	v_cmp_gt_i64_e64 s2, s[20:21], v[50:51]
	s_sub_nc_u64 s[42:43], s[24:25], s[22:23]
	s_mul_u64 s[8:9], s[8:9], s[20:21]
	s_mul_u64 s[10:11], s[42:43], s[20:21]
	s_add_nc_u64 s[8:9], s[8:9], s[18:19]
	s_lshl_b64 s[6:7], s[6:7], 3
	s_add_nc_u64 s[28:29], s[8:9], s[10:11]
	s_add_nc_u64 s[26:27], s[4:5], s[6:7]
	s_and_saveexec_b32 s3, s2
	s_cbranch_execz .LBB155_4
; %bb.3:
	v_mad_nc_u64_u32 v[2:3], v50, s10, s[28:29]
	s_delay_alu instid0(VALU_DEP_1)
	v_mad_u32 v3, v50, s11, v3
	global_store_b64 v50, v[2:3], s[26:27] offset:8 scale_offset
.LBB155_4:
	s_wait_xcnt 0x0
	s_or_b32 exec_lo, exec_lo, s3
	v_dual_mov_b32 v3, v51 :: v_dual_bitop2_b32 v2, 32, v50 bitop3:0x54
	s_delay_alu instid0(VALU_DEP_1)
	v_cmp_gt_i64_e64 s3, s[20:21], v[2:3]
	s_and_saveexec_b32 s4, s3
	s_cbranch_execz .LBB155_6
; %bb.5:
	v_mad_nc_u64_u32 v[4:5], v2, s10, s[28:29]
	s_delay_alu instid0(VALU_DEP_1)
	v_mad_u32 v5, v2, s11, v5
	global_store_b64 v50, v[4:5], s[26:27] offset:264 scale_offset
.LBB155_6:
	s_wait_xcnt 0x0
	s_or_b32 exec_lo, exec_lo, s4
	v_dual_mov_b32 v3, v51 :: v_dual_bitop2_b32 v2, 64, v50 bitop3:0x54
	s_delay_alu instid0(VALU_DEP_1)
	v_cmp_gt_i64_e64 s4, s[20:21], v[2:3]
	s_and_saveexec_b32 s5, s4
	s_cbranch_execz .LBB155_8
; %bb.7:
	v_mad_nc_u64_u32 v[4:5], v2, s10, s[28:29]
	s_delay_alu instid0(VALU_DEP_1)
	v_mad_u32 v5, v2, s11, v5
	global_store_b64 v50, v[4:5], s[26:27] offset:520 scale_offset
.LBB155_8:
	s_wait_xcnt 0x0
	s_or_b32 exec_lo, exec_lo, s5
	v_or_b32_e32 v2, 0x60, v50
	v_mov_b32_e32 v3, v51
	s_delay_alu instid0(VALU_DEP_1)
	v_cmp_gt_i64_e64 s5, s[20:21], v[2:3]
	s_and_saveexec_b32 s6, s5
	s_cbranch_execz .LBB155_10
; %bb.9:
	v_mad_nc_u64_u32 v[4:5], v2, s10, s[28:29]
	s_delay_alu instid0(VALU_DEP_1)
	v_mad_u32 v5, v2, s11, v5
	global_store_b64 v50, v[4:5], s[26:27] offset:776 scale_offset
.LBB155_10:
	s_wait_xcnt 0x0
	s_or_b32 exec_lo, exec_lo, s6
	v_or_b32_e32 v2, 0x80, v50
	v_mov_b32_e32 v3, v51
	;; [unrolled: 14-line block ×5, first 2 shown]
	s_delay_alu instid0(VALU_DEP_1)
	v_cmp_gt_i64_e64 s9, s[20:21], v[2:3]
	s_and_saveexec_b32 s30, s9
	s_cbranch_execz .LBB155_18
; %bb.17:
	v_mad_nc_u64_u32 v[4:5], v2, s10, s[28:29]
	s_delay_alu instid0(VALU_DEP_1)
	v_mad_u32 v5, v2, s11, v5
	global_store_b64 v50, v[4:5], s[26:27] offset:1800 scale_offset
.LBB155_18:
	s_wait_xcnt 0x0
	s_or_b32 exec_lo, exec_lo, s30
	v_cmp_lt_i64_e64 s10, s[12:13], s[14:15]
	s_and_b32 vcc_lo, exec_lo, s10
	s_cbranch_vccz .LBB155_149
; %bb.19:
	v_dual_mov_b32 v1, 0 :: v_dual_bitop2_b32 v2, 31, v0 bitop3:0x40
	v_mul_u64_e32 v[4:5], s[42:43], v[50:51]
	s_clause 0x4
	s_load_b64 s[28:29], s[0:1], 0x20
	s_load_b64 s[30:31], s[0:1], 0x30
	;; [unrolled: 1-line block ×3, first 2 shown]
	s_load_b32 s15, s[0:1], 0x0
	s_load_b64 s[26:27], s[0:1], 0x58
	v_dual_mov_b32 v3, v1 :: v_dual_bitop2_b32 v10, 32, v2 bitop3:0x54
	v_mul_u64_e32 v[8:9], s[20:21], v[50:51]
	v_dual_mov_b32 v11, v1 :: v_dual_bitop2_b32 v12, 64, v2 bitop3:0x54
	s_delay_alu instid0(VALU_DEP_3)
	v_mul_u64_e32 v[6:7], s[20:21], v[2:3]
	v_dual_mov_b32 v13, v1 :: v_dual_mov_b32 v15, v1
	v_or_b32_e32 v14, 0x60, v2
	v_or_b32_e32 v16, 0x80, v2
	v_dual_mov_b32 v17, v1 :: v_dual_mov_b32 v19, v1
	v_or_b32_e32 v18, 0xa0, v2
	v_or_b32_e32 v20, 0xc0, v2
	v_dual_mov_b32 v21, v1 :: v_dual_mov_b32 v23, v1
	v_or_b32_e32 v22, 0xe0, v2
	v_cmp_gt_i64_e32 vcc_lo, s[20:21], v[2:3]
	s_wait_kmcnt 0x0
	s_cmp_eq_u32 s15, 0
	v_cmp_gt_i64_e64 s1, s[20:21], v[10:11]
	s_cselect_b32 s0, -1, 0
	s_lshl_b64 s[96:97], s[42:43], 5
	s_lshl_b64 s[40:41], s[20:21], 5
	v_cmp_gt_i64_e64 s10, s[20:21], v[12:13]
	v_cmp_gt_i64_e64 s11, s[20:21], v[14:15]
	;; [unrolled: 1-line block ×6, first 2 shown]
	v_add_nc_u64_e32 v[30:31], s[96:97], v[4:5]
	v_dual_mov_b32 v51, v1 :: v_dual_lshlrev_b32 v50, 2, v50
	s_mul_u64 s[36:37], s[20:21], s[20:21]
	s_and_b32 s33, s2, vcc_lo
	s_mul_u64 s[38:39], s[22:23], s[36:37]
	s_and_b32 s44, s2, s1
	s_delay_alu instid0(VALU_DEP_2)
	v_add_nc_u64_e32 v[34:35], s[96:97], v[30:31]
	v_add_nc_u64_e32 v[24:25], s[40:41], v[6:7]
	s_and_b32 s45, s2, s10
	s_and_b32 s46, s2, s11
	;; [unrolled: 1-line block ×5, first 2 shown]
	v_add_nc_u64_e32 v[38:39], s[96:97], v[34:35]
	v_add_nc_u64_e32 v[26:27], s[40:41], v[24:25]
	s_and_b32 s50, s2, s15
	s_and_b32 s42, s3, vcc_lo
	s_and_b32 s43, s3, s1
	s_and_b32 s51, s3, s10
	;; [unrolled: 1-line block ×3, first 2 shown]
	v_add_nc_u64_e32 v[42:43], s[96:97], v[38:39]
	v_add_nc_u64_e32 v[28:29], s[40:41], v[26:27]
	s_and_b32 s53, s3, s12
	s_and_b32 s54, s3, s13
	;; [unrolled: 1-line block ×4, first 2 shown]
	s_and_b32 s57, s4, vcc_lo
	v_add_nc_u64_e32 v[44:45], s[96:97], v[42:43]
	v_add_nc_u64_e32 v[32:33], s[40:41], v[28:29]
	s_and_b32 s58, s4, s1
	s_and_b32 s59, s4, s10
	;; [unrolled: 1-line block ×5, first 2 shown]
	v_add_nc_u64_e32 v[46:47], s[96:97], v[44:45]
	v_add_nc_u64_e32 v[36:37], s[40:41], v[32:33]
	s_and_b32 s63, s4, s14
	s_and_b32 s64, s4, s15
	s_and_b32 s65, s5, vcc_lo
	s_and_b32 s66, s5, s1
	s_and_b32 s67, s5, s10
	v_add_nc_u64_e32 v[48:49], s[96:97], v[46:47]
	v_add_nc_u64_e32 v[40:41], s[40:41], v[36:37]
	s_and_b32 s68, s5, s11
	s_and_b32 s69, s5, s12
	s_and_b32 s70, s5, s13
	s_and_b32 s71, s5, s14
	s_and_b32 s72, s5, s15
	s_and_b32 s73, s6, vcc_lo
	s_and_b32 s74, s6, s1
	s_and_b32 s75, s6, s10
	s_and_b32 s76, s6, s11
	s_and_b32 s77, s6, s12
	s_and_b32 s78, s6, s13
	s_and_b32 s79, s6, s14
	s_and_b32 s80, s6, s15
	s_and_b32 s81, s7, vcc_lo
	s_and_b32 s82, s7, s1
	s_and_b32 s83, s7, s10
	;; [unrolled: 8-line block ×4, first 2 shown]
	s_and_b32 s11, s9, s11
	s_and_b32 s12, s9, s12
	;; [unrolled: 1-line block ×5, first 2 shown]
	s_mov_b64 s[2:3], s[22:23]
	s_branch .LBB155_21
.LBB155_20:                             ;   in Loop: Header=BB155_21 Depth=1
	s_wait_xcnt 0x0
	s_or_b32 exec_lo, exec_lo, s4
	s_add_nc_u64 s[2:3], s[2:3], 1
	s_delay_alu instid0(SALU_CYCLE_1)
	v_cmp_ge_i64_e64 s4, s[2:3], s[24:25]
	s_and_b32 vcc_lo, exec_lo, s4
	s_cbranch_vccnz .LBB155_149
.LBB155_21:                             ; =>This Inner Loop Header: Depth=1
	s_sub_nc_u64 s[4:5], s[2:3], s[22:23]
	s_lshl_b64 s[6:7], s[2:3], 3
	v_add_nc_u64_e32 v[52:53], s[4:5], v[4:5]
	s_add_nc_u64 s[6:7], s[30:31], s[6:7]
	s_mul_u64 s[98:99], s[2:3], s[36:37]
	s_load_b64 s[6:7], s[6:7], 0x0
	s_lshl_b64 s[98:99], s[98:99], 2
	s_delay_alu instid0(SALU_CYCLE_1) | instskip(NEXT) | instid1(VALU_DEP_1)
	s_add_nc_u64 s[98:99], s[28:29], s[98:99]
	v_mad_nc_u64_u32 v[54:55], v52, s20, s[38:39]
	v_add_nc_u64_e32 v[82:83], s[98:99], v[50:51]
	v_lshl_add_u64 v[84:85], v[8:9], 2, s[98:99]
	s_delay_alu instid0(VALU_DEP_2) | instskip(NEXT) | instid1(VALU_DEP_4)
	v_lshl_add_u64 v[66:67], v[6:7], 2, v[82:83]
	v_mad_u32 v0, v53, s20, v55
	s_wait_kmcnt 0x0
	s_sub_nc_u64 s[6:7], s[6:7], s[16:17]
	s_delay_alu instid0(SALU_CYCLE_1) | instskip(NEXT) | instid1(SALU_CYCLE_1)
	s_mul_u64 s[6:7], s[6:7], s[20:21]
	s_add_nc_u64 s[6:7], s[6:7], s[18:19]
	s_delay_alu instid0(VALU_DEP_1) | instskip(SKIP_2) | instid1(VALU_DEP_3)
	v_mad_u32 v55, v52, s21, v0
	v_add_nc_u64_e32 v[52:53], s[6:7], v[2:3]
	v_lshlrev_b32_e32 v0, 2, v2
	v_add_nc_u64_e32 v[54:55], v[54:55], v[2:3]
	s_delay_alu instid0(VALU_DEP_1)
	v_lshl_add_u64 v[86:87], v[54:55], 3, s[26:27]
	v_lshl_add_u64 v[88:89], v[54:55], 2, s[34:35]
	s_and_saveexec_b32 s15, s33
	s_cbranch_execz .LBB155_23
; %bb.22:                               ;   in Loop: Header=BB155_21 Depth=1
	v_add_nc_u64_e32 v[54:55], v[84:85], v[0:1]
	s_delay_alu instid0(VALU_DEP_1)
	v_dual_cndmask_b32 v55, v67, v55, s0 :: v_dual_cndmask_b32 v54, v66, v54, s0
	global_load_b32 v54, v[54:55], off
	global_store_b64 v[86:87], v[52:53], off
	s_wait_loadcnt 0x0
	global_store_b32 v[88:89], v54, off
.LBB155_23:                             ;   in Loop: Header=BB155_21 Depth=1
	s_wait_xcnt 0x0
	s_or_b32 exec_lo, exec_lo, s15
	v_add_nc_u64_e32 v[54:55], s[6:7], v[10:11]
	v_lshl_add_u64 v[80:81], v[24:25], 2, v[82:83]
	s_and_saveexec_b32 s15, s44
	s_cbranch_execz .LBB155_25
; %bb.24:                               ;   in Loop: Header=BB155_21 Depth=1
	v_add_nc_u64_e32 v[56:57], v[84:85], v[0:1]
	s_delay_alu instid0(VALU_DEP_1) | instskip(NEXT) | instid1(VALU_DEP_1)
	v_add_nc_u64_e32 v[56:57], 0x80, v[56:57]
	v_dual_cndmask_b32 v57, v81, v57, s0 :: v_dual_cndmask_b32 v56, v80, v56, s0
	global_load_b32 v56, v[56:57], off
	global_store_b64 v[86:87], v[54:55], off offset:256
	s_wait_loadcnt 0x0
	global_store_b32 v[88:89], v56, off offset:128
.LBB155_25:                             ;   in Loop: Header=BB155_21 Depth=1
	s_wait_xcnt 0x0
	s_or_b32 exec_lo, exec_lo, s15
	v_add_nc_u64_e32 v[56:57], s[6:7], v[12:13]
	v_lshl_add_u64 v[78:79], v[26:27], 2, v[82:83]
	s_and_saveexec_b32 s15, s45
	s_cbranch_execz .LBB155_27
; %bb.26:                               ;   in Loop: Header=BB155_21 Depth=1
	v_add_nc_u64_e32 v[58:59], v[84:85], v[0:1]
	s_delay_alu instid0(VALU_DEP_1) | instskip(NEXT) | instid1(VALU_DEP_1)
	v_add_nc_u64_e32 v[58:59], 0x100, v[58:59]
	v_dual_cndmask_b32 v59, v79, v59, s0 :: v_dual_cndmask_b32 v58, v78, v58, s0
	global_load_b32 v58, v[58:59], off
	global_store_b64 v[86:87], v[56:57], off offset:512
	s_wait_loadcnt 0x0
	global_store_b32 v[88:89], v58, off offset:256
.LBB155_27:                             ;   in Loop: Header=BB155_21 Depth=1
	;; [unrolled: 16-line block ×6, first 2 shown]
	s_wait_xcnt 0x0
	s_or_b32 exec_lo, exec_lo, s15
	v_add_nc_u64_e32 v[90:91], s[40:41], v[40:41]
	v_add_nc_u64_e32 v[68:69], s[6:7], v[22:23]
	s_delay_alu instid0(VALU_DEP_2)
	v_lshl_add_u64 v[82:83], v[90:91], 2, v[82:83]
	s_and_saveexec_b32 s6, s50
	s_cbranch_execz .LBB155_37
; %bb.36:                               ;   in Loop: Header=BB155_21 Depth=1
	v_add_nc_u64_e32 v[90:91], v[84:85], v[0:1]
	s_delay_alu instid0(VALU_DEP_1) | instskip(NEXT) | instid1(VALU_DEP_1)
	v_add_nc_u64_e32 v[90:91], 0x380, v[90:91]
	v_dual_cndmask_b32 v91, v83, v91, s0 :: v_dual_cndmask_b32 v90, v82, v90, s0
	global_load_b32 v90, v[90:91], off
	global_store_b64 v[86:87], v[68:69], off offset:1792
	s_wait_loadcnt 0x0
	global_store_b32 v[88:89], v90, off offset:896
.LBB155_37:                             ;   in Loop: Header=BB155_21 Depth=1
	s_wait_xcnt 0x0
	s_or_b32 exec_lo, exec_lo, s6
	v_add_nc_u64_e32 v[86:87], s[4:5], v[30:31]
	v_lshl_add_u64 v[84:85], s[40:41], 2, v[84:85]
	s_delay_alu instid0(VALU_DEP_2) | instskip(NEXT) | instid1(VALU_DEP_1)
	v_mad_nc_u64_u32 v[88:89], v86, s20, s[38:39]
	v_mad_u32 v87, v87, s20, v89
	s_delay_alu instid0(VALU_DEP_1) | instskip(NEXT) | instid1(VALU_DEP_1)
	v_mad_u32 v89, v86, s21, v87
	v_add_nc_u64_e32 v[88:89], v[88:89], v[2:3]
	s_delay_alu instid0(VALU_DEP_1)
	v_lshl_add_u64 v[86:87], v[88:89], 3, s[26:27]
	v_lshl_add_u64 v[88:89], v[88:89], 2, s[34:35]
	s_and_saveexec_b32 s6, s42
	s_cbranch_execnz .LBB155_99
; %bb.38:                               ;   in Loop: Header=BB155_21 Depth=1
	s_or_b32 exec_lo, exec_lo, s6
	s_and_saveexec_b32 s6, s43
	s_cbranch_execnz .LBB155_100
.LBB155_39:                             ;   in Loop: Header=BB155_21 Depth=1
	s_or_b32 exec_lo, exec_lo, s6
	s_and_saveexec_b32 s6, s51
	s_cbranch_execnz .LBB155_101
.LBB155_40:                             ;   in Loop: Header=BB155_21 Depth=1
	s_or_b32 exec_lo, exec_lo, s6
	s_and_saveexec_b32 s6, s52
	s_cbranch_execnz .LBB155_102
.LBB155_41:                             ;   in Loop: Header=BB155_21 Depth=1
	s_or_b32 exec_lo, exec_lo, s6
	s_and_saveexec_b32 s6, s53
	s_cbranch_execnz .LBB155_103
.LBB155_42:                             ;   in Loop: Header=BB155_21 Depth=1
	s_or_b32 exec_lo, exec_lo, s6
	s_and_saveexec_b32 s6, s54
	s_cbranch_execnz .LBB155_104
.LBB155_43:                             ;   in Loop: Header=BB155_21 Depth=1
	s_or_b32 exec_lo, exec_lo, s6
	s_and_saveexec_b32 s6, s55
	s_cbranch_execnz .LBB155_105
.LBB155_44:                             ;   in Loop: Header=BB155_21 Depth=1
	s_or_b32 exec_lo, exec_lo, s6
	s_and_saveexec_b32 s6, s56
	s_cbranch_execz .LBB155_46
.LBB155_45:                             ;   in Loop: Header=BB155_21 Depth=1
	v_add_nc_u64_e32 v[90:91], v[84:85], v[0:1]
	v_add_nc_u64_e32 v[92:93], 0x80, v[82:83]
	s_delay_alu instid0(VALU_DEP_2) | instskip(NEXT) | instid1(VALU_DEP_1)
	v_add_nc_u64_e32 v[90:91], 0x380, v[90:91]
	v_dual_cndmask_b32 v91, v93, v91, s0 :: v_dual_cndmask_b32 v90, v92, v90, s0
	global_load_b32 v90, v[90:91], off
	global_store_b64 v[86:87], v[68:69], off offset:1792
	s_wait_loadcnt 0x0
	global_store_b32 v[88:89], v90, off offset:896
.LBB155_46:                             ;   in Loop: Header=BB155_21 Depth=1
	s_wait_xcnt 0x0
	s_or_b32 exec_lo, exec_lo, s6
	v_add_nc_u64_e32 v[86:87], s[4:5], v[34:35]
	v_lshl_add_u64 v[84:85], s[40:41], 2, v[84:85]
	s_delay_alu instid0(VALU_DEP_2) | instskip(NEXT) | instid1(VALU_DEP_1)
	v_mad_nc_u64_u32 v[88:89], v86, s20, s[38:39]
	v_mad_u32 v87, v87, s20, v89
	s_delay_alu instid0(VALU_DEP_1) | instskip(NEXT) | instid1(VALU_DEP_1)
	v_mad_u32 v89, v86, s21, v87
	v_add_nc_u64_e32 v[88:89], v[88:89], v[2:3]
	s_delay_alu instid0(VALU_DEP_1)
	v_lshl_add_u64 v[86:87], v[88:89], 3, s[26:27]
	v_lshl_add_u64 v[88:89], v[88:89], 2, s[34:35]
	s_and_saveexec_b32 s6, s57
	s_cbranch_execnz .LBB155_106
; %bb.47:                               ;   in Loop: Header=BB155_21 Depth=1
	s_or_b32 exec_lo, exec_lo, s6
	s_and_saveexec_b32 s6, s58
	s_cbranch_execnz .LBB155_107
.LBB155_48:                             ;   in Loop: Header=BB155_21 Depth=1
	s_or_b32 exec_lo, exec_lo, s6
	s_and_saveexec_b32 s6, s59
	s_cbranch_execnz .LBB155_108
.LBB155_49:                             ;   in Loop: Header=BB155_21 Depth=1
	s_or_b32 exec_lo, exec_lo, s6
	s_and_saveexec_b32 s6, s60
	s_cbranch_execnz .LBB155_109
.LBB155_50:                             ;   in Loop: Header=BB155_21 Depth=1
	s_or_b32 exec_lo, exec_lo, s6
	s_and_saveexec_b32 s6, s61
	s_cbranch_execnz .LBB155_110
.LBB155_51:                             ;   in Loop: Header=BB155_21 Depth=1
	s_or_b32 exec_lo, exec_lo, s6
	s_and_saveexec_b32 s6, s62
	s_cbranch_execnz .LBB155_111
.LBB155_52:                             ;   in Loop: Header=BB155_21 Depth=1
	s_or_b32 exec_lo, exec_lo, s6
	s_and_saveexec_b32 s6, s63
	s_cbranch_execnz .LBB155_112
.LBB155_53:                             ;   in Loop: Header=BB155_21 Depth=1
	s_or_b32 exec_lo, exec_lo, s6
	s_and_saveexec_b32 s6, s64
	s_cbranch_execz .LBB155_55
.LBB155_54:                             ;   in Loop: Header=BB155_21 Depth=1
	v_add_nc_u64_e32 v[90:91], v[84:85], v[0:1]
	v_add_nc_u64_e32 v[92:93], 0x100, v[82:83]
	s_delay_alu instid0(VALU_DEP_2) | instskip(NEXT) | instid1(VALU_DEP_1)
	v_add_nc_u64_e32 v[90:91], 0x380, v[90:91]
	v_dual_cndmask_b32 v91, v93, v91, s0 :: v_dual_cndmask_b32 v90, v92, v90, s0
	global_load_b32 v90, v[90:91], off
	global_store_b64 v[86:87], v[68:69], off offset:1792
	s_wait_loadcnt 0x0
	global_store_b32 v[88:89], v90, off offset:896
.LBB155_55:                             ;   in Loop: Header=BB155_21 Depth=1
	s_wait_xcnt 0x0
	s_or_b32 exec_lo, exec_lo, s6
	v_add_nc_u64_e32 v[86:87], s[4:5], v[38:39]
	v_lshl_add_u64 v[84:85], s[40:41], 2, v[84:85]
	s_delay_alu instid0(VALU_DEP_2) | instskip(NEXT) | instid1(VALU_DEP_1)
	v_mad_nc_u64_u32 v[88:89], v86, s20, s[38:39]
	v_mad_u32 v87, v87, s20, v89
	s_delay_alu instid0(VALU_DEP_1) | instskip(NEXT) | instid1(VALU_DEP_1)
	v_mad_u32 v89, v86, s21, v87
	v_add_nc_u64_e32 v[88:89], v[88:89], v[2:3]
	s_delay_alu instid0(VALU_DEP_1)
	v_lshl_add_u64 v[86:87], v[88:89], 3, s[26:27]
	v_lshl_add_u64 v[88:89], v[88:89], 2, s[34:35]
	s_and_saveexec_b32 s6, s65
	s_cbranch_execnz .LBB155_113
; %bb.56:                               ;   in Loop: Header=BB155_21 Depth=1
	s_or_b32 exec_lo, exec_lo, s6
	s_and_saveexec_b32 s6, s66
	s_cbranch_execnz .LBB155_114
.LBB155_57:                             ;   in Loop: Header=BB155_21 Depth=1
	s_or_b32 exec_lo, exec_lo, s6
	s_and_saveexec_b32 s6, s67
	s_cbranch_execnz .LBB155_115
.LBB155_58:                             ;   in Loop: Header=BB155_21 Depth=1
	s_or_b32 exec_lo, exec_lo, s6
	s_and_saveexec_b32 s6, s68
	s_cbranch_execnz .LBB155_116
.LBB155_59:                             ;   in Loop: Header=BB155_21 Depth=1
	s_or_b32 exec_lo, exec_lo, s6
	s_and_saveexec_b32 s6, s69
	s_cbranch_execnz .LBB155_117
.LBB155_60:                             ;   in Loop: Header=BB155_21 Depth=1
	s_or_b32 exec_lo, exec_lo, s6
	s_and_saveexec_b32 s6, s70
	s_cbranch_execnz .LBB155_118
.LBB155_61:                             ;   in Loop: Header=BB155_21 Depth=1
	s_or_b32 exec_lo, exec_lo, s6
	s_and_saveexec_b32 s6, s71
	s_cbranch_execnz .LBB155_119
.LBB155_62:                             ;   in Loop: Header=BB155_21 Depth=1
	s_or_b32 exec_lo, exec_lo, s6
	s_and_saveexec_b32 s6, s72
	s_cbranch_execz .LBB155_64
.LBB155_63:                             ;   in Loop: Header=BB155_21 Depth=1
	v_add_nc_u64_e32 v[90:91], v[84:85], v[0:1]
	v_add_nc_u64_e32 v[92:93], 0x180, v[82:83]
	s_delay_alu instid0(VALU_DEP_2) | instskip(NEXT) | instid1(VALU_DEP_1)
	v_add_nc_u64_e32 v[90:91], 0x380, v[90:91]
	v_dual_cndmask_b32 v91, v93, v91, s0 :: v_dual_cndmask_b32 v90, v92, v90, s0
	global_load_b32 v90, v[90:91], off
	global_store_b64 v[86:87], v[68:69], off offset:1792
	s_wait_loadcnt 0x0
	global_store_b32 v[88:89], v90, off offset:896
.LBB155_64:                             ;   in Loop: Header=BB155_21 Depth=1
	s_wait_xcnt 0x0
	s_or_b32 exec_lo, exec_lo, s6
	v_add_nc_u64_e32 v[86:87], s[4:5], v[42:43]
	v_lshl_add_u64 v[84:85], s[40:41], 2, v[84:85]
	s_delay_alu instid0(VALU_DEP_2) | instskip(NEXT) | instid1(VALU_DEP_1)
	v_mad_nc_u64_u32 v[88:89], v86, s20, s[38:39]
	v_mad_u32 v87, v87, s20, v89
	s_delay_alu instid0(VALU_DEP_1) | instskip(NEXT) | instid1(VALU_DEP_1)
	v_mad_u32 v89, v86, s21, v87
	v_add_nc_u64_e32 v[88:89], v[88:89], v[2:3]
	s_delay_alu instid0(VALU_DEP_1)
	v_lshl_add_u64 v[86:87], v[88:89], 3, s[26:27]
	v_lshl_add_u64 v[88:89], v[88:89], 2, s[34:35]
	s_and_saveexec_b32 s6, s73
	s_cbranch_execnz .LBB155_120
; %bb.65:                               ;   in Loop: Header=BB155_21 Depth=1
	s_or_b32 exec_lo, exec_lo, s6
	s_and_saveexec_b32 s6, s74
	s_cbranch_execnz .LBB155_121
.LBB155_66:                             ;   in Loop: Header=BB155_21 Depth=1
	s_or_b32 exec_lo, exec_lo, s6
	s_and_saveexec_b32 s6, s75
	s_cbranch_execnz .LBB155_122
.LBB155_67:                             ;   in Loop: Header=BB155_21 Depth=1
	s_or_b32 exec_lo, exec_lo, s6
	s_and_saveexec_b32 s6, s76
	s_cbranch_execnz .LBB155_123
.LBB155_68:                             ;   in Loop: Header=BB155_21 Depth=1
	s_or_b32 exec_lo, exec_lo, s6
	s_and_saveexec_b32 s6, s77
	s_cbranch_execnz .LBB155_124
.LBB155_69:                             ;   in Loop: Header=BB155_21 Depth=1
	s_or_b32 exec_lo, exec_lo, s6
	s_and_saveexec_b32 s6, s78
	s_cbranch_execnz .LBB155_125
.LBB155_70:                             ;   in Loop: Header=BB155_21 Depth=1
	s_or_b32 exec_lo, exec_lo, s6
	s_and_saveexec_b32 s6, s79
	s_cbranch_execnz .LBB155_126
.LBB155_71:                             ;   in Loop: Header=BB155_21 Depth=1
	s_or_b32 exec_lo, exec_lo, s6
	s_and_saveexec_b32 s6, s80
	s_cbranch_execz .LBB155_73
.LBB155_72:                             ;   in Loop: Header=BB155_21 Depth=1
	v_add_nc_u64_e32 v[90:91], v[84:85], v[0:1]
	v_add_nc_u64_e32 v[92:93], 0x200, v[82:83]
	s_delay_alu instid0(VALU_DEP_2) | instskip(NEXT) | instid1(VALU_DEP_1)
	v_add_nc_u64_e32 v[90:91], 0x380, v[90:91]
	v_dual_cndmask_b32 v91, v93, v91, s0 :: v_dual_cndmask_b32 v90, v92, v90, s0
	global_load_b32 v90, v[90:91], off
	global_store_b64 v[86:87], v[68:69], off offset:1792
	s_wait_loadcnt 0x0
	global_store_b32 v[88:89], v90, off offset:896
.LBB155_73:                             ;   in Loop: Header=BB155_21 Depth=1
	s_wait_xcnt 0x0
	s_or_b32 exec_lo, exec_lo, s6
	v_add_nc_u64_e32 v[86:87], s[4:5], v[44:45]
	v_lshl_add_u64 v[84:85], s[40:41], 2, v[84:85]
	s_delay_alu instid0(VALU_DEP_2) | instskip(NEXT) | instid1(VALU_DEP_1)
	v_mad_nc_u64_u32 v[88:89], v86, s20, s[38:39]
	v_mad_u32 v87, v87, s20, v89
	s_delay_alu instid0(VALU_DEP_1) | instskip(NEXT) | instid1(VALU_DEP_1)
	v_mad_u32 v89, v86, s21, v87
	v_add_nc_u64_e32 v[88:89], v[88:89], v[2:3]
	s_delay_alu instid0(VALU_DEP_1)
	v_lshl_add_u64 v[86:87], v[88:89], 3, s[26:27]
	v_lshl_add_u64 v[88:89], v[88:89], 2, s[34:35]
	s_and_saveexec_b32 s6, s81
	s_cbranch_execnz .LBB155_127
; %bb.74:                               ;   in Loop: Header=BB155_21 Depth=1
	s_or_b32 exec_lo, exec_lo, s6
	s_and_saveexec_b32 s6, s82
	s_cbranch_execnz .LBB155_128
.LBB155_75:                             ;   in Loop: Header=BB155_21 Depth=1
	s_or_b32 exec_lo, exec_lo, s6
	s_and_saveexec_b32 s6, s83
	s_cbranch_execnz .LBB155_129
.LBB155_76:                             ;   in Loop: Header=BB155_21 Depth=1
	s_or_b32 exec_lo, exec_lo, s6
	s_and_saveexec_b32 s6, s84
	s_cbranch_execnz .LBB155_130
.LBB155_77:                             ;   in Loop: Header=BB155_21 Depth=1
	s_or_b32 exec_lo, exec_lo, s6
	s_and_saveexec_b32 s6, s85
	s_cbranch_execnz .LBB155_131
.LBB155_78:                             ;   in Loop: Header=BB155_21 Depth=1
	s_or_b32 exec_lo, exec_lo, s6
	s_and_saveexec_b32 s6, s86
	s_cbranch_execnz .LBB155_132
.LBB155_79:                             ;   in Loop: Header=BB155_21 Depth=1
	s_or_b32 exec_lo, exec_lo, s6
	s_and_saveexec_b32 s6, s87
	s_cbranch_execnz .LBB155_133
.LBB155_80:                             ;   in Loop: Header=BB155_21 Depth=1
	s_or_b32 exec_lo, exec_lo, s6
	s_and_saveexec_b32 s6, s88
	s_cbranch_execz .LBB155_82
.LBB155_81:                             ;   in Loop: Header=BB155_21 Depth=1
	v_add_nc_u64_e32 v[90:91], v[84:85], v[0:1]
	v_add_nc_u64_e32 v[92:93], 0x280, v[82:83]
	s_delay_alu instid0(VALU_DEP_2) | instskip(NEXT) | instid1(VALU_DEP_1)
	v_add_nc_u64_e32 v[90:91], 0x380, v[90:91]
	v_dual_cndmask_b32 v91, v93, v91, s0 :: v_dual_cndmask_b32 v90, v92, v90, s0
	global_load_b32 v90, v[90:91], off
	global_store_b64 v[86:87], v[68:69], off offset:1792
	s_wait_loadcnt 0x0
	global_store_b32 v[88:89], v90, off offset:896
.LBB155_82:                             ;   in Loop: Header=BB155_21 Depth=1
	s_wait_xcnt 0x0
	s_or_b32 exec_lo, exec_lo, s6
	v_add_nc_u64_e32 v[86:87], s[4:5], v[46:47]
	v_lshl_add_u64 v[84:85], s[40:41], 2, v[84:85]
	s_delay_alu instid0(VALU_DEP_2) | instskip(NEXT) | instid1(VALU_DEP_1)
	v_mad_nc_u64_u32 v[88:89], v86, s20, s[38:39]
	v_mad_u32 v87, v87, s20, v89
	s_delay_alu instid0(VALU_DEP_1) | instskip(NEXT) | instid1(VALU_DEP_1)
	v_mad_u32 v89, v86, s21, v87
	v_add_nc_u64_e32 v[88:89], v[88:89], v[2:3]
	s_delay_alu instid0(VALU_DEP_1)
	v_lshl_add_u64 v[86:87], v[88:89], 3, s[26:27]
	v_lshl_add_u64 v[88:89], v[88:89], 2, s[34:35]
	s_and_saveexec_b32 s6, s89
	s_cbranch_execnz .LBB155_134
; %bb.83:                               ;   in Loop: Header=BB155_21 Depth=1
	s_or_b32 exec_lo, exec_lo, s6
	s_and_saveexec_b32 s6, s90
	s_cbranch_execnz .LBB155_135
.LBB155_84:                             ;   in Loop: Header=BB155_21 Depth=1
	s_or_b32 exec_lo, exec_lo, s6
	s_and_saveexec_b32 s6, s91
	s_cbranch_execnz .LBB155_136
.LBB155_85:                             ;   in Loop: Header=BB155_21 Depth=1
	s_or_b32 exec_lo, exec_lo, s6
	s_and_saveexec_b32 s6, s92
	s_cbranch_execnz .LBB155_137
.LBB155_86:                             ;   in Loop: Header=BB155_21 Depth=1
	s_or_b32 exec_lo, exec_lo, s6
	s_and_saveexec_b32 s6, s93
	s_cbranch_execnz .LBB155_138
.LBB155_87:                             ;   in Loop: Header=BB155_21 Depth=1
	s_or_b32 exec_lo, exec_lo, s6
	s_and_saveexec_b32 s6, s94
	s_cbranch_execnz .LBB155_139
.LBB155_88:                             ;   in Loop: Header=BB155_21 Depth=1
	s_or_b32 exec_lo, exec_lo, s6
	s_and_saveexec_b32 s6, s95
	s_cbranch_execnz .LBB155_140
.LBB155_89:                             ;   in Loop: Header=BB155_21 Depth=1
	s_or_b32 exec_lo, exec_lo, s6
	s_and_saveexec_b32 s6, s8
	s_cbranch_execz .LBB155_91
.LBB155_90:                             ;   in Loop: Header=BB155_21 Depth=1
	v_add_nc_u64_e32 v[90:91], v[84:85], v[0:1]
	v_add_nc_u64_e32 v[92:93], 0x300, v[82:83]
	s_delay_alu instid0(VALU_DEP_2) | instskip(NEXT) | instid1(VALU_DEP_1)
	v_add_nc_u64_e32 v[90:91], 0x380, v[90:91]
	v_dual_cndmask_b32 v91, v93, v91, s0 :: v_dual_cndmask_b32 v90, v92, v90, s0
	global_load_b32 v90, v[90:91], off
	global_store_b64 v[86:87], v[68:69], off offset:1792
	s_wait_loadcnt 0x0
	global_store_b32 v[88:89], v90, off offset:896
.LBB155_91:                             ;   in Loop: Header=BB155_21 Depth=1
	s_wait_xcnt 0x0
	s_or_b32 exec_lo, exec_lo, s6
	v_add_nc_u64_e32 v[86:87], s[4:5], v[48:49]
	s_delay_alu instid0(VALU_DEP_1) | instskip(NEXT) | instid1(VALU_DEP_1)
	v_mad_nc_u64_u32 v[88:89], v86, s20, s[38:39]
	v_mad_u32 v87, v87, s20, v89
	s_delay_alu instid0(VALU_DEP_1) | instskip(NEXT) | instid1(VALU_DEP_1)
	v_mad_u32 v89, v86, s21, v87
	v_add_nc_u64_e32 v[86:87], v[88:89], v[2:3]
	v_lshl_add_u64 v[88:89], s[40:41], 2, v[84:85]
	s_delay_alu instid0(VALU_DEP_2)
	v_lshl_add_u64 v[84:85], v[86:87], 3, s[26:27]
	v_lshl_add_u64 v[86:87], v[86:87], 2, s[34:35]
	s_and_saveexec_b32 s4, s96
	s_cbranch_execnz .LBB155_141
; %bb.92:                               ;   in Loop: Header=BB155_21 Depth=1
	s_or_b32 exec_lo, exec_lo, s4
	s_and_saveexec_b32 s4, s1
	s_cbranch_execnz .LBB155_142
.LBB155_93:                             ;   in Loop: Header=BB155_21 Depth=1
	s_or_b32 exec_lo, exec_lo, s4
	s_and_saveexec_b32 s4, s10
	s_cbranch_execnz .LBB155_143
.LBB155_94:                             ;   in Loop: Header=BB155_21 Depth=1
	s_or_b32 exec_lo, exec_lo, s4
	s_and_saveexec_b32 s4, s11
	s_cbranch_execnz .LBB155_144
.LBB155_95:                             ;   in Loop: Header=BB155_21 Depth=1
	s_or_b32 exec_lo, exec_lo, s4
	s_and_saveexec_b32 s4, s12
	s_cbranch_execnz .LBB155_145
.LBB155_96:                             ;   in Loop: Header=BB155_21 Depth=1
	s_or_b32 exec_lo, exec_lo, s4
	s_and_saveexec_b32 s4, s13
	s_cbranch_execnz .LBB155_146
.LBB155_97:                             ;   in Loop: Header=BB155_21 Depth=1
	s_or_b32 exec_lo, exec_lo, s4
	s_and_saveexec_b32 s4, s14
	s_cbranch_execnz .LBB155_147
.LBB155_98:                             ;   in Loop: Header=BB155_21 Depth=1
	s_or_b32 exec_lo, exec_lo, s4
	s_and_saveexec_b32 s4, s9
	s_cbranch_execz .LBB155_20
	s_branch .LBB155_148
.LBB155_99:                             ;   in Loop: Header=BB155_21 Depth=1
	v_add_nc_u64_e32 v[90:91], v[84:85], v[0:1]
	v_add_nc_u64_e32 v[92:93], 0x80, v[66:67]
	s_delay_alu instid0(VALU_DEP_1)
	v_dual_cndmask_b32 v91, v93, v91, s0 :: v_dual_cndmask_b32 v90, v92, v90, s0
	global_load_b32 v90, v[90:91], off
	global_store_b64 v[86:87], v[52:53], off
	s_wait_loadcnt 0x0
	global_store_b32 v[88:89], v90, off
	s_wait_xcnt 0x0
	s_or_b32 exec_lo, exec_lo, s6
	s_and_saveexec_b32 s6, s43
	s_cbranch_execz .LBB155_39
.LBB155_100:                            ;   in Loop: Header=BB155_21 Depth=1
	v_add_nc_u64_e32 v[90:91], v[84:85], v[0:1]
	s_delay_alu instid0(VALU_DEP_1)
	v_dual_cndmask_b32 v91, v81, v91, s0 :: v_dual_cndmask_b32 v90, v80, v90, s0
	global_load_b32 v90, v[90:91], off offset:128
	global_store_b64 v[86:87], v[54:55], off offset:256
	s_wait_loadcnt 0x0
	global_store_b32 v[88:89], v90, off offset:128
	s_wait_xcnt 0x0
	s_or_b32 exec_lo, exec_lo, s6
	s_and_saveexec_b32 s6, s51
	s_cbranch_execz .LBB155_40
.LBB155_101:                            ;   in Loop: Header=BB155_21 Depth=1
	v_add_nc_u64_e32 v[90:91], v[84:85], v[0:1]
	v_add_nc_u64_e32 v[92:93], 0x80, v[78:79]
	s_delay_alu instid0(VALU_DEP_2) | instskip(NEXT) | instid1(VALU_DEP_1)
	v_add_nc_u64_e32 v[90:91], 0x100, v[90:91]
	v_dual_cndmask_b32 v91, v93, v91, s0 :: v_dual_cndmask_b32 v90, v92, v90, s0
	global_load_b32 v90, v[90:91], off
	global_store_b64 v[86:87], v[56:57], off offset:512
	s_wait_loadcnt 0x0
	global_store_b32 v[88:89], v90, off offset:256
	s_wait_xcnt 0x0
	s_or_b32 exec_lo, exec_lo, s6
	s_and_saveexec_b32 s6, s52
	s_cbranch_execz .LBB155_41
.LBB155_102:                            ;   in Loop: Header=BB155_21 Depth=1
	v_add_nc_u64_e32 v[90:91], v[84:85], v[0:1]
	v_add_nc_u64_e32 v[92:93], 0x80, v[76:77]
	s_delay_alu instid0(VALU_DEP_2) | instskip(NEXT) | instid1(VALU_DEP_1)
	v_add_nc_u64_e32 v[90:91], 0x180, v[90:91]
	v_dual_cndmask_b32 v91, v93, v91, s0 :: v_dual_cndmask_b32 v90, v92, v90, s0
	global_load_b32 v90, v[90:91], off
	global_store_b64 v[86:87], v[58:59], off offset:768
	s_wait_loadcnt 0x0
	global_store_b32 v[88:89], v90, off offset:384
	s_wait_xcnt 0x0
	s_or_b32 exec_lo, exec_lo, s6
	s_and_saveexec_b32 s6, s53
	s_cbranch_execz .LBB155_42
.LBB155_103:                            ;   in Loop: Header=BB155_21 Depth=1
	v_add_nc_u64_e32 v[90:91], v[84:85], v[0:1]
	v_add_nc_u64_e32 v[92:93], 0x80, v[74:75]
	s_delay_alu instid0(VALU_DEP_2) | instskip(NEXT) | instid1(VALU_DEP_1)
	v_add_nc_u64_e32 v[90:91], 0x200, v[90:91]
	v_dual_cndmask_b32 v91, v93, v91, s0 :: v_dual_cndmask_b32 v90, v92, v90, s0
	global_load_b32 v90, v[90:91], off
	global_store_b64 v[86:87], v[60:61], off offset:1024
	s_wait_loadcnt 0x0
	global_store_b32 v[88:89], v90, off offset:512
	s_wait_xcnt 0x0
	s_or_b32 exec_lo, exec_lo, s6
	s_and_saveexec_b32 s6, s54
	s_cbranch_execz .LBB155_43
.LBB155_104:                            ;   in Loop: Header=BB155_21 Depth=1
	v_add_nc_u64_e32 v[90:91], v[84:85], v[0:1]
	v_add_nc_u64_e32 v[92:93], 0x80, v[72:73]
	s_delay_alu instid0(VALU_DEP_2) | instskip(NEXT) | instid1(VALU_DEP_1)
	v_add_nc_u64_e32 v[90:91], 0x280, v[90:91]
	v_dual_cndmask_b32 v91, v93, v91, s0 :: v_dual_cndmask_b32 v90, v92, v90, s0
	global_load_b32 v90, v[90:91], off
	global_store_b64 v[86:87], v[62:63], off offset:1280
	s_wait_loadcnt 0x0
	global_store_b32 v[88:89], v90, off offset:640
	s_wait_xcnt 0x0
	s_or_b32 exec_lo, exec_lo, s6
	s_and_saveexec_b32 s6, s55
	s_cbranch_execz .LBB155_44
.LBB155_105:                            ;   in Loop: Header=BB155_21 Depth=1
	v_add_nc_u64_e32 v[90:91], v[84:85], v[0:1]
	v_add_nc_u64_e32 v[92:93], 0x80, v[70:71]
	s_delay_alu instid0(VALU_DEP_2) | instskip(NEXT) | instid1(VALU_DEP_1)
	v_add_nc_u64_e32 v[90:91], 0x300, v[90:91]
	v_dual_cndmask_b32 v91, v93, v91, s0 :: v_dual_cndmask_b32 v90, v92, v90, s0
	global_load_b32 v90, v[90:91], off
	global_store_b64 v[86:87], v[64:65], off offset:1536
	s_wait_loadcnt 0x0
	global_store_b32 v[88:89], v90, off offset:768
	s_wait_xcnt 0x0
	s_or_b32 exec_lo, exec_lo, s6
	s_and_saveexec_b32 s6, s56
	s_cbranch_execnz .LBB155_45
	s_branch .LBB155_46
.LBB155_106:                            ;   in Loop: Header=BB155_21 Depth=1
	v_add_nc_u64_e32 v[90:91], v[84:85], v[0:1]
	v_add_nc_u64_e32 v[92:93], 0x100, v[66:67]
	s_delay_alu instid0(VALU_DEP_1)
	v_dual_cndmask_b32 v91, v93, v91, s0 :: v_dual_cndmask_b32 v90, v92, v90, s0
	global_load_b32 v90, v[90:91], off
	global_store_b64 v[86:87], v[52:53], off
	s_wait_loadcnt 0x0
	global_store_b32 v[88:89], v90, off
	s_wait_xcnt 0x0
	s_or_b32 exec_lo, exec_lo, s6
	s_and_saveexec_b32 s6, s58
	s_cbranch_execz .LBB155_48
.LBB155_107:                            ;   in Loop: Header=BB155_21 Depth=1
	v_add_nc_u64_e32 v[90:91], v[84:85], v[0:1]
	v_add_nc_u64_e32 v[92:93], 0x100, v[80:81]
	s_delay_alu instid0(VALU_DEP_2) | instskip(NEXT) | instid1(VALU_DEP_1)
	v_add_nc_u64_e32 v[90:91], 0x80, v[90:91]
	v_dual_cndmask_b32 v91, v93, v91, s0 :: v_dual_cndmask_b32 v90, v92, v90, s0
	global_load_b32 v90, v[90:91], off
	global_store_b64 v[86:87], v[54:55], off offset:256
	s_wait_loadcnt 0x0
	global_store_b32 v[88:89], v90, off offset:128
	s_wait_xcnt 0x0
	s_or_b32 exec_lo, exec_lo, s6
	s_and_saveexec_b32 s6, s59
	s_cbranch_execz .LBB155_49
.LBB155_108:                            ;   in Loop: Header=BB155_21 Depth=1
	v_add_nc_u64_e32 v[90:91], v[84:85], v[0:1]
	s_delay_alu instid0(VALU_DEP_1)
	v_dual_cndmask_b32 v91, v79, v91, s0 :: v_dual_cndmask_b32 v90, v78, v90, s0
	global_load_b32 v90, v[90:91], off offset:256
	global_store_b64 v[86:87], v[56:57], off offset:512
	s_wait_loadcnt 0x0
	global_store_b32 v[88:89], v90, off offset:256
	s_wait_xcnt 0x0
	s_or_b32 exec_lo, exec_lo, s6
	s_and_saveexec_b32 s6, s60
	s_cbranch_execz .LBB155_50
.LBB155_109:                            ;   in Loop: Header=BB155_21 Depth=1
	v_add_nc_u64_e32 v[90:91], v[84:85], v[0:1]
	v_add_nc_u64_e32 v[92:93], 0x100, v[76:77]
	s_delay_alu instid0(VALU_DEP_2) | instskip(NEXT) | instid1(VALU_DEP_1)
	v_add_nc_u64_e32 v[90:91], 0x180, v[90:91]
	v_dual_cndmask_b32 v91, v93, v91, s0 :: v_dual_cndmask_b32 v90, v92, v90, s0
	global_load_b32 v90, v[90:91], off
	global_store_b64 v[86:87], v[58:59], off offset:768
	s_wait_loadcnt 0x0
	global_store_b32 v[88:89], v90, off offset:384
	s_wait_xcnt 0x0
	s_or_b32 exec_lo, exec_lo, s6
	s_and_saveexec_b32 s6, s61
	s_cbranch_execz .LBB155_51
.LBB155_110:                            ;   in Loop: Header=BB155_21 Depth=1
	v_add_nc_u64_e32 v[90:91], v[84:85], v[0:1]
	v_add_nc_u64_e32 v[92:93], 0x100, v[74:75]
	s_delay_alu instid0(VALU_DEP_2) | instskip(NEXT) | instid1(VALU_DEP_1)
	v_add_nc_u64_e32 v[90:91], 0x200, v[90:91]
	v_dual_cndmask_b32 v91, v93, v91, s0 :: v_dual_cndmask_b32 v90, v92, v90, s0
	global_load_b32 v90, v[90:91], off
	global_store_b64 v[86:87], v[60:61], off offset:1024
	s_wait_loadcnt 0x0
	global_store_b32 v[88:89], v90, off offset:512
	s_wait_xcnt 0x0
	s_or_b32 exec_lo, exec_lo, s6
	s_and_saveexec_b32 s6, s62
	s_cbranch_execz .LBB155_52
.LBB155_111:                            ;   in Loop: Header=BB155_21 Depth=1
	v_add_nc_u64_e32 v[90:91], v[84:85], v[0:1]
	v_add_nc_u64_e32 v[92:93], 0x100, v[72:73]
	s_delay_alu instid0(VALU_DEP_2) | instskip(NEXT) | instid1(VALU_DEP_1)
	v_add_nc_u64_e32 v[90:91], 0x280, v[90:91]
	v_dual_cndmask_b32 v91, v93, v91, s0 :: v_dual_cndmask_b32 v90, v92, v90, s0
	global_load_b32 v90, v[90:91], off
	global_store_b64 v[86:87], v[62:63], off offset:1280
	s_wait_loadcnt 0x0
	global_store_b32 v[88:89], v90, off offset:640
	s_wait_xcnt 0x0
	s_or_b32 exec_lo, exec_lo, s6
	s_and_saveexec_b32 s6, s63
	s_cbranch_execz .LBB155_53
.LBB155_112:                            ;   in Loop: Header=BB155_21 Depth=1
	v_add_nc_u64_e32 v[90:91], v[84:85], v[0:1]
	v_add_nc_u64_e32 v[92:93], 0x100, v[70:71]
	s_delay_alu instid0(VALU_DEP_2) | instskip(NEXT) | instid1(VALU_DEP_1)
	v_add_nc_u64_e32 v[90:91], 0x300, v[90:91]
	v_dual_cndmask_b32 v91, v93, v91, s0 :: v_dual_cndmask_b32 v90, v92, v90, s0
	global_load_b32 v90, v[90:91], off
	global_store_b64 v[86:87], v[64:65], off offset:1536
	s_wait_loadcnt 0x0
	global_store_b32 v[88:89], v90, off offset:768
	s_wait_xcnt 0x0
	s_or_b32 exec_lo, exec_lo, s6
	s_and_saveexec_b32 s6, s64
	s_cbranch_execnz .LBB155_54
	s_branch .LBB155_55
.LBB155_113:                            ;   in Loop: Header=BB155_21 Depth=1
	v_add_nc_u64_e32 v[90:91], v[84:85], v[0:1]
	v_add_nc_u64_e32 v[92:93], 0x180, v[66:67]
	s_delay_alu instid0(VALU_DEP_1)
	v_dual_cndmask_b32 v91, v93, v91, s0 :: v_dual_cndmask_b32 v90, v92, v90, s0
	global_load_b32 v90, v[90:91], off
	global_store_b64 v[86:87], v[52:53], off
	s_wait_loadcnt 0x0
	global_store_b32 v[88:89], v90, off
	s_wait_xcnt 0x0
	s_or_b32 exec_lo, exec_lo, s6
	s_and_saveexec_b32 s6, s66
	s_cbranch_execz .LBB155_57
.LBB155_114:                            ;   in Loop: Header=BB155_21 Depth=1
	v_add_nc_u64_e32 v[90:91], v[84:85], v[0:1]
	v_add_nc_u64_e32 v[92:93], 0x180, v[80:81]
	s_delay_alu instid0(VALU_DEP_2) | instskip(NEXT) | instid1(VALU_DEP_1)
	v_add_nc_u64_e32 v[90:91], 0x80, v[90:91]
	v_dual_cndmask_b32 v91, v93, v91, s0 :: v_dual_cndmask_b32 v90, v92, v90, s0
	global_load_b32 v90, v[90:91], off
	global_store_b64 v[86:87], v[54:55], off offset:256
	s_wait_loadcnt 0x0
	global_store_b32 v[88:89], v90, off offset:128
	s_wait_xcnt 0x0
	s_or_b32 exec_lo, exec_lo, s6
	s_and_saveexec_b32 s6, s67
	s_cbranch_execz .LBB155_58
.LBB155_115:                            ;   in Loop: Header=BB155_21 Depth=1
	v_add_nc_u64_e32 v[90:91], v[84:85], v[0:1]
	v_add_nc_u64_e32 v[92:93], 0x180, v[78:79]
	s_delay_alu instid0(VALU_DEP_2) | instskip(NEXT) | instid1(VALU_DEP_1)
	v_add_nc_u64_e32 v[90:91], 0x100, v[90:91]
	v_dual_cndmask_b32 v91, v93, v91, s0 :: v_dual_cndmask_b32 v90, v92, v90, s0
	global_load_b32 v90, v[90:91], off
	global_store_b64 v[86:87], v[56:57], off offset:512
	s_wait_loadcnt 0x0
	global_store_b32 v[88:89], v90, off offset:256
	s_wait_xcnt 0x0
	s_or_b32 exec_lo, exec_lo, s6
	s_and_saveexec_b32 s6, s68
	s_cbranch_execz .LBB155_59
.LBB155_116:                            ;   in Loop: Header=BB155_21 Depth=1
	v_add_nc_u64_e32 v[90:91], v[84:85], v[0:1]
	s_delay_alu instid0(VALU_DEP_1)
	v_dual_cndmask_b32 v91, v77, v91, s0 :: v_dual_cndmask_b32 v90, v76, v90, s0
	global_load_b32 v90, v[90:91], off offset:384
	global_store_b64 v[86:87], v[58:59], off offset:768
	s_wait_loadcnt 0x0
	global_store_b32 v[88:89], v90, off offset:384
	s_wait_xcnt 0x0
	s_or_b32 exec_lo, exec_lo, s6
	s_and_saveexec_b32 s6, s69
	s_cbranch_execz .LBB155_60
.LBB155_117:                            ;   in Loop: Header=BB155_21 Depth=1
	v_add_nc_u64_e32 v[90:91], v[84:85], v[0:1]
	v_add_nc_u64_e32 v[92:93], 0x180, v[74:75]
	s_delay_alu instid0(VALU_DEP_2) | instskip(NEXT) | instid1(VALU_DEP_1)
	v_add_nc_u64_e32 v[90:91], 0x200, v[90:91]
	v_dual_cndmask_b32 v91, v93, v91, s0 :: v_dual_cndmask_b32 v90, v92, v90, s0
	global_load_b32 v90, v[90:91], off
	global_store_b64 v[86:87], v[60:61], off offset:1024
	s_wait_loadcnt 0x0
	global_store_b32 v[88:89], v90, off offset:512
	s_wait_xcnt 0x0
	s_or_b32 exec_lo, exec_lo, s6
	s_and_saveexec_b32 s6, s70
	s_cbranch_execz .LBB155_61
.LBB155_118:                            ;   in Loop: Header=BB155_21 Depth=1
	v_add_nc_u64_e32 v[90:91], v[84:85], v[0:1]
	v_add_nc_u64_e32 v[92:93], 0x180, v[72:73]
	s_delay_alu instid0(VALU_DEP_2) | instskip(NEXT) | instid1(VALU_DEP_1)
	v_add_nc_u64_e32 v[90:91], 0x280, v[90:91]
	v_dual_cndmask_b32 v91, v93, v91, s0 :: v_dual_cndmask_b32 v90, v92, v90, s0
	global_load_b32 v90, v[90:91], off
	global_store_b64 v[86:87], v[62:63], off offset:1280
	s_wait_loadcnt 0x0
	global_store_b32 v[88:89], v90, off offset:640
	s_wait_xcnt 0x0
	s_or_b32 exec_lo, exec_lo, s6
	s_and_saveexec_b32 s6, s71
	s_cbranch_execz .LBB155_62
.LBB155_119:                            ;   in Loop: Header=BB155_21 Depth=1
	v_add_nc_u64_e32 v[90:91], v[84:85], v[0:1]
	v_add_nc_u64_e32 v[92:93], 0x180, v[70:71]
	s_delay_alu instid0(VALU_DEP_2) | instskip(NEXT) | instid1(VALU_DEP_1)
	v_add_nc_u64_e32 v[90:91], 0x300, v[90:91]
	v_dual_cndmask_b32 v91, v93, v91, s0 :: v_dual_cndmask_b32 v90, v92, v90, s0
	global_load_b32 v90, v[90:91], off
	global_store_b64 v[86:87], v[64:65], off offset:1536
	s_wait_loadcnt 0x0
	global_store_b32 v[88:89], v90, off offset:768
	s_wait_xcnt 0x0
	s_or_b32 exec_lo, exec_lo, s6
	s_and_saveexec_b32 s6, s72
	s_cbranch_execnz .LBB155_63
	s_branch .LBB155_64
.LBB155_120:                            ;   in Loop: Header=BB155_21 Depth=1
	v_add_nc_u64_e32 v[90:91], v[84:85], v[0:1]
	v_add_nc_u64_e32 v[92:93], 0x200, v[66:67]
	s_delay_alu instid0(VALU_DEP_1)
	v_dual_cndmask_b32 v91, v93, v91, s0 :: v_dual_cndmask_b32 v90, v92, v90, s0
	global_load_b32 v90, v[90:91], off
	global_store_b64 v[86:87], v[52:53], off
	s_wait_loadcnt 0x0
	global_store_b32 v[88:89], v90, off
	s_wait_xcnt 0x0
	s_or_b32 exec_lo, exec_lo, s6
	s_and_saveexec_b32 s6, s74
	s_cbranch_execz .LBB155_66
.LBB155_121:                            ;   in Loop: Header=BB155_21 Depth=1
	v_add_nc_u64_e32 v[90:91], v[84:85], v[0:1]
	v_add_nc_u64_e32 v[92:93], 0x200, v[80:81]
	s_delay_alu instid0(VALU_DEP_2) | instskip(NEXT) | instid1(VALU_DEP_1)
	v_add_nc_u64_e32 v[90:91], 0x80, v[90:91]
	v_dual_cndmask_b32 v91, v93, v91, s0 :: v_dual_cndmask_b32 v90, v92, v90, s0
	global_load_b32 v90, v[90:91], off
	global_store_b64 v[86:87], v[54:55], off offset:256
	s_wait_loadcnt 0x0
	global_store_b32 v[88:89], v90, off offset:128
	s_wait_xcnt 0x0
	s_or_b32 exec_lo, exec_lo, s6
	s_and_saveexec_b32 s6, s75
	s_cbranch_execz .LBB155_67
.LBB155_122:                            ;   in Loop: Header=BB155_21 Depth=1
	v_add_nc_u64_e32 v[90:91], v[84:85], v[0:1]
	v_add_nc_u64_e32 v[92:93], 0x200, v[78:79]
	s_delay_alu instid0(VALU_DEP_2) | instskip(NEXT) | instid1(VALU_DEP_1)
	v_add_nc_u64_e32 v[90:91], 0x100, v[90:91]
	v_dual_cndmask_b32 v91, v93, v91, s0 :: v_dual_cndmask_b32 v90, v92, v90, s0
	global_load_b32 v90, v[90:91], off
	global_store_b64 v[86:87], v[56:57], off offset:512
	s_wait_loadcnt 0x0
	global_store_b32 v[88:89], v90, off offset:256
	s_wait_xcnt 0x0
	s_or_b32 exec_lo, exec_lo, s6
	s_and_saveexec_b32 s6, s76
	s_cbranch_execz .LBB155_68
.LBB155_123:                            ;   in Loop: Header=BB155_21 Depth=1
	v_add_nc_u64_e32 v[90:91], v[84:85], v[0:1]
	v_add_nc_u64_e32 v[92:93], 0x200, v[76:77]
	s_delay_alu instid0(VALU_DEP_2) | instskip(NEXT) | instid1(VALU_DEP_1)
	v_add_nc_u64_e32 v[90:91], 0x180, v[90:91]
	v_dual_cndmask_b32 v91, v93, v91, s0 :: v_dual_cndmask_b32 v90, v92, v90, s0
	global_load_b32 v90, v[90:91], off
	global_store_b64 v[86:87], v[58:59], off offset:768
	s_wait_loadcnt 0x0
	global_store_b32 v[88:89], v90, off offset:384
	s_wait_xcnt 0x0
	s_or_b32 exec_lo, exec_lo, s6
	s_and_saveexec_b32 s6, s77
	s_cbranch_execz .LBB155_69
.LBB155_124:                            ;   in Loop: Header=BB155_21 Depth=1
	v_add_nc_u64_e32 v[90:91], v[84:85], v[0:1]
	s_delay_alu instid0(VALU_DEP_1)
	v_dual_cndmask_b32 v91, v75, v91, s0 :: v_dual_cndmask_b32 v90, v74, v90, s0
	global_load_b32 v90, v[90:91], off offset:512
	global_store_b64 v[86:87], v[60:61], off offset:1024
	s_wait_loadcnt 0x0
	global_store_b32 v[88:89], v90, off offset:512
	s_wait_xcnt 0x0
	s_or_b32 exec_lo, exec_lo, s6
	s_and_saveexec_b32 s6, s78
	s_cbranch_execz .LBB155_70
.LBB155_125:                            ;   in Loop: Header=BB155_21 Depth=1
	v_add_nc_u64_e32 v[90:91], v[84:85], v[0:1]
	v_add_nc_u64_e32 v[92:93], 0x200, v[72:73]
	s_delay_alu instid0(VALU_DEP_2) | instskip(NEXT) | instid1(VALU_DEP_1)
	v_add_nc_u64_e32 v[90:91], 0x280, v[90:91]
	v_dual_cndmask_b32 v91, v93, v91, s0 :: v_dual_cndmask_b32 v90, v92, v90, s0
	global_load_b32 v90, v[90:91], off
	global_store_b64 v[86:87], v[62:63], off offset:1280
	s_wait_loadcnt 0x0
	global_store_b32 v[88:89], v90, off offset:640
	s_wait_xcnt 0x0
	s_or_b32 exec_lo, exec_lo, s6
	s_and_saveexec_b32 s6, s79
	s_cbranch_execz .LBB155_71
.LBB155_126:                            ;   in Loop: Header=BB155_21 Depth=1
	v_add_nc_u64_e32 v[90:91], v[84:85], v[0:1]
	v_add_nc_u64_e32 v[92:93], 0x200, v[70:71]
	s_delay_alu instid0(VALU_DEP_2) | instskip(NEXT) | instid1(VALU_DEP_1)
	v_add_nc_u64_e32 v[90:91], 0x300, v[90:91]
	v_dual_cndmask_b32 v91, v93, v91, s0 :: v_dual_cndmask_b32 v90, v92, v90, s0
	global_load_b32 v90, v[90:91], off
	global_store_b64 v[86:87], v[64:65], off offset:1536
	s_wait_loadcnt 0x0
	global_store_b32 v[88:89], v90, off offset:768
	s_wait_xcnt 0x0
	s_or_b32 exec_lo, exec_lo, s6
	s_and_saveexec_b32 s6, s80
	s_cbranch_execnz .LBB155_72
	s_branch .LBB155_73
.LBB155_127:                            ;   in Loop: Header=BB155_21 Depth=1
	v_add_nc_u64_e32 v[90:91], v[84:85], v[0:1]
	v_add_nc_u64_e32 v[92:93], 0x280, v[66:67]
	s_delay_alu instid0(VALU_DEP_1)
	v_dual_cndmask_b32 v91, v93, v91, s0 :: v_dual_cndmask_b32 v90, v92, v90, s0
	global_load_b32 v90, v[90:91], off
	global_store_b64 v[86:87], v[52:53], off
	s_wait_loadcnt 0x0
	global_store_b32 v[88:89], v90, off
	s_wait_xcnt 0x0
	s_or_b32 exec_lo, exec_lo, s6
	s_and_saveexec_b32 s6, s82
	s_cbranch_execz .LBB155_75
.LBB155_128:                            ;   in Loop: Header=BB155_21 Depth=1
	v_add_nc_u64_e32 v[90:91], v[84:85], v[0:1]
	v_add_nc_u64_e32 v[92:93], 0x280, v[80:81]
	s_delay_alu instid0(VALU_DEP_2) | instskip(NEXT) | instid1(VALU_DEP_1)
	v_add_nc_u64_e32 v[90:91], 0x80, v[90:91]
	v_dual_cndmask_b32 v91, v93, v91, s0 :: v_dual_cndmask_b32 v90, v92, v90, s0
	global_load_b32 v90, v[90:91], off
	global_store_b64 v[86:87], v[54:55], off offset:256
	s_wait_loadcnt 0x0
	global_store_b32 v[88:89], v90, off offset:128
	s_wait_xcnt 0x0
	s_or_b32 exec_lo, exec_lo, s6
	s_and_saveexec_b32 s6, s83
	s_cbranch_execz .LBB155_76
.LBB155_129:                            ;   in Loop: Header=BB155_21 Depth=1
	v_add_nc_u64_e32 v[90:91], v[84:85], v[0:1]
	v_add_nc_u64_e32 v[92:93], 0x280, v[78:79]
	s_delay_alu instid0(VALU_DEP_2) | instskip(NEXT) | instid1(VALU_DEP_1)
	v_add_nc_u64_e32 v[90:91], 0x100, v[90:91]
	v_dual_cndmask_b32 v91, v93, v91, s0 :: v_dual_cndmask_b32 v90, v92, v90, s0
	global_load_b32 v90, v[90:91], off
	global_store_b64 v[86:87], v[56:57], off offset:512
	s_wait_loadcnt 0x0
	global_store_b32 v[88:89], v90, off offset:256
	s_wait_xcnt 0x0
	s_or_b32 exec_lo, exec_lo, s6
	s_and_saveexec_b32 s6, s84
	s_cbranch_execz .LBB155_77
.LBB155_130:                            ;   in Loop: Header=BB155_21 Depth=1
	v_add_nc_u64_e32 v[90:91], v[84:85], v[0:1]
	v_add_nc_u64_e32 v[92:93], 0x280, v[76:77]
	s_delay_alu instid0(VALU_DEP_2) | instskip(NEXT) | instid1(VALU_DEP_1)
	v_add_nc_u64_e32 v[90:91], 0x180, v[90:91]
	v_dual_cndmask_b32 v91, v93, v91, s0 :: v_dual_cndmask_b32 v90, v92, v90, s0
	global_load_b32 v90, v[90:91], off
	global_store_b64 v[86:87], v[58:59], off offset:768
	s_wait_loadcnt 0x0
	global_store_b32 v[88:89], v90, off offset:384
	s_wait_xcnt 0x0
	s_or_b32 exec_lo, exec_lo, s6
	s_and_saveexec_b32 s6, s85
	s_cbranch_execz .LBB155_78
.LBB155_131:                            ;   in Loop: Header=BB155_21 Depth=1
	v_add_nc_u64_e32 v[90:91], v[84:85], v[0:1]
	v_add_nc_u64_e32 v[92:93], 0x280, v[74:75]
	s_delay_alu instid0(VALU_DEP_2) | instskip(NEXT) | instid1(VALU_DEP_1)
	v_add_nc_u64_e32 v[90:91], 0x200, v[90:91]
	v_dual_cndmask_b32 v91, v93, v91, s0 :: v_dual_cndmask_b32 v90, v92, v90, s0
	global_load_b32 v90, v[90:91], off
	global_store_b64 v[86:87], v[60:61], off offset:1024
	s_wait_loadcnt 0x0
	global_store_b32 v[88:89], v90, off offset:512
	s_wait_xcnt 0x0
	s_or_b32 exec_lo, exec_lo, s6
	s_and_saveexec_b32 s6, s86
	s_cbranch_execz .LBB155_79
.LBB155_132:                            ;   in Loop: Header=BB155_21 Depth=1
	v_add_nc_u64_e32 v[90:91], v[84:85], v[0:1]
	s_delay_alu instid0(VALU_DEP_1)
	v_dual_cndmask_b32 v91, v73, v91, s0 :: v_dual_cndmask_b32 v90, v72, v90, s0
	global_load_b32 v90, v[90:91], off offset:640
	global_store_b64 v[86:87], v[62:63], off offset:1280
	s_wait_loadcnt 0x0
	global_store_b32 v[88:89], v90, off offset:640
	s_wait_xcnt 0x0
	s_or_b32 exec_lo, exec_lo, s6
	s_and_saveexec_b32 s6, s87
	s_cbranch_execz .LBB155_80
.LBB155_133:                            ;   in Loop: Header=BB155_21 Depth=1
	v_add_nc_u64_e32 v[90:91], v[84:85], v[0:1]
	v_add_nc_u64_e32 v[92:93], 0x280, v[70:71]
	s_delay_alu instid0(VALU_DEP_2) | instskip(NEXT) | instid1(VALU_DEP_1)
	v_add_nc_u64_e32 v[90:91], 0x300, v[90:91]
	v_dual_cndmask_b32 v91, v93, v91, s0 :: v_dual_cndmask_b32 v90, v92, v90, s0
	global_load_b32 v90, v[90:91], off
	global_store_b64 v[86:87], v[64:65], off offset:1536
	s_wait_loadcnt 0x0
	global_store_b32 v[88:89], v90, off offset:768
	s_wait_xcnt 0x0
	s_or_b32 exec_lo, exec_lo, s6
	s_and_saveexec_b32 s6, s88
	s_cbranch_execnz .LBB155_81
	s_branch .LBB155_82
.LBB155_134:                            ;   in Loop: Header=BB155_21 Depth=1
	v_add_nc_u64_e32 v[90:91], v[84:85], v[0:1]
	v_add_nc_u64_e32 v[92:93], 0x300, v[66:67]
	s_delay_alu instid0(VALU_DEP_1)
	v_dual_cndmask_b32 v91, v93, v91, s0 :: v_dual_cndmask_b32 v90, v92, v90, s0
	global_load_b32 v90, v[90:91], off
	global_store_b64 v[86:87], v[52:53], off
	s_wait_loadcnt 0x0
	global_store_b32 v[88:89], v90, off
	s_wait_xcnt 0x0
	s_or_b32 exec_lo, exec_lo, s6
	s_and_saveexec_b32 s6, s90
	s_cbranch_execz .LBB155_84
.LBB155_135:                            ;   in Loop: Header=BB155_21 Depth=1
	v_add_nc_u64_e32 v[90:91], v[84:85], v[0:1]
	v_add_nc_u64_e32 v[92:93], 0x300, v[80:81]
	s_delay_alu instid0(VALU_DEP_2) | instskip(NEXT) | instid1(VALU_DEP_1)
	v_add_nc_u64_e32 v[90:91], 0x80, v[90:91]
	v_dual_cndmask_b32 v91, v93, v91, s0 :: v_dual_cndmask_b32 v90, v92, v90, s0
	global_load_b32 v90, v[90:91], off
	global_store_b64 v[86:87], v[54:55], off offset:256
	s_wait_loadcnt 0x0
	global_store_b32 v[88:89], v90, off offset:128
	s_wait_xcnt 0x0
	s_or_b32 exec_lo, exec_lo, s6
	s_and_saveexec_b32 s6, s91
	s_cbranch_execz .LBB155_85
.LBB155_136:                            ;   in Loop: Header=BB155_21 Depth=1
	v_add_nc_u64_e32 v[90:91], v[84:85], v[0:1]
	v_add_nc_u64_e32 v[92:93], 0x300, v[78:79]
	s_delay_alu instid0(VALU_DEP_2) | instskip(NEXT) | instid1(VALU_DEP_1)
	v_add_nc_u64_e32 v[90:91], 0x100, v[90:91]
	v_dual_cndmask_b32 v91, v93, v91, s0 :: v_dual_cndmask_b32 v90, v92, v90, s0
	global_load_b32 v90, v[90:91], off
	global_store_b64 v[86:87], v[56:57], off offset:512
	s_wait_loadcnt 0x0
	global_store_b32 v[88:89], v90, off offset:256
	s_wait_xcnt 0x0
	s_or_b32 exec_lo, exec_lo, s6
	s_and_saveexec_b32 s6, s92
	s_cbranch_execz .LBB155_86
.LBB155_137:                            ;   in Loop: Header=BB155_21 Depth=1
	v_add_nc_u64_e32 v[90:91], v[84:85], v[0:1]
	v_add_nc_u64_e32 v[92:93], 0x300, v[76:77]
	s_delay_alu instid0(VALU_DEP_2) | instskip(NEXT) | instid1(VALU_DEP_1)
	v_add_nc_u64_e32 v[90:91], 0x180, v[90:91]
	v_dual_cndmask_b32 v91, v93, v91, s0 :: v_dual_cndmask_b32 v90, v92, v90, s0
	global_load_b32 v90, v[90:91], off
	global_store_b64 v[86:87], v[58:59], off offset:768
	s_wait_loadcnt 0x0
	global_store_b32 v[88:89], v90, off offset:384
	s_wait_xcnt 0x0
	s_or_b32 exec_lo, exec_lo, s6
	s_and_saveexec_b32 s6, s93
	s_cbranch_execz .LBB155_87
.LBB155_138:                            ;   in Loop: Header=BB155_21 Depth=1
	v_add_nc_u64_e32 v[90:91], v[84:85], v[0:1]
	v_add_nc_u64_e32 v[92:93], 0x300, v[74:75]
	s_delay_alu instid0(VALU_DEP_2) | instskip(NEXT) | instid1(VALU_DEP_1)
	v_add_nc_u64_e32 v[90:91], 0x200, v[90:91]
	v_dual_cndmask_b32 v91, v93, v91, s0 :: v_dual_cndmask_b32 v90, v92, v90, s0
	global_load_b32 v90, v[90:91], off
	global_store_b64 v[86:87], v[60:61], off offset:1024
	s_wait_loadcnt 0x0
	global_store_b32 v[88:89], v90, off offset:512
	s_wait_xcnt 0x0
	s_or_b32 exec_lo, exec_lo, s6
	s_and_saveexec_b32 s6, s94
	s_cbranch_execz .LBB155_88
.LBB155_139:                            ;   in Loop: Header=BB155_21 Depth=1
	v_add_nc_u64_e32 v[90:91], v[84:85], v[0:1]
	v_add_nc_u64_e32 v[92:93], 0x300, v[72:73]
	s_delay_alu instid0(VALU_DEP_2) | instskip(NEXT) | instid1(VALU_DEP_1)
	v_add_nc_u64_e32 v[90:91], 0x280, v[90:91]
	v_dual_cndmask_b32 v91, v93, v91, s0 :: v_dual_cndmask_b32 v90, v92, v90, s0
	global_load_b32 v90, v[90:91], off
	global_store_b64 v[86:87], v[62:63], off offset:1280
	s_wait_loadcnt 0x0
	global_store_b32 v[88:89], v90, off offset:640
	s_wait_xcnt 0x0
	s_or_b32 exec_lo, exec_lo, s6
	s_and_saveexec_b32 s6, s95
	s_cbranch_execz .LBB155_89
.LBB155_140:                            ;   in Loop: Header=BB155_21 Depth=1
	v_add_nc_u64_e32 v[90:91], v[84:85], v[0:1]
	s_delay_alu instid0(VALU_DEP_1)
	v_dual_cndmask_b32 v91, v71, v91, s0 :: v_dual_cndmask_b32 v90, v70, v90, s0
	global_load_b32 v90, v[90:91], off offset:768
	global_store_b64 v[86:87], v[64:65], off offset:1536
	s_wait_loadcnt 0x0
	global_store_b32 v[88:89], v90, off offset:768
	s_wait_xcnt 0x0
	s_or_b32 exec_lo, exec_lo, s6
	s_and_saveexec_b32 s6, s8
	s_cbranch_execnz .LBB155_90
	s_branch .LBB155_91
.LBB155_141:                            ;   in Loop: Header=BB155_21 Depth=1
	v_add_nc_u64_e32 v[90:91], v[88:89], v[0:1]
	v_add_nc_u64_e32 v[66:67], 0x380, v[66:67]
	s_delay_alu instid0(VALU_DEP_1)
	v_dual_cndmask_b32 v67, v67, v91, s0 :: v_dual_cndmask_b32 v66, v66, v90, s0
	global_load_b32 v66, v[66:67], off
	global_store_b64 v[84:85], v[52:53], off
	s_wait_loadcnt 0x0
	global_store_b32 v[86:87], v66, off
	s_wait_xcnt 0x0
	s_or_b32 exec_lo, exec_lo, s4
	s_and_saveexec_b32 s4, s1
	s_cbranch_execz .LBB155_93
.LBB155_142:                            ;   in Loop: Header=BB155_21 Depth=1
	v_add_nc_u64_e32 v[52:53], v[88:89], v[0:1]
	v_add_nc_u64_e32 v[66:67], 0x380, v[80:81]
	s_delay_alu instid0(VALU_DEP_2) | instskip(NEXT) | instid1(VALU_DEP_1)
	v_add_nc_u64_e32 v[52:53], 0x80, v[52:53]
	v_dual_cndmask_b32 v53, v67, v53, s0 :: v_dual_cndmask_b32 v52, v66, v52, s0
	global_load_b32 v52, v[52:53], off
	global_store_b64 v[84:85], v[54:55], off offset:256
	s_wait_loadcnt 0x0
	global_store_b32 v[86:87], v52, off offset:128
	s_wait_xcnt 0x0
	s_or_b32 exec_lo, exec_lo, s4
	s_and_saveexec_b32 s4, s10
	s_cbranch_execz .LBB155_94
.LBB155_143:                            ;   in Loop: Header=BB155_21 Depth=1
	v_add_nc_u64_e32 v[52:53], v[88:89], v[0:1]
	v_add_nc_u64_e32 v[54:55], 0x380, v[78:79]
	s_delay_alu instid0(VALU_DEP_2) | instskip(NEXT) | instid1(VALU_DEP_1)
	v_add_nc_u64_e32 v[52:53], 0x100, v[52:53]
	v_dual_cndmask_b32 v53, v55, v53, s0 :: v_dual_cndmask_b32 v52, v54, v52, s0
	global_load_b32 v52, v[52:53], off
	global_store_b64 v[84:85], v[56:57], off offset:512
	s_wait_loadcnt 0x0
	global_store_b32 v[86:87], v52, off offset:256
	s_wait_xcnt 0x0
	s_or_b32 exec_lo, exec_lo, s4
	s_and_saveexec_b32 s4, s11
	s_cbranch_execz .LBB155_95
.LBB155_144:                            ;   in Loop: Header=BB155_21 Depth=1
	v_add_nc_u64_e32 v[52:53], v[88:89], v[0:1]
	v_add_nc_u64_e32 v[54:55], 0x380, v[76:77]
	s_delay_alu instid0(VALU_DEP_2) | instskip(NEXT) | instid1(VALU_DEP_1)
	v_add_nc_u64_e32 v[52:53], 0x180, v[52:53]
	v_dual_cndmask_b32 v53, v55, v53, s0 :: v_dual_cndmask_b32 v52, v54, v52, s0
	global_load_b32 v52, v[52:53], off
	global_store_b64 v[84:85], v[58:59], off offset:768
	s_wait_loadcnt 0x0
	global_store_b32 v[86:87], v52, off offset:384
	s_wait_xcnt 0x0
	s_or_b32 exec_lo, exec_lo, s4
	s_and_saveexec_b32 s4, s12
	s_cbranch_execz .LBB155_96
.LBB155_145:                            ;   in Loop: Header=BB155_21 Depth=1
	v_add_nc_u64_e32 v[52:53], v[88:89], v[0:1]
	v_add_nc_u64_e32 v[54:55], 0x380, v[74:75]
	s_delay_alu instid0(VALU_DEP_2) | instskip(NEXT) | instid1(VALU_DEP_1)
	v_add_nc_u64_e32 v[52:53], 0x200, v[52:53]
	v_dual_cndmask_b32 v53, v55, v53, s0 :: v_dual_cndmask_b32 v52, v54, v52, s0
	global_load_b32 v52, v[52:53], off
	global_store_b64 v[84:85], v[60:61], off offset:1024
	s_wait_loadcnt 0x0
	global_store_b32 v[86:87], v52, off offset:512
	s_wait_xcnt 0x0
	s_or_b32 exec_lo, exec_lo, s4
	s_and_saveexec_b32 s4, s13
	s_cbranch_execz .LBB155_97
.LBB155_146:                            ;   in Loop: Header=BB155_21 Depth=1
	v_add_nc_u64_e32 v[52:53], v[88:89], v[0:1]
	v_add_nc_u64_e32 v[54:55], 0x380, v[72:73]
	s_delay_alu instid0(VALU_DEP_2) | instskip(NEXT) | instid1(VALU_DEP_1)
	v_add_nc_u64_e32 v[52:53], 0x280, v[52:53]
	v_dual_cndmask_b32 v53, v55, v53, s0 :: v_dual_cndmask_b32 v52, v54, v52, s0
	global_load_b32 v52, v[52:53], off
	global_store_b64 v[84:85], v[62:63], off offset:1280
	s_wait_loadcnt 0x0
	global_store_b32 v[86:87], v52, off offset:640
	s_wait_xcnt 0x0
	s_or_b32 exec_lo, exec_lo, s4
	s_and_saveexec_b32 s4, s14
	s_cbranch_execz .LBB155_98
.LBB155_147:                            ;   in Loop: Header=BB155_21 Depth=1
	v_add_nc_u64_e32 v[52:53], v[88:89], v[0:1]
	v_add_nc_u64_e32 v[54:55], 0x380, v[70:71]
	s_delay_alu instid0(VALU_DEP_2) | instskip(NEXT) | instid1(VALU_DEP_1)
	v_add_nc_u64_e32 v[52:53], 0x300, v[52:53]
	v_dual_cndmask_b32 v53, v55, v53, s0 :: v_dual_cndmask_b32 v52, v54, v52, s0
	global_load_b32 v52, v[52:53], off
	global_store_b64 v[84:85], v[64:65], off offset:1536
	s_wait_loadcnt 0x0
	global_store_b32 v[86:87], v52, off offset:768
	s_wait_xcnt 0x0
	s_or_b32 exec_lo, exec_lo, s4
	s_and_saveexec_b32 s4, s9
	s_cbranch_execz .LBB155_20
.LBB155_148:                            ;   in Loop: Header=BB155_21 Depth=1
	v_add_nc_u64_e32 v[52:53], v[88:89], v[0:1]
	s_delay_alu instid0(VALU_DEP_1)
	v_dual_cndmask_b32 v53, v83, v53, s0 :: v_dual_cndmask_b32 v52, v82, v52, s0
	global_load_b32 v0, v[52:53], off offset:896
	global_store_b64 v[84:85], v[68:69], off offset:1792
	s_wait_loadcnt 0x0
	global_store_b32 v[86:87], v0, off offset:896
	s_branch .LBB155_20
.LBB155_149:
	s_sendmsg sendmsg(MSG_DEALLOC_VGPRS)
	s_endpgm
	.section	.rodata,"a",@progbits
	.p2align	6, 0x0
	.amdhsa_kernel _ZN9rocsparseL35bsr2csr_block_per_row_33_256_kernelILj1024ELj256ELj32EfllEEv20rocsparse_direction_T4_S2_21rocsparse_index_base_PKT2_PKT3_PKS2_S2_S3_PS4_PS7_PS2_
		.amdhsa_group_segment_fixed_size 0
		.amdhsa_private_segment_fixed_size 0
		.amdhsa_kernarg_size 96
		.amdhsa_user_sgpr_count 2
		.amdhsa_user_sgpr_dispatch_ptr 0
		.amdhsa_user_sgpr_queue_ptr 0
		.amdhsa_user_sgpr_kernarg_segment_ptr 1
		.amdhsa_user_sgpr_dispatch_id 0
		.amdhsa_user_sgpr_kernarg_preload_length 0
		.amdhsa_user_sgpr_kernarg_preload_offset 0
		.amdhsa_user_sgpr_private_segment_size 0
		.amdhsa_wavefront_size32 1
		.amdhsa_uses_dynamic_stack 0
		.amdhsa_enable_private_segment 0
		.amdhsa_system_sgpr_workgroup_id_x 1
		.amdhsa_system_sgpr_workgroup_id_y 0
		.amdhsa_system_sgpr_workgroup_id_z 0
		.amdhsa_system_sgpr_workgroup_info 0
		.amdhsa_system_vgpr_workitem_id 0
		.amdhsa_next_free_vgpr 94
		.amdhsa_next_free_sgpr 100
		.amdhsa_named_barrier_count 0
		.amdhsa_reserve_vcc 1
		.amdhsa_float_round_mode_32 0
		.amdhsa_float_round_mode_16_64 0
		.amdhsa_float_denorm_mode_32 3
		.amdhsa_float_denorm_mode_16_64 3
		.amdhsa_fp16_overflow 0
		.amdhsa_memory_ordered 1
		.amdhsa_forward_progress 1
		.amdhsa_inst_pref_size 66
		.amdhsa_round_robin_scheduling 0
		.amdhsa_exception_fp_ieee_invalid_op 0
		.amdhsa_exception_fp_denorm_src 0
		.amdhsa_exception_fp_ieee_div_zero 0
		.amdhsa_exception_fp_ieee_overflow 0
		.amdhsa_exception_fp_ieee_underflow 0
		.amdhsa_exception_fp_ieee_inexact 0
		.amdhsa_exception_int_div_zero 0
	.end_amdhsa_kernel
	.section	.text._ZN9rocsparseL35bsr2csr_block_per_row_33_256_kernelILj1024ELj256ELj32EfllEEv20rocsparse_direction_T4_S2_21rocsparse_index_base_PKT2_PKT3_PKS2_S2_S3_PS4_PS7_PS2_,"axG",@progbits,_ZN9rocsparseL35bsr2csr_block_per_row_33_256_kernelILj1024ELj256ELj32EfllEEv20rocsparse_direction_T4_S2_21rocsparse_index_base_PKT2_PKT3_PKS2_S2_S3_PS4_PS7_PS2_,comdat
.Lfunc_end155:
	.size	_ZN9rocsparseL35bsr2csr_block_per_row_33_256_kernelILj1024ELj256ELj32EfllEEv20rocsparse_direction_T4_S2_21rocsparse_index_base_PKT2_PKT3_PKS2_S2_S3_PS4_PS7_PS2_, .Lfunc_end155-_ZN9rocsparseL35bsr2csr_block_per_row_33_256_kernelILj1024ELj256ELj32EfllEEv20rocsparse_direction_T4_S2_21rocsparse_index_base_PKT2_PKT3_PKS2_S2_S3_PS4_PS7_PS2_
                                        ; -- End function
	.set _ZN9rocsparseL35bsr2csr_block_per_row_33_256_kernelILj1024ELj256ELj32EfllEEv20rocsparse_direction_T4_S2_21rocsparse_index_base_PKT2_PKT3_PKS2_S2_S3_PS4_PS7_PS2_.num_vgpr, 94
	.set _ZN9rocsparseL35bsr2csr_block_per_row_33_256_kernelILj1024ELj256ELj32EfllEEv20rocsparse_direction_T4_S2_21rocsparse_index_base_PKT2_PKT3_PKS2_S2_S3_PS4_PS7_PS2_.num_agpr, 0
	.set _ZN9rocsparseL35bsr2csr_block_per_row_33_256_kernelILj1024ELj256ELj32EfllEEv20rocsparse_direction_T4_S2_21rocsparse_index_base_PKT2_PKT3_PKS2_S2_S3_PS4_PS7_PS2_.numbered_sgpr, 100
	.set _ZN9rocsparseL35bsr2csr_block_per_row_33_256_kernelILj1024ELj256ELj32EfllEEv20rocsparse_direction_T4_S2_21rocsparse_index_base_PKT2_PKT3_PKS2_S2_S3_PS4_PS7_PS2_.num_named_barrier, 0
	.set _ZN9rocsparseL35bsr2csr_block_per_row_33_256_kernelILj1024ELj256ELj32EfllEEv20rocsparse_direction_T4_S2_21rocsparse_index_base_PKT2_PKT3_PKS2_S2_S3_PS4_PS7_PS2_.private_seg_size, 0
	.set _ZN9rocsparseL35bsr2csr_block_per_row_33_256_kernelILj1024ELj256ELj32EfllEEv20rocsparse_direction_T4_S2_21rocsparse_index_base_PKT2_PKT3_PKS2_S2_S3_PS4_PS7_PS2_.uses_vcc, 1
	.set _ZN9rocsparseL35bsr2csr_block_per_row_33_256_kernelILj1024ELj256ELj32EfllEEv20rocsparse_direction_T4_S2_21rocsparse_index_base_PKT2_PKT3_PKS2_S2_S3_PS4_PS7_PS2_.uses_flat_scratch, 0
	.set _ZN9rocsparseL35bsr2csr_block_per_row_33_256_kernelILj1024ELj256ELj32EfllEEv20rocsparse_direction_T4_S2_21rocsparse_index_base_PKT2_PKT3_PKS2_S2_S3_PS4_PS7_PS2_.has_dyn_sized_stack, 0
	.set _ZN9rocsparseL35bsr2csr_block_per_row_33_256_kernelILj1024ELj256ELj32EfllEEv20rocsparse_direction_T4_S2_21rocsparse_index_base_PKT2_PKT3_PKS2_S2_S3_PS4_PS7_PS2_.has_recursion, 0
	.set _ZN9rocsparseL35bsr2csr_block_per_row_33_256_kernelILj1024ELj256ELj32EfllEEv20rocsparse_direction_T4_S2_21rocsparse_index_base_PKT2_PKT3_PKS2_S2_S3_PS4_PS7_PS2_.has_indirect_call, 0
	.section	.AMDGPU.csdata,"",@progbits
; Kernel info:
; codeLenInByte = 8396
; TotalNumSgprs: 102
; NumVgprs: 94
; ScratchSize: 0
; MemoryBound: 0
; FloatMode: 240
; IeeeMode: 1
; LDSByteSize: 0 bytes/workgroup (compile time only)
; SGPRBlocks: 0
; VGPRBlocks: 5
; NumSGPRsForWavesPerEU: 102
; NumVGPRsForWavesPerEU: 94
; NamedBarCnt: 0
; Occupancy: 10
; WaveLimiterHint : 1
; COMPUTE_PGM_RSRC2:SCRATCH_EN: 0
; COMPUTE_PGM_RSRC2:USER_SGPR: 2
; COMPUTE_PGM_RSRC2:TRAP_HANDLER: 0
; COMPUTE_PGM_RSRC2:TGID_X_EN: 1
; COMPUTE_PGM_RSRC2:TGID_Y_EN: 0
; COMPUTE_PGM_RSRC2:TGID_Z_EN: 0
; COMPUTE_PGM_RSRC2:TIDIG_COMP_CNT: 0
	.section	.text._ZN9rocsparseL35bsr2csr_block_dim_equals_one_kernelILj1024E21rocsparse_complex_numIfEiiEEvT2_S3_21rocsparse_index_base_PKT0_PKT1_PKS3_S4_PS5_PS8_PS3_,"axG",@progbits,_ZN9rocsparseL35bsr2csr_block_dim_equals_one_kernelILj1024E21rocsparse_complex_numIfEiiEEvT2_S3_21rocsparse_index_base_PKT0_PKT1_PKS3_S4_PS5_PS8_PS3_,comdat
	.globl	_ZN9rocsparseL35bsr2csr_block_dim_equals_one_kernelILj1024E21rocsparse_complex_numIfEiiEEvT2_S3_21rocsparse_index_base_PKT0_PKT1_PKS3_S4_PS5_PS8_PS3_ ; -- Begin function _ZN9rocsparseL35bsr2csr_block_dim_equals_one_kernelILj1024E21rocsparse_complex_numIfEiiEEvT2_S3_21rocsparse_index_base_PKT0_PKT1_PKS3_S4_PS5_PS8_PS3_
	.p2align	8
	.type	_ZN9rocsparseL35bsr2csr_block_dim_equals_one_kernelILj1024E21rocsparse_complex_numIfEiiEEvT2_S3_21rocsparse_index_base_PKT0_PKT1_PKS3_S4_PS5_PS8_PS3_,@function
_ZN9rocsparseL35bsr2csr_block_dim_equals_one_kernelILj1024E21rocsparse_complex_numIfEiiEEvT2_S3_21rocsparse_index_base_PKT0_PKT1_PKS3_S4_PS5_PS8_PS3_: ; @_ZN9rocsparseL35bsr2csr_block_dim_equals_one_kernelILj1024E21rocsparse_complex_numIfEiiEEvT2_S3_21rocsparse_index_base_PKT0_PKT1_PKS3_S4_PS5_PS8_PS3_
; %bb.0:
	s_clause 0x5
	s_load_b64 s[2:3], s[0:1], 0x40
	s_load_b32 s14, s[0:1], 0x0
	s_load_b32 s11, s[0:1], 0x8
	s_load_b128 s[4:7], s[0:1], 0x10
	s_load_b96 s[8:10], s[0:1], 0x20
	s_load_b64 s[12:13], s[0:1], 0x30
	s_bfe_u32 s15, ttmp6, 0x4000c
	s_and_b32 s16, ttmp6, 15
	s_add_co_i32 s15, s15, 1
	s_getreg_b32 s17, hwreg(HW_REG_IB_STS2, 6, 4)
	s_mul_i32 s15, ttmp9, s15
	s_delay_alu instid0(SALU_CYCLE_1) | instskip(SKIP_2) | instid1(SALU_CYCLE_1)
	s_add_co_i32 s16, s16, s15
	s_cmp_eq_u32 s17, 0
	s_cselect_b32 s15, ttmp9, s16
	v_lshl_or_b32 v0, s15, 10, v0
	s_mov_b32 s15, exec_lo
	s_wait_kmcnt 0x0
	s_delay_alu instid0(VALU_DEP_1)
	v_cmpx_gt_i32_e64 s14, v0
	s_cbranch_execz .LBB156_6
; %bb.1:
	s_load_b64 s[16:17], s[0:1], 0x38
	s_mov_b32 s18, exec_lo
                                        ; implicit-def: $sgpr19
	v_cmpx_ne_u32_e32 0, v0
	s_xor_b32 s18, exec_lo, s18
; %bb.2:
	s_sub_co_i32 s19, s10, s11
; %bb.3:
	s_or_saveexec_b32 s18, s18
	v_mov_b32_e32 v1, s19
	s_xor_b32 exec_lo, exec_lo, s18
	s_cbranch_execz .LBB156_5
; %bb.4:
	s_load_b32 s19, s[6:7], 0x0
	s_sub_co_i32 s20, s10, s11
	s_delay_alu instid0(SALU_CYCLE_1) | instskip(SKIP_2) | instid1(SALU_CYCLE_1)
	v_mov_b32_e32 v1, s20
	s_wait_kmcnt 0x0
	s_add_co_i32 s19, s20, s19
	v_dual_mov_b32 v2, 0 :: v_dual_mov_b32 v3, s19
	global_store_b32 v2, v3, s[16:17]
.LBB156_5:
	s_wait_xcnt 0x0
	s_or_b32 exec_lo, exec_lo, s18
	global_load_b32 v2, v0, s[6:7] offset:4 scale_offset
	s_wait_loadcnt 0x0
	v_add_nc_u32_e32 v1, v1, v2
	s_wait_kmcnt 0x0
	global_store_b32 v0, v1, s[16:17] offset:4 scale_offset
.LBB156_6:
	s_wait_xcnt 0x0
	s_or_b32 exec_lo, exec_lo, s15
	s_ashr_i32 s15, s14, 31
	s_delay_alu instid0(SALU_CYCLE_1) | instskip(NEXT) | instid1(SALU_CYCLE_1)
	s_lshl_b64 s[14:15], s[14:15], 2
	s_add_nc_u64 s[14:15], s[6:7], s[14:15]
	s_clause 0x1
	s_load_b32 s16, s[14:15], 0x0
	s_load_b32 s17, s[6:7], 0x0
	s_wait_xcnt 0x0
	s_mov_b32 s7, exec_lo
	s_wait_kmcnt 0x0
	s_sub_co_i32 s6, s16, s17
	s_delay_alu instid0(SALU_CYCLE_1)
	v_cmpx_gt_i32_e64 s6, v0
	s_cbranch_execz .LBB156_9
; %bb.7:
	s_load_b32 s1, s[0:1], 0x48
	s_wait_xcnt 0x0
	s_sub_co_i32 s0, s10, s11
	s_mov_b32 s7, 0
	s_wait_kmcnt 0x0
	s_lshl_b32 s1, s1, 10
.LBB156_8:                              ; =>This Inner Loop Header: Depth=1
	s_clause 0x1
	global_load_b32 v1, v0, s[8:9] scale_offset
	global_load_b64 v[2:3], v0, s[4:5] scale_offset
	s_wait_loadcnt 0x1
	v_add_nc_u32_e32 v1, s0, v1
	global_store_b32 v0, v1, s[2:3] scale_offset
	s_wait_loadcnt 0x0
	global_store_b64 v0, v[2:3], s[12:13] scale_offset
	s_wait_xcnt 0x0
	v_add_nc_u32_e32 v0, s1, v0
	s_delay_alu instid0(VALU_DEP_1) | instskip(SKIP_1) | instid1(SALU_CYCLE_1)
	v_cmp_le_i32_e32 vcc_lo, s6, v0
	s_or_b32 s7, vcc_lo, s7
	s_and_not1_b32 exec_lo, exec_lo, s7
	s_cbranch_execnz .LBB156_8
.LBB156_9:
	s_endpgm
	.section	.rodata,"a",@progbits
	.p2align	6, 0x0
	.amdhsa_kernel _ZN9rocsparseL35bsr2csr_block_dim_equals_one_kernelILj1024E21rocsparse_complex_numIfEiiEEvT2_S3_21rocsparse_index_base_PKT0_PKT1_PKS3_S4_PS5_PS8_PS3_
		.amdhsa_group_segment_fixed_size 0
		.amdhsa_private_segment_fixed_size 0
		.amdhsa_kernarg_size 328
		.amdhsa_user_sgpr_count 2
		.amdhsa_user_sgpr_dispatch_ptr 0
		.amdhsa_user_sgpr_queue_ptr 0
		.amdhsa_user_sgpr_kernarg_segment_ptr 1
		.amdhsa_user_sgpr_dispatch_id 0
		.amdhsa_user_sgpr_kernarg_preload_length 0
		.amdhsa_user_sgpr_kernarg_preload_offset 0
		.amdhsa_user_sgpr_private_segment_size 0
		.amdhsa_wavefront_size32 1
		.amdhsa_uses_dynamic_stack 0
		.amdhsa_enable_private_segment 0
		.amdhsa_system_sgpr_workgroup_id_x 1
		.amdhsa_system_sgpr_workgroup_id_y 0
		.amdhsa_system_sgpr_workgroup_id_z 0
		.amdhsa_system_sgpr_workgroup_info 0
		.amdhsa_system_vgpr_workitem_id 0
		.amdhsa_next_free_vgpr 4
		.amdhsa_next_free_sgpr 21
		.amdhsa_named_barrier_count 0
		.amdhsa_reserve_vcc 1
		.amdhsa_float_round_mode_32 0
		.amdhsa_float_round_mode_16_64 0
		.amdhsa_float_denorm_mode_32 3
		.amdhsa_float_denorm_mode_16_64 3
		.amdhsa_fp16_overflow 0
		.amdhsa_memory_ordered 1
		.amdhsa_forward_progress 1
		.amdhsa_inst_pref_size 4
		.amdhsa_round_robin_scheduling 0
		.amdhsa_exception_fp_ieee_invalid_op 0
		.amdhsa_exception_fp_denorm_src 0
		.amdhsa_exception_fp_ieee_div_zero 0
		.amdhsa_exception_fp_ieee_overflow 0
		.amdhsa_exception_fp_ieee_underflow 0
		.amdhsa_exception_fp_ieee_inexact 0
		.amdhsa_exception_int_div_zero 0
	.end_amdhsa_kernel
	.section	.text._ZN9rocsparseL35bsr2csr_block_dim_equals_one_kernelILj1024E21rocsparse_complex_numIfEiiEEvT2_S3_21rocsparse_index_base_PKT0_PKT1_PKS3_S4_PS5_PS8_PS3_,"axG",@progbits,_ZN9rocsparseL35bsr2csr_block_dim_equals_one_kernelILj1024E21rocsparse_complex_numIfEiiEEvT2_S3_21rocsparse_index_base_PKT0_PKT1_PKS3_S4_PS5_PS8_PS3_,comdat
.Lfunc_end156:
	.size	_ZN9rocsparseL35bsr2csr_block_dim_equals_one_kernelILj1024E21rocsparse_complex_numIfEiiEEvT2_S3_21rocsparse_index_base_PKT0_PKT1_PKS3_S4_PS5_PS8_PS3_, .Lfunc_end156-_ZN9rocsparseL35bsr2csr_block_dim_equals_one_kernelILj1024E21rocsparse_complex_numIfEiiEEvT2_S3_21rocsparse_index_base_PKT0_PKT1_PKS3_S4_PS5_PS8_PS3_
                                        ; -- End function
	.set _ZN9rocsparseL35bsr2csr_block_dim_equals_one_kernelILj1024E21rocsparse_complex_numIfEiiEEvT2_S3_21rocsparse_index_base_PKT0_PKT1_PKS3_S4_PS5_PS8_PS3_.num_vgpr, 4
	.set _ZN9rocsparseL35bsr2csr_block_dim_equals_one_kernelILj1024E21rocsparse_complex_numIfEiiEEvT2_S3_21rocsparse_index_base_PKT0_PKT1_PKS3_S4_PS5_PS8_PS3_.num_agpr, 0
	.set _ZN9rocsparseL35bsr2csr_block_dim_equals_one_kernelILj1024E21rocsparse_complex_numIfEiiEEvT2_S3_21rocsparse_index_base_PKT0_PKT1_PKS3_S4_PS5_PS8_PS3_.numbered_sgpr, 21
	.set _ZN9rocsparseL35bsr2csr_block_dim_equals_one_kernelILj1024E21rocsparse_complex_numIfEiiEEvT2_S3_21rocsparse_index_base_PKT0_PKT1_PKS3_S4_PS5_PS8_PS3_.num_named_barrier, 0
	.set _ZN9rocsparseL35bsr2csr_block_dim_equals_one_kernelILj1024E21rocsparse_complex_numIfEiiEEvT2_S3_21rocsparse_index_base_PKT0_PKT1_PKS3_S4_PS5_PS8_PS3_.private_seg_size, 0
	.set _ZN9rocsparseL35bsr2csr_block_dim_equals_one_kernelILj1024E21rocsparse_complex_numIfEiiEEvT2_S3_21rocsparse_index_base_PKT0_PKT1_PKS3_S4_PS5_PS8_PS3_.uses_vcc, 1
	.set _ZN9rocsparseL35bsr2csr_block_dim_equals_one_kernelILj1024E21rocsparse_complex_numIfEiiEEvT2_S3_21rocsparse_index_base_PKT0_PKT1_PKS3_S4_PS5_PS8_PS3_.uses_flat_scratch, 0
	.set _ZN9rocsparseL35bsr2csr_block_dim_equals_one_kernelILj1024E21rocsparse_complex_numIfEiiEEvT2_S3_21rocsparse_index_base_PKT0_PKT1_PKS3_S4_PS5_PS8_PS3_.has_dyn_sized_stack, 0
	.set _ZN9rocsparseL35bsr2csr_block_dim_equals_one_kernelILj1024E21rocsparse_complex_numIfEiiEEvT2_S3_21rocsparse_index_base_PKT0_PKT1_PKS3_S4_PS5_PS8_PS3_.has_recursion, 0
	.set _ZN9rocsparseL35bsr2csr_block_dim_equals_one_kernelILj1024E21rocsparse_complex_numIfEiiEEvT2_S3_21rocsparse_index_base_PKT0_PKT1_PKS3_S4_PS5_PS8_PS3_.has_indirect_call, 0
	.section	.AMDGPU.csdata,"",@progbits
; Kernel info:
; codeLenInByte = 456
; TotalNumSgprs: 23
; NumVgprs: 4
; ScratchSize: 0
; MemoryBound: 0
; FloatMode: 240
; IeeeMode: 1
; LDSByteSize: 0 bytes/workgroup (compile time only)
; SGPRBlocks: 0
; VGPRBlocks: 0
; NumSGPRsForWavesPerEU: 23
; NumVGPRsForWavesPerEU: 4
; NamedBarCnt: 0
; Occupancy: 16
; WaveLimiterHint : 0
; COMPUTE_PGM_RSRC2:SCRATCH_EN: 0
; COMPUTE_PGM_RSRC2:USER_SGPR: 2
; COMPUTE_PGM_RSRC2:TRAP_HANDLER: 0
; COMPUTE_PGM_RSRC2:TGID_X_EN: 1
; COMPUTE_PGM_RSRC2:TGID_Y_EN: 0
; COMPUTE_PGM_RSRC2:TGID_Z_EN: 0
; COMPUTE_PGM_RSRC2:TIDIG_COMP_CNT: 0
	.section	.text._ZN9rocsparseL32bsr2csr_block_per_row_2_7_kernelILj256ELj2E21rocsparse_complex_numIfEiiEEv20rocsparse_direction_T3_S4_21rocsparse_index_base_PKT1_PKT2_PKS4_S4_S5_PS6_PS9_PS4_,"axG",@progbits,_ZN9rocsparseL32bsr2csr_block_per_row_2_7_kernelILj256ELj2E21rocsparse_complex_numIfEiiEEv20rocsparse_direction_T3_S4_21rocsparse_index_base_PKT1_PKT2_PKS4_S4_S5_PS6_PS9_PS4_,comdat
	.globl	_ZN9rocsparseL32bsr2csr_block_per_row_2_7_kernelILj256ELj2E21rocsparse_complex_numIfEiiEEv20rocsparse_direction_T3_S4_21rocsparse_index_base_PKT1_PKT2_PKS4_S4_S5_PS6_PS9_PS4_ ; -- Begin function _ZN9rocsparseL32bsr2csr_block_per_row_2_7_kernelILj256ELj2E21rocsparse_complex_numIfEiiEEv20rocsparse_direction_T3_S4_21rocsparse_index_base_PKT1_PKT2_PKS4_S4_S5_PS6_PS9_PS4_
	.p2align	8
	.type	_ZN9rocsparseL32bsr2csr_block_per_row_2_7_kernelILj256ELj2E21rocsparse_complex_numIfEiiEEv20rocsparse_direction_T3_S4_21rocsparse_index_base_PKT1_PKT2_PKS4_S4_S5_PS6_PS9_PS4_,@function
_ZN9rocsparseL32bsr2csr_block_per_row_2_7_kernelILj256ELj2E21rocsparse_complex_numIfEiiEEv20rocsparse_direction_T3_S4_21rocsparse_index_base_PKT1_PKT2_PKS4_S4_S5_PS6_PS9_PS4_: ; @_ZN9rocsparseL32bsr2csr_block_per_row_2_7_kernelILj256ELj2E21rocsparse_complex_numIfEiiEEv20rocsparse_direction_T3_S4_21rocsparse_index_base_PKT1_PKT2_PKS4_S4_S5_PS6_PS9_PS4_
; %bb.0:
	s_load_b64 s[6:7], s[0:1], 0x18
	s_bfe_u32 s2, ttmp6, 0x4000c
	s_and_b32 s3, ttmp6, 15
	s_add_co_i32 s2, s2, 1
	s_getreg_b32 s4, hwreg(HW_REG_IB_STS2, 6, 4)
	s_mul_i32 s2, ttmp9, s2
	s_delay_alu instid0(SALU_CYCLE_1)
	s_add_co_i32 s3, s3, s2
	s_cmp_eq_u32 s4, 0
	s_cselect_b32 s4, ttmp9, s3
	s_clause 0x1
	s_load_b32 s12, s[0:1], 0x2c
	s_load_b64 s[2:3], s[0:1], 0x38
	s_ashr_i32 s5, s4, 31
	v_or_b32_e32 v1, s4, v0
	s_lshl_b64 s[8:9], s[4:5], 2
	s_mov_b32 s5, exec_lo
	s_wait_kmcnt 0x0
	s_add_nc_u64 s[6:7], s[6:7], s[8:9]
	s_load_b64 s[10:11], s[6:7], 0x0
	v_cmpx_eq_u32_e32 0, v1
	s_cbranch_execz .LBB157_2
; %bb.1:
	v_dual_mov_b32 v1, 0 :: v_dual_mov_b32 v2, s12
	global_store_b32 v1, v2, s[2:3]
.LBB157_2:
	s_wait_xcnt 0x0
	s_or_b32 exec_lo, exec_lo, s5
	s_load_b32 s13, s[0:1], 0xc
	v_dual_lshrrev_b32 v0, 1, v0 :: v_dual_bitop2_b32 v1, 1, v0 bitop3:0x40
	s_delay_alu instid0(VALU_DEP_1) | instskip(NEXT) | instid1(VALU_DEP_1)
	v_lshl_or_b32 v4, s4, 1, v1
	v_add_nc_u32_e32 v4, 1, v4
	s_wait_kmcnt 0x0
	s_sub_co_i32 s5, s10, s13
	s_sub_co_i32 s11, s11, s13
	s_lshl_b32 s4, s5, 2
	s_sub_co_i32 s6, s11, s5
	v_add_nc_u32_e32 v2, s5, v0
	s_lshl_b32 s6, s6, 1
	s_delay_alu instid0(SALU_CYCLE_1)
	v_mul_lo_u32 v3, s6, v1
	s_add_co_i32 s6, s6, s12
	s_delay_alu instid0(VALU_DEP_1) | instid1(SALU_CYCLE_1)
	v_add3_u32 v5, s6, s4, v3
	global_store_b32 v4, v5, s[2:3] scale_offset
	s_wait_xcnt 0x0
	s_mov_b32 s2, exec_lo
	v_cmpx_gt_i32_e64 s11, v2
	s_cbranch_execz .LBB157_5
; %bb.3:
	s_clause 0x4
	s_load_b64 s[2:3], s[0:1], 0x20
	s_load_b64 s[4:5], s[0:1], 0x30
	s_load_b32 s14, s[0:1], 0x0
	s_load_b64 s[6:7], s[0:1], 0x10
	s_load_b64 s[8:9], s[0:1], 0x40
	v_dual_lshlrev_b32 v0, 1, v0 :: v_dual_lshlrev_b32 v4, 2, v2
	s_wait_xcnt 0x0
	s_mov_b32 s1, 0
	s_wait_kmcnt 0x0
	s_cmp_eq_u32 s14, 0
	s_cselect_b32 vcc_lo, -1, 0
	s_lshl_b32 s0, s10, 2
	s_delay_alu instid0(SALU_CYCLE_1) | instskip(SKIP_3) | instid1(VALU_DEP_3)
	v_add3_u32 v0, v3, s0, v0
	s_lshl_b32 s0, s13, 2
	v_lshl_or_b32 v3, v1, 1, v4
	v_or_b32_e32 v4, v4, v1
	v_subrev_nc_u32_e32 v0, s0, v0
.LBB157_4:                              ; =>This Inner Loop Header: Depth=1
	global_load_b32 v1, v2, s[2:3] scale_offset
	v_dual_add_nc_u32 v5, 1, v3 :: v_dual_add_nc_u32 v6, 2, v4
	v_cndmask_b32_e32 v10, v4, v3, vcc_lo
	s_wait_xcnt 0x0
	v_add_nc_u32_e32 v2, 0x80, v2
	v_add_nc_u32_e32 v3, 0x200, v3
	v_dual_cndmask_b32 v5, v6, v5 :: v_dual_add_nc_u32 v4, 0x200, v4
	s_clause 0x1
	global_load_b64 v[6:7], v10, s[6:7] scale_offset
	global_load_b64 v[8:9], v5, s[6:7] scale_offset
	v_cmp_le_i32_e64 s0, s11, v2
	s_or_b32 s1, s0, s1
	s_wait_loadcnt 0x2
	s_wait_xcnt 0x0
	v_subrev_nc_u32_e32 v5, s13, v1
	s_delay_alu instid0(VALU_DEP_1) | instskip(NEXT) | instid1(VALU_DEP_1)
	v_lshl_add_u32 v10, v5, 1, s12
	v_dual_ashrrev_i32 v1, 31, v0 :: v_dual_add_nc_u32 v11, 1, v10
	s_delay_alu instid0(VALU_DEP_1)
	v_lshl_add_u64 v[12:13], v[0:1], 2, s[8:9]
	v_lshl_add_u64 v[14:15], v[0:1], 3, s[4:5]
	v_add_nc_u32_e32 v0, 0x100, v0
	s_wait_loadcnt 0x0
	global_store_b128 v[14:15], v[6:9], off
	global_store_b64 v[12:13], v[10:11], off
	s_wait_xcnt 0x0
	s_and_not1_b32 exec_lo, exec_lo, s1
	s_cbranch_execnz .LBB157_4
.LBB157_5:
	s_endpgm
	.section	.rodata,"a",@progbits
	.p2align	6, 0x0
	.amdhsa_kernel _ZN9rocsparseL32bsr2csr_block_per_row_2_7_kernelILj256ELj2E21rocsparse_complex_numIfEiiEEv20rocsparse_direction_T3_S4_21rocsparse_index_base_PKT1_PKT2_PKS4_S4_S5_PS6_PS9_PS4_
		.amdhsa_group_segment_fixed_size 0
		.amdhsa_private_segment_fixed_size 0
		.amdhsa_kernarg_size 72
		.amdhsa_user_sgpr_count 2
		.amdhsa_user_sgpr_dispatch_ptr 0
		.amdhsa_user_sgpr_queue_ptr 0
		.amdhsa_user_sgpr_kernarg_segment_ptr 1
		.amdhsa_user_sgpr_dispatch_id 0
		.amdhsa_user_sgpr_kernarg_preload_length 0
		.amdhsa_user_sgpr_kernarg_preload_offset 0
		.amdhsa_user_sgpr_private_segment_size 0
		.amdhsa_wavefront_size32 1
		.amdhsa_uses_dynamic_stack 0
		.amdhsa_enable_private_segment 0
		.amdhsa_system_sgpr_workgroup_id_x 1
		.amdhsa_system_sgpr_workgroup_id_y 0
		.amdhsa_system_sgpr_workgroup_id_z 0
		.amdhsa_system_sgpr_workgroup_info 0
		.amdhsa_system_vgpr_workitem_id 0
		.amdhsa_next_free_vgpr 16
		.amdhsa_next_free_sgpr 15
		.amdhsa_named_barrier_count 0
		.amdhsa_reserve_vcc 1
		.amdhsa_float_round_mode_32 0
		.amdhsa_float_round_mode_16_64 0
		.amdhsa_float_denorm_mode_32 3
		.amdhsa_float_denorm_mode_16_64 3
		.amdhsa_fp16_overflow 0
		.amdhsa_memory_ordered 1
		.amdhsa_forward_progress 1
		.amdhsa_inst_pref_size 5
		.amdhsa_round_robin_scheduling 0
		.amdhsa_exception_fp_ieee_invalid_op 0
		.amdhsa_exception_fp_denorm_src 0
		.amdhsa_exception_fp_ieee_div_zero 0
		.amdhsa_exception_fp_ieee_overflow 0
		.amdhsa_exception_fp_ieee_underflow 0
		.amdhsa_exception_fp_ieee_inexact 0
		.amdhsa_exception_int_div_zero 0
	.end_amdhsa_kernel
	.section	.text._ZN9rocsparseL32bsr2csr_block_per_row_2_7_kernelILj256ELj2E21rocsparse_complex_numIfEiiEEv20rocsparse_direction_T3_S4_21rocsparse_index_base_PKT1_PKT2_PKS4_S4_S5_PS6_PS9_PS4_,"axG",@progbits,_ZN9rocsparseL32bsr2csr_block_per_row_2_7_kernelILj256ELj2E21rocsparse_complex_numIfEiiEEv20rocsparse_direction_T3_S4_21rocsparse_index_base_PKT1_PKT2_PKS4_S4_S5_PS6_PS9_PS4_,comdat
.Lfunc_end157:
	.size	_ZN9rocsparseL32bsr2csr_block_per_row_2_7_kernelILj256ELj2E21rocsparse_complex_numIfEiiEEv20rocsparse_direction_T3_S4_21rocsparse_index_base_PKT1_PKT2_PKS4_S4_S5_PS6_PS9_PS4_, .Lfunc_end157-_ZN9rocsparseL32bsr2csr_block_per_row_2_7_kernelILj256ELj2E21rocsparse_complex_numIfEiiEEv20rocsparse_direction_T3_S4_21rocsparse_index_base_PKT1_PKT2_PKS4_S4_S5_PS6_PS9_PS4_
                                        ; -- End function
	.set _ZN9rocsparseL32bsr2csr_block_per_row_2_7_kernelILj256ELj2E21rocsparse_complex_numIfEiiEEv20rocsparse_direction_T3_S4_21rocsparse_index_base_PKT1_PKT2_PKS4_S4_S5_PS6_PS9_PS4_.num_vgpr, 16
	.set _ZN9rocsparseL32bsr2csr_block_per_row_2_7_kernelILj256ELj2E21rocsparse_complex_numIfEiiEEv20rocsparse_direction_T3_S4_21rocsparse_index_base_PKT1_PKT2_PKS4_S4_S5_PS6_PS9_PS4_.num_agpr, 0
	.set _ZN9rocsparseL32bsr2csr_block_per_row_2_7_kernelILj256ELj2E21rocsparse_complex_numIfEiiEEv20rocsparse_direction_T3_S4_21rocsparse_index_base_PKT1_PKT2_PKS4_S4_S5_PS6_PS9_PS4_.numbered_sgpr, 15
	.set _ZN9rocsparseL32bsr2csr_block_per_row_2_7_kernelILj256ELj2E21rocsparse_complex_numIfEiiEEv20rocsparse_direction_T3_S4_21rocsparse_index_base_PKT1_PKT2_PKS4_S4_S5_PS6_PS9_PS4_.num_named_barrier, 0
	.set _ZN9rocsparseL32bsr2csr_block_per_row_2_7_kernelILj256ELj2E21rocsparse_complex_numIfEiiEEv20rocsparse_direction_T3_S4_21rocsparse_index_base_PKT1_PKT2_PKS4_S4_S5_PS6_PS9_PS4_.private_seg_size, 0
	.set _ZN9rocsparseL32bsr2csr_block_per_row_2_7_kernelILj256ELj2E21rocsparse_complex_numIfEiiEEv20rocsparse_direction_T3_S4_21rocsparse_index_base_PKT1_PKT2_PKS4_S4_S5_PS6_PS9_PS4_.uses_vcc, 1
	.set _ZN9rocsparseL32bsr2csr_block_per_row_2_7_kernelILj256ELj2E21rocsparse_complex_numIfEiiEEv20rocsparse_direction_T3_S4_21rocsparse_index_base_PKT1_PKT2_PKS4_S4_S5_PS6_PS9_PS4_.uses_flat_scratch, 0
	.set _ZN9rocsparseL32bsr2csr_block_per_row_2_7_kernelILj256ELj2E21rocsparse_complex_numIfEiiEEv20rocsparse_direction_T3_S4_21rocsparse_index_base_PKT1_PKT2_PKS4_S4_S5_PS6_PS9_PS4_.has_dyn_sized_stack, 0
	.set _ZN9rocsparseL32bsr2csr_block_per_row_2_7_kernelILj256ELj2E21rocsparse_complex_numIfEiiEEv20rocsparse_direction_T3_S4_21rocsparse_index_base_PKT1_PKT2_PKS4_S4_S5_PS6_PS9_PS4_.has_recursion, 0
	.set _ZN9rocsparseL32bsr2csr_block_per_row_2_7_kernelILj256ELj2E21rocsparse_complex_numIfEiiEEv20rocsparse_direction_T3_S4_21rocsparse_index_base_PKT1_PKT2_PKS4_S4_S5_PS6_PS9_PS4_.has_indirect_call, 0
	.section	.AMDGPU.csdata,"",@progbits
; Kernel info:
; codeLenInByte = 580
; TotalNumSgprs: 17
; NumVgprs: 16
; ScratchSize: 0
; MemoryBound: 0
; FloatMode: 240
; IeeeMode: 1
; LDSByteSize: 0 bytes/workgroup (compile time only)
; SGPRBlocks: 0
; VGPRBlocks: 0
; NumSGPRsForWavesPerEU: 17
; NumVGPRsForWavesPerEU: 16
; NamedBarCnt: 0
; Occupancy: 16
; WaveLimiterHint : 0
; COMPUTE_PGM_RSRC2:SCRATCH_EN: 0
; COMPUTE_PGM_RSRC2:USER_SGPR: 2
; COMPUTE_PGM_RSRC2:TRAP_HANDLER: 0
; COMPUTE_PGM_RSRC2:TGID_X_EN: 1
; COMPUTE_PGM_RSRC2:TGID_Y_EN: 0
; COMPUTE_PGM_RSRC2:TGID_Z_EN: 0
; COMPUTE_PGM_RSRC2:TIDIG_COMP_CNT: 0
	.section	.text._ZN9rocsparseL32bsr2csr_block_per_row_2_7_kernelILj256ELj3E21rocsparse_complex_numIfEiiEEv20rocsparse_direction_T3_S4_21rocsparse_index_base_PKT1_PKT2_PKS4_S4_S5_PS6_PS9_PS4_,"axG",@progbits,_ZN9rocsparseL32bsr2csr_block_per_row_2_7_kernelILj256ELj3E21rocsparse_complex_numIfEiiEEv20rocsparse_direction_T3_S4_21rocsparse_index_base_PKT1_PKT2_PKS4_S4_S5_PS6_PS9_PS4_,comdat
	.globl	_ZN9rocsparseL32bsr2csr_block_per_row_2_7_kernelILj256ELj3E21rocsparse_complex_numIfEiiEEv20rocsparse_direction_T3_S4_21rocsparse_index_base_PKT1_PKT2_PKS4_S4_S5_PS6_PS9_PS4_ ; -- Begin function _ZN9rocsparseL32bsr2csr_block_per_row_2_7_kernelILj256ELj3E21rocsparse_complex_numIfEiiEEv20rocsparse_direction_T3_S4_21rocsparse_index_base_PKT1_PKT2_PKS4_S4_S5_PS6_PS9_PS4_
	.p2align	8
	.type	_ZN9rocsparseL32bsr2csr_block_per_row_2_7_kernelILj256ELj3E21rocsparse_complex_numIfEiiEEv20rocsparse_direction_T3_S4_21rocsparse_index_base_PKT1_PKT2_PKS4_S4_S5_PS6_PS9_PS4_,@function
_ZN9rocsparseL32bsr2csr_block_per_row_2_7_kernelILj256ELj3E21rocsparse_complex_numIfEiiEEv20rocsparse_direction_T3_S4_21rocsparse_index_base_PKT1_PKT2_PKS4_S4_S5_PS6_PS9_PS4_: ; @_ZN9rocsparseL32bsr2csr_block_per_row_2_7_kernelILj256ELj3E21rocsparse_complex_numIfEiiEEv20rocsparse_direction_T3_S4_21rocsparse_index_base_PKT1_PKT2_PKS4_S4_S5_PS6_PS9_PS4_
; %bb.0:
	s_clause 0x1
	s_load_b32 s12, s[0:1], 0x2c
	s_load_b64 s[2:3], s[0:1], 0x38
	s_bfe_u32 s4, ttmp6, 0x4000c
	s_and_b32 s5, ttmp6, 15
	s_add_co_i32 s4, s4, 1
	s_getreg_b32 s6, hwreg(HW_REG_IB_STS2, 6, 4)
	s_mul_i32 s4, ttmp9, s4
	s_delay_alu instid0(SALU_CYCLE_1) | instskip(SKIP_4) | instid1(VALU_DEP_1)
	s_add_co_i32 s5, s5, s4
	s_cmp_eq_u32 s6, 0
	s_cselect_b32 s4, ttmp9, s5
	s_mov_b32 s5, exec_lo
	v_or_b32_e32 v1, s4, v0
	v_cmpx_eq_u32_e32 0, v1
	s_cbranch_execz .LBB158_2
; %bb.1:
	s_wait_kmcnt 0x0
	v_dual_mov_b32 v1, 0 :: v_dual_mov_b32 v2, s12
	global_store_b32 v1, v2, s[2:3]
.LBB158_2:
	s_wait_xcnt 0x0
	s_or_b32 exec_lo, exec_lo, s5
	v_and_b32_e32 v1, 3, v0
	s_mov_b32 s5, exec_lo
	s_delay_alu instid0(VALU_DEP_1)
	v_cmpx_ne_u32_e32 3, v1
	s_cbranch_execz .LBB158_6
; %bb.3:
	s_clause 0x1
	s_load_b64 s[6:7], s[0:1], 0x18
	s_load_b32 s13, s[0:1], 0xc
	s_ashr_i32 s5, s4, 31
	v_lshrrev_b32_e32 v0, 2, v0
	s_lshl_b64 s[8:9], s[4:5], 2
	s_mul_i32 s4, s4, 3
	s_delay_alu instid0(SALU_CYCLE_1)
	v_add3_u32 v5, v1, s4, 1
	s_wait_kmcnt 0x0
	s_add_nc_u64 s[6:7], s[6:7], s[8:9]
	s_load_b64 s[10:11], s[6:7], 0x0
	s_wait_kmcnt 0x0
	s_sub_co_i32 s5, s10, s13
	s_sub_co_i32 s11, s11, s13
	v_add_nc_u32_e32 v2, s5, v0
	s_sub_co_i32 s6, s11, s5
	s_mul_i32 s7, s5, 9
	s_mul_i32 s6, s6, 3
	s_delay_alu instid0(SALU_CYCLE_1) | instskip(SKIP_2) | instid1(VALU_DEP_2)
	v_mul_lo_u32 v3, s6, v1
	s_add_co_i32 s6, s6, s12
	v_cmp_gt_i32_e32 vcc_lo, s11, v2
	v_add3_u32 v4, s6, s7, v3
	global_store_b32 v5, v4, s[2:3] scale_offset
	s_wait_xcnt 0x0
	s_and_b32 exec_lo, exec_lo, vcc_lo
	s_cbranch_execz .LBB158_6
; %bb.4:
	s_clause 0x2
	s_load_b64 s[2:3], s[0:1], 0x20
	s_load_b64 s[4:5], s[0:1], 0x30
	s_load_b32 s14, s[0:1], 0x0
	v_add_nc_u32_e32 v4, s10, v0
	v_mul_u32_u24_e32 v5, 3, v1
	s_clause 0x1
	s_load_b64 s[6:7], s[0:1], 0x10
	s_load_b64 s[8:9], s[0:1], 0x40
	v_mul_u32_u24_e32 v0, 3, v0
	s_wait_xcnt 0x0
	s_mul_i32 s0, s10, 9
	s_mov_b32 s1, 0
	v_mad_u32 v4, v4, 9, v5
	s_mov_b32 s10, 0
	v_add3_u32 v0, v3, s0, v0
	v_mad_u32 v3, v2, 9, v1
	s_mul_i32 s0, s13, 9
	s_delay_alu instid0(VALU_DEP_2) | instid1(SALU_CYCLE_1)
	v_subrev_nc_u32_e32 v0, s0, v0
	s_delay_alu instid0(VALU_DEP_4)
	v_subrev_nc_u32_e32 v4, s0, v4
	s_wait_kmcnt 0x0
	s_cmp_eq_u32 s14, 0
	s_cselect_b32 vcc_lo, -1, 0
.LBB158_5:                              ; =>This Inner Loop Header: Depth=1
	global_load_b32 v1, v2, s[2:3] scale_offset
	v_dual_add_nc_u32 v5, s10, v4 :: v_dual_add_nc_u32 v6, s10, v3
	s_addk_co_i32 s10, 0x240
	s_wait_xcnt 0x0
	s_delay_alu instid0(VALU_DEP_1) | instskip(NEXT) | instid1(VALU_DEP_2)
	v_dual_add_nc_u32 v2, 64, v2 :: v_dual_add_nc_u32 v7, 2, v5
	v_dual_add_nc_u32 v8, 6, v6 :: v_dual_add_nc_u32 v9, 1, v5
	v_dual_cndmask_b32 v5, v6, v5 :: v_dual_add_nc_u32 v10, 3, v6
	s_delay_alu instid0(VALU_DEP_3) | instskip(NEXT) | instid1(VALU_DEP_2)
	v_cmp_le_i32_e64 s0, s11, v2
	v_dual_cndmask_b32 v11, v8, v7 :: v_dual_cndmask_b32 v10, v10, v9
	s_clause 0x2
	global_load_b64 v[6:7], v5, s[6:7] scale_offset
	global_load_b64 v[12:13], v11, s[6:7] scale_offset
	;; [unrolled: 1-line block ×3, first 2 shown]
	s_or_b32 s1, s0, s1
	s_wait_loadcnt 0x3
	v_subrev_nc_u32_e32 v1, s13, v1
	s_wait_xcnt 0x0
	s_delay_alu instid0(VALU_DEP_1) | instskip(NEXT) | instid1(VALU_DEP_1)
	v_mad_u32 v10, v1, 3, s12
	v_dual_ashrrev_i32 v1, 31, v0 :: v_dual_add_nc_u32 v11, 1, v10
	s_delay_alu instid0(VALU_DEP_1)
	v_lshl_add_u64 v[14:15], v[0:1], 2, s[8:9]
	v_lshl_add_u64 v[16:17], v[0:1], 3, s[4:5]
	s_wait_loadcnt 0x1
	global_store_b64 v0, v[12:13], s[4:5] offset:16 scale_offset
	s_wait_xcnt 0x0
	v_add_nc_u32_e32 v0, 0xc0, v0
	v_add_nc_u32_e32 v12, 2, v10
	s_wait_loadcnt 0x0
	global_store_b128 v[16:17], v[6:9], off
	global_store_b96 v[14:15], v[10:12], off
	s_wait_xcnt 0x0
	s_and_not1_b32 exec_lo, exec_lo, s1
	s_cbranch_execnz .LBB158_5
.LBB158_6:
	s_endpgm
	.section	.rodata,"a",@progbits
	.p2align	6, 0x0
	.amdhsa_kernel _ZN9rocsparseL32bsr2csr_block_per_row_2_7_kernelILj256ELj3E21rocsparse_complex_numIfEiiEEv20rocsparse_direction_T3_S4_21rocsparse_index_base_PKT1_PKT2_PKS4_S4_S5_PS6_PS9_PS4_
		.amdhsa_group_segment_fixed_size 0
		.amdhsa_private_segment_fixed_size 0
		.amdhsa_kernarg_size 72
		.amdhsa_user_sgpr_count 2
		.amdhsa_user_sgpr_dispatch_ptr 0
		.amdhsa_user_sgpr_queue_ptr 0
		.amdhsa_user_sgpr_kernarg_segment_ptr 1
		.amdhsa_user_sgpr_dispatch_id 0
		.amdhsa_user_sgpr_kernarg_preload_length 0
		.amdhsa_user_sgpr_kernarg_preload_offset 0
		.amdhsa_user_sgpr_private_segment_size 0
		.amdhsa_wavefront_size32 1
		.amdhsa_uses_dynamic_stack 0
		.amdhsa_enable_private_segment 0
		.amdhsa_system_sgpr_workgroup_id_x 1
		.amdhsa_system_sgpr_workgroup_id_y 0
		.amdhsa_system_sgpr_workgroup_id_z 0
		.amdhsa_system_sgpr_workgroup_info 0
		.amdhsa_system_vgpr_workitem_id 0
		.amdhsa_next_free_vgpr 18
		.amdhsa_next_free_sgpr 15
		.amdhsa_named_barrier_count 0
		.amdhsa_reserve_vcc 1
		.amdhsa_float_round_mode_32 0
		.amdhsa_float_round_mode_16_64 0
		.amdhsa_float_denorm_mode_32 3
		.amdhsa_float_denorm_mode_16_64 3
		.amdhsa_fp16_overflow 0
		.amdhsa_memory_ordered 1
		.amdhsa_forward_progress 1
		.amdhsa_inst_pref_size 6
		.amdhsa_round_robin_scheduling 0
		.amdhsa_exception_fp_ieee_invalid_op 0
		.amdhsa_exception_fp_denorm_src 0
		.amdhsa_exception_fp_ieee_div_zero 0
		.amdhsa_exception_fp_ieee_overflow 0
		.amdhsa_exception_fp_ieee_underflow 0
		.amdhsa_exception_fp_ieee_inexact 0
		.amdhsa_exception_int_div_zero 0
	.end_amdhsa_kernel
	.section	.text._ZN9rocsparseL32bsr2csr_block_per_row_2_7_kernelILj256ELj3E21rocsparse_complex_numIfEiiEEv20rocsparse_direction_T3_S4_21rocsparse_index_base_PKT1_PKT2_PKS4_S4_S5_PS6_PS9_PS4_,"axG",@progbits,_ZN9rocsparseL32bsr2csr_block_per_row_2_7_kernelILj256ELj3E21rocsparse_complex_numIfEiiEEv20rocsparse_direction_T3_S4_21rocsparse_index_base_PKT1_PKT2_PKS4_S4_S5_PS6_PS9_PS4_,comdat
.Lfunc_end158:
	.size	_ZN9rocsparseL32bsr2csr_block_per_row_2_7_kernelILj256ELj3E21rocsparse_complex_numIfEiiEEv20rocsparse_direction_T3_S4_21rocsparse_index_base_PKT1_PKT2_PKS4_S4_S5_PS6_PS9_PS4_, .Lfunc_end158-_ZN9rocsparseL32bsr2csr_block_per_row_2_7_kernelILj256ELj3E21rocsparse_complex_numIfEiiEEv20rocsparse_direction_T3_S4_21rocsparse_index_base_PKT1_PKT2_PKS4_S4_S5_PS6_PS9_PS4_
                                        ; -- End function
	.set _ZN9rocsparseL32bsr2csr_block_per_row_2_7_kernelILj256ELj3E21rocsparse_complex_numIfEiiEEv20rocsparse_direction_T3_S4_21rocsparse_index_base_PKT1_PKT2_PKS4_S4_S5_PS6_PS9_PS4_.num_vgpr, 18
	.set _ZN9rocsparseL32bsr2csr_block_per_row_2_7_kernelILj256ELj3E21rocsparse_complex_numIfEiiEEv20rocsparse_direction_T3_S4_21rocsparse_index_base_PKT1_PKT2_PKS4_S4_S5_PS6_PS9_PS4_.num_agpr, 0
	.set _ZN9rocsparseL32bsr2csr_block_per_row_2_7_kernelILj256ELj3E21rocsparse_complex_numIfEiiEEv20rocsparse_direction_T3_S4_21rocsparse_index_base_PKT1_PKT2_PKS4_S4_S5_PS6_PS9_PS4_.numbered_sgpr, 15
	.set _ZN9rocsparseL32bsr2csr_block_per_row_2_7_kernelILj256ELj3E21rocsparse_complex_numIfEiiEEv20rocsparse_direction_T3_S4_21rocsparse_index_base_PKT1_PKT2_PKS4_S4_S5_PS6_PS9_PS4_.num_named_barrier, 0
	.set _ZN9rocsparseL32bsr2csr_block_per_row_2_7_kernelILj256ELj3E21rocsparse_complex_numIfEiiEEv20rocsparse_direction_T3_S4_21rocsparse_index_base_PKT1_PKT2_PKS4_S4_S5_PS6_PS9_PS4_.private_seg_size, 0
	.set _ZN9rocsparseL32bsr2csr_block_per_row_2_7_kernelILj256ELj3E21rocsparse_complex_numIfEiiEEv20rocsparse_direction_T3_S4_21rocsparse_index_base_PKT1_PKT2_PKS4_S4_S5_PS6_PS9_PS4_.uses_vcc, 1
	.set _ZN9rocsparseL32bsr2csr_block_per_row_2_7_kernelILj256ELj3E21rocsparse_complex_numIfEiiEEv20rocsparse_direction_T3_S4_21rocsparse_index_base_PKT1_PKT2_PKS4_S4_S5_PS6_PS9_PS4_.uses_flat_scratch, 0
	.set _ZN9rocsparseL32bsr2csr_block_per_row_2_7_kernelILj256ELj3E21rocsparse_complex_numIfEiiEEv20rocsparse_direction_T3_S4_21rocsparse_index_base_PKT1_PKT2_PKS4_S4_S5_PS6_PS9_PS4_.has_dyn_sized_stack, 0
	.set _ZN9rocsparseL32bsr2csr_block_per_row_2_7_kernelILj256ELj3E21rocsparse_complex_numIfEiiEEv20rocsparse_direction_T3_S4_21rocsparse_index_base_PKT1_PKT2_PKS4_S4_S5_PS6_PS9_PS4_.has_recursion, 0
	.set _ZN9rocsparseL32bsr2csr_block_per_row_2_7_kernelILj256ELj3E21rocsparse_complex_numIfEiiEEv20rocsparse_direction_T3_S4_21rocsparse_index_base_PKT1_PKT2_PKS4_S4_S5_PS6_PS9_PS4_.has_indirect_call, 0
	.section	.AMDGPU.csdata,"",@progbits
; Kernel info:
; codeLenInByte = 668
; TotalNumSgprs: 17
; NumVgprs: 18
; ScratchSize: 0
; MemoryBound: 0
; FloatMode: 240
; IeeeMode: 1
; LDSByteSize: 0 bytes/workgroup (compile time only)
; SGPRBlocks: 0
; VGPRBlocks: 1
; NumSGPRsForWavesPerEU: 17
; NumVGPRsForWavesPerEU: 18
; NamedBarCnt: 0
; Occupancy: 16
; WaveLimiterHint : 1
; COMPUTE_PGM_RSRC2:SCRATCH_EN: 0
; COMPUTE_PGM_RSRC2:USER_SGPR: 2
; COMPUTE_PGM_RSRC2:TRAP_HANDLER: 0
; COMPUTE_PGM_RSRC2:TGID_X_EN: 1
; COMPUTE_PGM_RSRC2:TGID_Y_EN: 0
; COMPUTE_PGM_RSRC2:TGID_Z_EN: 0
; COMPUTE_PGM_RSRC2:TIDIG_COMP_CNT: 0
	.section	.text._ZN9rocsparseL32bsr2csr_block_per_row_2_7_kernelILj256ELj4E21rocsparse_complex_numIfEiiEEv20rocsparse_direction_T3_S4_21rocsparse_index_base_PKT1_PKT2_PKS4_S4_S5_PS6_PS9_PS4_,"axG",@progbits,_ZN9rocsparseL32bsr2csr_block_per_row_2_7_kernelILj256ELj4E21rocsparse_complex_numIfEiiEEv20rocsparse_direction_T3_S4_21rocsparse_index_base_PKT1_PKT2_PKS4_S4_S5_PS6_PS9_PS4_,comdat
	.globl	_ZN9rocsparseL32bsr2csr_block_per_row_2_7_kernelILj256ELj4E21rocsparse_complex_numIfEiiEEv20rocsparse_direction_T3_S4_21rocsparse_index_base_PKT1_PKT2_PKS4_S4_S5_PS6_PS9_PS4_ ; -- Begin function _ZN9rocsparseL32bsr2csr_block_per_row_2_7_kernelILj256ELj4E21rocsparse_complex_numIfEiiEEv20rocsparse_direction_T3_S4_21rocsparse_index_base_PKT1_PKT2_PKS4_S4_S5_PS6_PS9_PS4_
	.p2align	8
	.type	_ZN9rocsparseL32bsr2csr_block_per_row_2_7_kernelILj256ELj4E21rocsparse_complex_numIfEiiEEv20rocsparse_direction_T3_S4_21rocsparse_index_base_PKT1_PKT2_PKS4_S4_S5_PS6_PS9_PS4_,@function
_ZN9rocsparseL32bsr2csr_block_per_row_2_7_kernelILj256ELj4E21rocsparse_complex_numIfEiiEEv20rocsparse_direction_T3_S4_21rocsparse_index_base_PKT1_PKT2_PKS4_S4_S5_PS6_PS9_PS4_: ; @_ZN9rocsparseL32bsr2csr_block_per_row_2_7_kernelILj256ELj4E21rocsparse_complex_numIfEiiEEv20rocsparse_direction_T3_S4_21rocsparse_index_base_PKT1_PKT2_PKS4_S4_S5_PS6_PS9_PS4_
; %bb.0:
	s_load_b64 s[6:7], s[0:1], 0x18
	s_bfe_u32 s2, ttmp6, 0x4000c
	s_and_b32 s3, ttmp6, 15
	s_add_co_i32 s2, s2, 1
	s_getreg_b32 s4, hwreg(HW_REG_IB_STS2, 6, 4)
	s_mul_i32 s2, ttmp9, s2
	s_delay_alu instid0(SALU_CYCLE_1)
	s_add_co_i32 s3, s3, s2
	s_cmp_eq_u32 s4, 0
	s_cselect_b32 s4, ttmp9, s3
	s_clause 0x1
	s_load_b32 s12, s[0:1], 0x2c
	s_load_b64 s[2:3], s[0:1], 0x38
	s_ashr_i32 s5, s4, 31
	v_or_b32_e32 v1, s4, v0
	s_lshl_b64 s[8:9], s[4:5], 2
	s_mov_b32 s5, exec_lo
	s_wait_kmcnt 0x0
	s_add_nc_u64 s[6:7], s[6:7], s[8:9]
	s_load_b64 s[10:11], s[6:7], 0x0
	v_cmpx_eq_u32_e32 0, v1
	s_cbranch_execz .LBB159_2
; %bb.1:
	v_dual_mov_b32 v1, 0 :: v_dual_mov_b32 v2, s12
	global_store_b32 v1, v2, s[2:3]
.LBB159_2:
	s_wait_xcnt 0x0
	s_or_b32 exec_lo, exec_lo, s5
	s_load_b32 s13, s[0:1], 0xc
	v_dual_lshrrev_b32 v0, 2, v0 :: v_dual_bitop2_b32 v2, 3, v0 bitop3:0x40
	s_delay_alu instid0(VALU_DEP_1) | instskip(NEXT) | instid1(VALU_DEP_1)
	v_lshl_or_b32 v4, s4, 2, v2
	v_add_nc_u32_e32 v4, 1, v4
	s_wait_kmcnt 0x0
	s_sub_co_i32 s5, s10, s13
	s_sub_co_i32 s11, s11, s13
	s_lshl_b32 s4, s5, 4
	s_sub_co_i32 s6, s11, s5
	v_add_nc_u32_e32 v3, s5, v0
	s_lshl_b32 s6, s6, 2
	s_delay_alu instid0(SALU_CYCLE_1)
	v_mul_lo_u32 v1, s6, v2
	s_add_co_i32 s6, s6, s12
	s_delay_alu instid0(VALU_DEP_1) | instid1(SALU_CYCLE_1)
	v_add3_u32 v5, s6, s4, v1
	global_store_b32 v4, v5, s[2:3] scale_offset
	s_wait_xcnt 0x0
	s_mov_b32 s2, exec_lo
	v_cmpx_gt_i32_e64 s11, v3
	s_cbranch_execz .LBB159_5
; %bb.3:
	s_clause 0x4
	s_load_b64 s[2:3], s[0:1], 0x20
	s_load_b64 s[4:5], s[0:1], 0x30
	s_load_b32 s14, s[0:1], 0x0
	s_load_b64 s[6:7], s[0:1], 0x10
	s_load_b64 s[8:9], s[0:1], 0x40
	v_dual_lshlrev_b32 v0, 2, v0 :: v_dual_lshlrev_b32 v4, 2, v2
	v_lshlrev_b32_e32 v5, 4, v3
	s_wait_xcnt 0x0
	s_mov_b32 s1, 0
	s_wait_kmcnt 0x0
	s_cmp_eq_u32 s14, 0
	s_cselect_b32 vcc_lo, -1, 0
	s_lshl_b32 s0, s10, 4
	s_delay_alu instid0(SALU_CYCLE_1)
	v_add3_u32 v0, v1, s0, v0
	s_lshl_b32 s0, s13, 4
	s_delay_alu instid0(VALU_DEP_1) | instid1(SALU_CYCLE_1)
	v_subrev_nc_u32_e32 v0, s0, v0
.LBB159_4:                              ; =>This Inner Loop Header: Depth=1
	global_load_b32 v14, v3, s[2:3] scale_offset
	v_dual_add_nc_u32 v1, v4, v5 :: v_dual_add_nc_u32 v6, v2, v5
	v_add_nc_u32_e32 v5, 0x400, v5
	s_wait_xcnt 0x0
	s_delay_alu instid0(VALU_DEP_2) | instskip(NEXT) | instid1(VALU_DEP_3)
	v_dual_add_nc_u32 v3, 64, v3 :: v_dual_add_nc_u32 v7, 1, v1
	v_dual_add_nc_u32 v8, 4, v6 :: v_dual_add_nc_u32 v9, 2, v1
	;; [unrolled: 1-line block ×3, first 2 shown]
	v_dual_cndmask_b32 v1, v6, v1 :: v_dual_add_nc_u32 v12, 12, v6
	s_delay_alu instid0(VALU_DEP_2) | instskip(SKIP_1) | instid1(VALU_DEP_3)
	v_dual_cndmask_b32 v15, v8, v7 :: v_dual_cndmask_b32 v16, v10, v9
	v_cmp_le_i32_e64 s0, s11, v3
	v_cndmask_b32_e32 v17, v12, v11, vcc_lo
	s_clause 0x3
	global_load_b64 v[6:7], v1, s[6:7] scale_offset
	global_load_b64 v[8:9], v15, s[6:7] scale_offset
	;; [unrolled: 1-line block ×4, first 2 shown]
	s_wait_xcnt 0x3
	v_ashrrev_i32_e32 v1, 31, v0
	s_or_b32 s1, s0, s1
	s_delay_alu instid0(VALU_DEP_1) | instskip(SKIP_4) | instid1(VALU_DEP_1)
	v_lshl_add_u64 v[18:19], v[0:1], 2, s[8:9]
	v_lshl_add_u64 v[20:21], v[0:1], 3, s[4:5]
	v_add_nc_u32_e32 v0, 0x100, v0
	s_wait_loadcnt 0x4
	v_subrev_nc_u32_e32 v1, s13, v14
	v_lshl_add_u32 v14, v1, 2, s12
	s_wait_xcnt 0x1
	s_delay_alu instid0(VALU_DEP_1)
	v_dual_add_nc_u32 v15, 1, v14 :: v_dual_add_nc_u32 v16, 2, v14
	s_wait_xcnt 0x0
	v_add_nc_u32_e32 v17, 3, v14
	global_store_b128 v[18:19], v[14:17], off
	s_wait_loadcnt 0x2
	global_store_b128 v[20:21], v[6:9], off
	s_wait_loadcnt 0x0
	global_store_b128 v[20:21], v[10:13], off offset:16
	s_wait_xcnt 0x0
	s_and_not1_b32 exec_lo, exec_lo, s1
	s_cbranch_execnz .LBB159_4
.LBB159_5:
	s_endpgm
	.section	.rodata,"a",@progbits
	.p2align	6, 0x0
	.amdhsa_kernel _ZN9rocsparseL32bsr2csr_block_per_row_2_7_kernelILj256ELj4E21rocsparse_complex_numIfEiiEEv20rocsparse_direction_T3_S4_21rocsparse_index_base_PKT1_PKT2_PKS4_S4_S5_PS6_PS9_PS4_
		.amdhsa_group_segment_fixed_size 0
		.amdhsa_private_segment_fixed_size 0
		.amdhsa_kernarg_size 72
		.amdhsa_user_sgpr_count 2
		.amdhsa_user_sgpr_dispatch_ptr 0
		.amdhsa_user_sgpr_queue_ptr 0
		.amdhsa_user_sgpr_kernarg_segment_ptr 1
		.amdhsa_user_sgpr_dispatch_id 0
		.amdhsa_user_sgpr_kernarg_preload_length 0
		.amdhsa_user_sgpr_kernarg_preload_offset 0
		.amdhsa_user_sgpr_private_segment_size 0
		.amdhsa_wavefront_size32 1
		.amdhsa_uses_dynamic_stack 0
		.amdhsa_enable_private_segment 0
		.amdhsa_system_sgpr_workgroup_id_x 1
		.amdhsa_system_sgpr_workgroup_id_y 0
		.amdhsa_system_sgpr_workgroup_id_z 0
		.amdhsa_system_sgpr_workgroup_info 0
		.amdhsa_system_vgpr_workitem_id 0
		.amdhsa_next_free_vgpr 22
		.amdhsa_next_free_sgpr 15
		.amdhsa_named_barrier_count 0
		.amdhsa_reserve_vcc 1
		.amdhsa_float_round_mode_32 0
		.amdhsa_float_round_mode_16_64 0
		.amdhsa_float_denorm_mode_32 3
		.amdhsa_float_denorm_mode_16_64 3
		.amdhsa_fp16_overflow 0
		.amdhsa_memory_ordered 1
		.amdhsa_forward_progress 1
		.amdhsa_inst_pref_size 6
		.amdhsa_round_robin_scheduling 0
		.amdhsa_exception_fp_ieee_invalid_op 0
		.amdhsa_exception_fp_denorm_src 0
		.amdhsa_exception_fp_ieee_div_zero 0
		.amdhsa_exception_fp_ieee_overflow 0
		.amdhsa_exception_fp_ieee_underflow 0
		.amdhsa_exception_fp_ieee_inexact 0
		.amdhsa_exception_int_div_zero 0
	.end_amdhsa_kernel
	.section	.text._ZN9rocsparseL32bsr2csr_block_per_row_2_7_kernelILj256ELj4E21rocsparse_complex_numIfEiiEEv20rocsparse_direction_T3_S4_21rocsparse_index_base_PKT1_PKT2_PKS4_S4_S5_PS6_PS9_PS4_,"axG",@progbits,_ZN9rocsparseL32bsr2csr_block_per_row_2_7_kernelILj256ELj4E21rocsparse_complex_numIfEiiEEv20rocsparse_direction_T3_S4_21rocsparse_index_base_PKT1_PKT2_PKS4_S4_S5_PS6_PS9_PS4_,comdat
.Lfunc_end159:
	.size	_ZN9rocsparseL32bsr2csr_block_per_row_2_7_kernelILj256ELj4E21rocsparse_complex_numIfEiiEEv20rocsparse_direction_T3_S4_21rocsparse_index_base_PKT1_PKT2_PKS4_S4_S5_PS6_PS9_PS4_, .Lfunc_end159-_ZN9rocsparseL32bsr2csr_block_per_row_2_7_kernelILj256ELj4E21rocsparse_complex_numIfEiiEEv20rocsparse_direction_T3_S4_21rocsparse_index_base_PKT1_PKT2_PKS4_S4_S5_PS6_PS9_PS4_
                                        ; -- End function
	.set _ZN9rocsparseL32bsr2csr_block_per_row_2_7_kernelILj256ELj4E21rocsparse_complex_numIfEiiEEv20rocsparse_direction_T3_S4_21rocsparse_index_base_PKT1_PKT2_PKS4_S4_S5_PS6_PS9_PS4_.num_vgpr, 22
	.set _ZN9rocsparseL32bsr2csr_block_per_row_2_7_kernelILj256ELj4E21rocsparse_complex_numIfEiiEEv20rocsparse_direction_T3_S4_21rocsparse_index_base_PKT1_PKT2_PKS4_S4_S5_PS6_PS9_PS4_.num_agpr, 0
	.set _ZN9rocsparseL32bsr2csr_block_per_row_2_7_kernelILj256ELj4E21rocsparse_complex_numIfEiiEEv20rocsparse_direction_T3_S4_21rocsparse_index_base_PKT1_PKT2_PKS4_S4_S5_PS6_PS9_PS4_.numbered_sgpr, 15
	.set _ZN9rocsparseL32bsr2csr_block_per_row_2_7_kernelILj256ELj4E21rocsparse_complex_numIfEiiEEv20rocsparse_direction_T3_S4_21rocsparse_index_base_PKT1_PKT2_PKS4_S4_S5_PS6_PS9_PS4_.num_named_barrier, 0
	.set _ZN9rocsparseL32bsr2csr_block_per_row_2_7_kernelILj256ELj4E21rocsparse_complex_numIfEiiEEv20rocsparse_direction_T3_S4_21rocsparse_index_base_PKT1_PKT2_PKS4_S4_S5_PS6_PS9_PS4_.private_seg_size, 0
	.set _ZN9rocsparseL32bsr2csr_block_per_row_2_7_kernelILj256ELj4E21rocsparse_complex_numIfEiiEEv20rocsparse_direction_T3_S4_21rocsparse_index_base_PKT1_PKT2_PKS4_S4_S5_PS6_PS9_PS4_.uses_vcc, 1
	.set _ZN9rocsparseL32bsr2csr_block_per_row_2_7_kernelILj256ELj4E21rocsparse_complex_numIfEiiEEv20rocsparse_direction_T3_S4_21rocsparse_index_base_PKT1_PKT2_PKS4_S4_S5_PS6_PS9_PS4_.uses_flat_scratch, 0
	.set _ZN9rocsparseL32bsr2csr_block_per_row_2_7_kernelILj256ELj4E21rocsparse_complex_numIfEiiEEv20rocsparse_direction_T3_S4_21rocsparse_index_base_PKT1_PKT2_PKS4_S4_S5_PS6_PS9_PS4_.has_dyn_sized_stack, 0
	.set _ZN9rocsparseL32bsr2csr_block_per_row_2_7_kernelILj256ELj4E21rocsparse_complex_numIfEiiEEv20rocsparse_direction_T3_S4_21rocsparse_index_base_PKT1_PKT2_PKS4_S4_S5_PS6_PS9_PS4_.has_recursion, 0
	.set _ZN9rocsparseL32bsr2csr_block_per_row_2_7_kernelILj256ELj4E21rocsparse_complex_numIfEiiEEv20rocsparse_direction_T3_S4_21rocsparse_index_base_PKT1_PKT2_PKS4_S4_S5_PS6_PS9_PS4_.has_indirect_call, 0
	.section	.AMDGPU.csdata,"",@progbits
; Kernel info:
; codeLenInByte = 672
; TotalNumSgprs: 17
; NumVgprs: 22
; ScratchSize: 0
; MemoryBound: 0
; FloatMode: 240
; IeeeMode: 1
; LDSByteSize: 0 bytes/workgroup (compile time only)
; SGPRBlocks: 0
; VGPRBlocks: 1
; NumSGPRsForWavesPerEU: 17
; NumVGPRsForWavesPerEU: 22
; NamedBarCnt: 0
; Occupancy: 16
; WaveLimiterHint : 0
; COMPUTE_PGM_RSRC2:SCRATCH_EN: 0
; COMPUTE_PGM_RSRC2:USER_SGPR: 2
; COMPUTE_PGM_RSRC2:TRAP_HANDLER: 0
; COMPUTE_PGM_RSRC2:TGID_X_EN: 1
; COMPUTE_PGM_RSRC2:TGID_Y_EN: 0
; COMPUTE_PGM_RSRC2:TGID_Z_EN: 0
; COMPUTE_PGM_RSRC2:TIDIG_COMP_CNT: 0
	.section	.text._ZN9rocsparseL32bsr2csr_block_per_row_2_7_kernelILj256ELj5E21rocsparse_complex_numIfEiiEEv20rocsparse_direction_T3_S4_21rocsparse_index_base_PKT1_PKT2_PKS4_S4_S5_PS6_PS9_PS4_,"axG",@progbits,_ZN9rocsparseL32bsr2csr_block_per_row_2_7_kernelILj256ELj5E21rocsparse_complex_numIfEiiEEv20rocsparse_direction_T3_S4_21rocsparse_index_base_PKT1_PKT2_PKS4_S4_S5_PS6_PS9_PS4_,comdat
	.globl	_ZN9rocsparseL32bsr2csr_block_per_row_2_7_kernelILj256ELj5E21rocsparse_complex_numIfEiiEEv20rocsparse_direction_T3_S4_21rocsparse_index_base_PKT1_PKT2_PKS4_S4_S5_PS6_PS9_PS4_ ; -- Begin function _ZN9rocsparseL32bsr2csr_block_per_row_2_7_kernelILj256ELj5E21rocsparse_complex_numIfEiiEEv20rocsparse_direction_T3_S4_21rocsparse_index_base_PKT1_PKT2_PKS4_S4_S5_PS6_PS9_PS4_
	.p2align	8
	.type	_ZN9rocsparseL32bsr2csr_block_per_row_2_7_kernelILj256ELj5E21rocsparse_complex_numIfEiiEEv20rocsparse_direction_T3_S4_21rocsparse_index_base_PKT1_PKT2_PKS4_S4_S5_PS6_PS9_PS4_,@function
_ZN9rocsparseL32bsr2csr_block_per_row_2_7_kernelILj256ELj5E21rocsparse_complex_numIfEiiEEv20rocsparse_direction_T3_S4_21rocsparse_index_base_PKT1_PKT2_PKS4_S4_S5_PS6_PS9_PS4_: ; @_ZN9rocsparseL32bsr2csr_block_per_row_2_7_kernelILj256ELj5E21rocsparse_complex_numIfEiiEEv20rocsparse_direction_T3_S4_21rocsparse_index_base_PKT1_PKT2_PKS4_S4_S5_PS6_PS9_PS4_
; %bb.0:
	s_clause 0x1
	s_load_b32 s12, s[0:1], 0x2c
	s_load_b64 s[2:3], s[0:1], 0x38
	s_bfe_u32 s4, ttmp6, 0x4000c
	s_and_b32 s5, ttmp6, 15
	s_add_co_i32 s4, s4, 1
	s_getreg_b32 s6, hwreg(HW_REG_IB_STS2, 6, 4)
	s_mul_i32 s4, ttmp9, s4
	s_delay_alu instid0(SALU_CYCLE_1) | instskip(SKIP_4) | instid1(VALU_DEP_1)
	s_add_co_i32 s5, s5, s4
	s_cmp_eq_u32 s6, 0
	s_cselect_b32 s4, ttmp9, s5
	s_mov_b32 s5, exec_lo
	v_or_b32_e32 v1, s4, v0
	v_cmpx_eq_u32_e32 0, v1
	s_cbranch_execz .LBB160_2
; %bb.1:
	s_wait_kmcnt 0x0
	v_dual_mov_b32 v1, 0 :: v_dual_mov_b32 v2, s12
	global_store_b32 v1, v2, s[2:3]
.LBB160_2:
	s_wait_xcnt 0x0
	s_or_b32 exec_lo, exec_lo, s5
	v_and_b32_e32 v1, 7, v0
	s_mov_b32 s5, exec_lo
	s_delay_alu instid0(VALU_DEP_1)
	v_cmpx_gt_u32_e32 5, v1
	s_cbranch_execz .LBB160_6
; %bb.3:
	s_clause 0x1
	s_load_b64 s[6:7], s[0:1], 0x18
	s_load_b32 s13, s[0:1], 0xc
	s_ashr_i32 s5, s4, 31
	v_lshrrev_b32_e32 v0, 3, v0
	s_lshl_b64 s[8:9], s[4:5], 2
	s_mul_i32 s4, s4, 5
	s_delay_alu instid0(SALU_CYCLE_1)
	v_add3_u32 v5, v1, s4, 1
	s_wait_kmcnt 0x0
	s_add_nc_u64 s[6:7], s[6:7], s[8:9]
	s_load_b64 s[10:11], s[6:7], 0x0
	s_wait_kmcnt 0x0
	s_sub_co_i32 s5, s10, s13
	s_sub_co_i32 s11, s11, s13
	v_add_nc_u32_e32 v2, s5, v0
	s_sub_co_i32 s6, s11, s5
	s_mul_i32 s7, s5, 25
	s_mul_i32 s6, s6, 5
	s_delay_alu instid0(SALU_CYCLE_1) | instskip(SKIP_2) | instid1(VALU_DEP_2)
	v_mul_lo_u32 v3, s6, v1
	s_add_co_i32 s6, s6, s12
	v_cmp_gt_i32_e32 vcc_lo, s11, v2
	v_add3_u32 v4, s6, s7, v3
	global_store_b32 v5, v4, s[2:3] scale_offset
	s_wait_xcnt 0x0
	s_and_b32 exec_lo, exec_lo, vcc_lo
	s_cbranch_execz .LBB160_6
; %bb.4:
	s_clause 0x2
	s_load_b64 s[2:3], s[0:1], 0x20
	s_load_b64 s[4:5], s[0:1], 0x30
	s_load_b32 s14, s[0:1], 0x0
	v_add_nc_u32_e32 v4, s10, v0
	v_mul_u32_u24_e32 v5, 5, v1
	s_clause 0x1
	s_load_b64 s[6:7], s[0:1], 0x10
	s_load_b64 s[8:9], s[0:1], 0x40
	v_mul_u32_u24_e32 v0, 5, v0
	s_wait_xcnt 0x0
	s_mul_i32 s0, s10, 25
	s_mov_b32 s1, 0
	v_mad_u32 v4, v4, 25, v5
	s_mov_b32 s10, 0
	v_add3_u32 v0, v3, s0, v0
	v_mad_u32 v3, v2, 25, v1
	s_mul_i32 s0, s13, 25
	s_delay_alu instid0(VALU_DEP_2) | instid1(SALU_CYCLE_1)
	v_subrev_nc_u32_e32 v0, s0, v0
	s_delay_alu instid0(VALU_DEP_4)
	v_subrev_nc_u32_e32 v4, s0, v4
	s_wait_kmcnt 0x0
	s_cmp_eq_u32 s14, 0
	s_cselect_b32 vcc_lo, -1, 0
.LBB160_5:                              ; =>This Inner Loop Header: Depth=1
	global_load_b32 v1, v2, s[2:3] scale_offset
	v_dual_add_nc_u32 v5, s10, v3 :: v_dual_add_nc_u32 v6, s10, v4
	s_addk_co_i32 s10, 0x320
	s_wait_xcnt 0x0
	s_delay_alu instid0(VALU_DEP_1) | instskip(NEXT) | instid1(VALU_DEP_2)
	v_dual_add_nc_u32 v2, 32, v2 :: v_dual_add_nc_u32 v9, 5, v5
	v_dual_cndmask_b32 v7, v5, v6 :: v_dual_add_nc_u32 v10, 4, v6
	v_dual_add_nc_u32 v8, 1, v6 :: v_dual_add_nc_u32 v11, 20, v5
	v_dual_add_nc_u32 v12, 2, v6 :: v_dual_add_nc_u32 v13, 10, v5
	;; [unrolled: 1-line block ×3, first 2 shown]
	s_delay_alu instid0(VALU_DEP_3)
	v_dual_cndmask_b32 v15, v11, v10 :: v_dual_cndmask_b32 v16, v9, v8
	global_load_b64 v[6:7], v7, s[6:7] scale_offset
	v_cmp_le_i32_e64 s0, s11, v2
	v_cndmask_b32_e32 v5, v5, v14, vcc_lo
	s_or_b32 s1, s0, s1
	s_wait_loadcnt 0x1
	v_subrev_nc_u32_e32 v1, s13, v1
	s_delay_alu instid0(VALU_DEP_1) | instskip(SKIP_2) | instid1(VALU_DEP_2)
	v_mad_u32 v14, v1, 5, s12
	v_ashrrev_i32_e32 v1, 31, v0
	v_cndmask_b32_e32 v17, v13, v12, vcc_lo
	v_lshl_add_u64 v[20:21], v[0:1], 2, s[8:9]
	v_lshl_add_u64 v[22:23], v[0:1], 3, s[4:5]
	v_add_nc_u32_e32 v1, 4, v14
	s_clause 0x3
	global_load_b64 v[18:19], v15, s[6:7] scale_offset
	global_load_b64 v[8:9], v16, s[6:7] scale_offset
	;; [unrolled: 1-line block ×4, first 2 shown]
	s_wait_xcnt 0x2
	v_dual_add_nc_u32 v15, 1, v14 :: v_dual_add_nc_u32 v16, 2, v14
	s_wait_xcnt 0x1
	v_add_nc_u32_e32 v17, 3, v14
	global_store_b32 v0, v1, s[8:9] offset:16 scale_offset
	s_wait_loadcnt 0x3
	global_store_b64 v0, v[18:19], s[4:5] offset:32 scale_offset
	s_wait_xcnt 0x0
	v_add_nc_u32_e32 v0, 0xa0, v0
	s_wait_loadcnt 0x2
	global_store_b128 v[22:23], v[6:9], off
	s_wait_loadcnt 0x0
	global_store_b128 v[22:23], v[10:13], off offset:16
	global_store_b128 v[20:21], v[14:17], off
	s_wait_xcnt 0x0
	s_and_not1_b32 exec_lo, exec_lo, s1
	s_cbranch_execnz .LBB160_5
.LBB160_6:
	s_endpgm
	.section	.rodata,"a",@progbits
	.p2align	6, 0x0
	.amdhsa_kernel _ZN9rocsparseL32bsr2csr_block_per_row_2_7_kernelILj256ELj5E21rocsparse_complex_numIfEiiEEv20rocsparse_direction_T3_S4_21rocsparse_index_base_PKT1_PKT2_PKS4_S4_S5_PS6_PS9_PS4_
		.amdhsa_group_segment_fixed_size 0
		.amdhsa_private_segment_fixed_size 0
		.amdhsa_kernarg_size 72
		.amdhsa_user_sgpr_count 2
		.amdhsa_user_sgpr_dispatch_ptr 0
		.amdhsa_user_sgpr_queue_ptr 0
		.amdhsa_user_sgpr_kernarg_segment_ptr 1
		.amdhsa_user_sgpr_dispatch_id 0
		.amdhsa_user_sgpr_kernarg_preload_length 0
		.amdhsa_user_sgpr_kernarg_preload_offset 0
		.amdhsa_user_sgpr_private_segment_size 0
		.amdhsa_wavefront_size32 1
		.amdhsa_uses_dynamic_stack 0
		.amdhsa_enable_private_segment 0
		.amdhsa_system_sgpr_workgroup_id_x 1
		.amdhsa_system_sgpr_workgroup_id_y 0
		.amdhsa_system_sgpr_workgroup_id_z 0
		.amdhsa_system_sgpr_workgroup_info 0
		.amdhsa_system_vgpr_workitem_id 0
		.amdhsa_next_free_vgpr 24
		.amdhsa_next_free_sgpr 15
		.amdhsa_named_barrier_count 0
		.amdhsa_reserve_vcc 1
		.amdhsa_float_round_mode_32 0
		.amdhsa_float_round_mode_16_64 0
		.amdhsa_float_denorm_mode_32 3
		.amdhsa_float_denorm_mode_16_64 3
		.amdhsa_fp16_overflow 0
		.amdhsa_memory_ordered 1
		.amdhsa_forward_progress 1
		.amdhsa_inst_pref_size 6
		.amdhsa_round_robin_scheduling 0
		.amdhsa_exception_fp_ieee_invalid_op 0
		.amdhsa_exception_fp_denorm_src 0
		.amdhsa_exception_fp_ieee_div_zero 0
		.amdhsa_exception_fp_ieee_overflow 0
		.amdhsa_exception_fp_ieee_underflow 0
		.amdhsa_exception_fp_ieee_inexact 0
		.amdhsa_exception_int_div_zero 0
	.end_amdhsa_kernel
	.section	.text._ZN9rocsparseL32bsr2csr_block_per_row_2_7_kernelILj256ELj5E21rocsparse_complex_numIfEiiEEv20rocsparse_direction_T3_S4_21rocsparse_index_base_PKT1_PKT2_PKS4_S4_S5_PS6_PS9_PS4_,"axG",@progbits,_ZN9rocsparseL32bsr2csr_block_per_row_2_7_kernelILj256ELj5E21rocsparse_complex_numIfEiiEEv20rocsparse_direction_T3_S4_21rocsparse_index_base_PKT1_PKT2_PKS4_S4_S5_PS6_PS9_PS4_,comdat
.Lfunc_end160:
	.size	_ZN9rocsparseL32bsr2csr_block_per_row_2_7_kernelILj256ELj5E21rocsparse_complex_numIfEiiEEv20rocsparse_direction_T3_S4_21rocsparse_index_base_PKT1_PKT2_PKS4_S4_S5_PS6_PS9_PS4_, .Lfunc_end160-_ZN9rocsparseL32bsr2csr_block_per_row_2_7_kernelILj256ELj5E21rocsparse_complex_numIfEiiEEv20rocsparse_direction_T3_S4_21rocsparse_index_base_PKT1_PKT2_PKS4_S4_S5_PS6_PS9_PS4_
                                        ; -- End function
	.set _ZN9rocsparseL32bsr2csr_block_per_row_2_7_kernelILj256ELj5E21rocsparse_complex_numIfEiiEEv20rocsparse_direction_T3_S4_21rocsparse_index_base_PKT1_PKT2_PKS4_S4_S5_PS6_PS9_PS4_.num_vgpr, 24
	.set _ZN9rocsparseL32bsr2csr_block_per_row_2_7_kernelILj256ELj5E21rocsparse_complex_numIfEiiEEv20rocsparse_direction_T3_S4_21rocsparse_index_base_PKT1_PKT2_PKS4_S4_S5_PS6_PS9_PS4_.num_agpr, 0
	.set _ZN9rocsparseL32bsr2csr_block_per_row_2_7_kernelILj256ELj5E21rocsparse_complex_numIfEiiEEv20rocsparse_direction_T3_S4_21rocsparse_index_base_PKT1_PKT2_PKS4_S4_S5_PS6_PS9_PS4_.numbered_sgpr, 15
	.set _ZN9rocsparseL32bsr2csr_block_per_row_2_7_kernelILj256ELj5E21rocsparse_complex_numIfEiiEEv20rocsparse_direction_T3_S4_21rocsparse_index_base_PKT1_PKT2_PKS4_S4_S5_PS6_PS9_PS4_.num_named_barrier, 0
	.set _ZN9rocsparseL32bsr2csr_block_per_row_2_7_kernelILj256ELj5E21rocsparse_complex_numIfEiiEEv20rocsparse_direction_T3_S4_21rocsparse_index_base_PKT1_PKT2_PKS4_S4_S5_PS6_PS9_PS4_.private_seg_size, 0
	.set _ZN9rocsparseL32bsr2csr_block_per_row_2_7_kernelILj256ELj5E21rocsparse_complex_numIfEiiEEv20rocsparse_direction_T3_S4_21rocsparse_index_base_PKT1_PKT2_PKS4_S4_S5_PS6_PS9_PS4_.uses_vcc, 1
	.set _ZN9rocsparseL32bsr2csr_block_per_row_2_7_kernelILj256ELj5E21rocsparse_complex_numIfEiiEEv20rocsparse_direction_T3_S4_21rocsparse_index_base_PKT1_PKT2_PKS4_S4_S5_PS6_PS9_PS4_.uses_flat_scratch, 0
	.set _ZN9rocsparseL32bsr2csr_block_per_row_2_7_kernelILj256ELj5E21rocsparse_complex_numIfEiiEEv20rocsparse_direction_T3_S4_21rocsparse_index_base_PKT1_PKT2_PKS4_S4_S5_PS6_PS9_PS4_.has_dyn_sized_stack, 0
	.set _ZN9rocsparseL32bsr2csr_block_per_row_2_7_kernelILj256ELj5E21rocsparse_complex_numIfEiiEEv20rocsparse_direction_T3_S4_21rocsparse_index_base_PKT1_PKT2_PKS4_S4_S5_PS6_PS9_PS4_.has_recursion, 0
	.set _ZN9rocsparseL32bsr2csr_block_per_row_2_7_kernelILj256ELj5E21rocsparse_complex_numIfEiiEEv20rocsparse_direction_T3_S4_21rocsparse_index_base_PKT1_PKT2_PKS4_S4_S5_PS6_PS9_PS4_.has_indirect_call, 0
	.section	.AMDGPU.csdata,"",@progbits
; Kernel info:
; codeLenInByte = 760
; TotalNumSgprs: 17
; NumVgprs: 24
; ScratchSize: 0
; MemoryBound: 0
; FloatMode: 240
; IeeeMode: 1
; LDSByteSize: 0 bytes/workgroup (compile time only)
; SGPRBlocks: 0
; VGPRBlocks: 1
; NumSGPRsForWavesPerEU: 17
; NumVGPRsForWavesPerEU: 24
; NamedBarCnt: 0
; Occupancy: 16
; WaveLimiterHint : 1
; COMPUTE_PGM_RSRC2:SCRATCH_EN: 0
; COMPUTE_PGM_RSRC2:USER_SGPR: 2
; COMPUTE_PGM_RSRC2:TRAP_HANDLER: 0
; COMPUTE_PGM_RSRC2:TGID_X_EN: 1
; COMPUTE_PGM_RSRC2:TGID_Y_EN: 0
; COMPUTE_PGM_RSRC2:TGID_Z_EN: 0
; COMPUTE_PGM_RSRC2:TIDIG_COMP_CNT: 0
	.section	.text._ZN9rocsparseL32bsr2csr_block_per_row_2_7_kernelILj256ELj6E21rocsparse_complex_numIfEiiEEv20rocsparse_direction_T3_S4_21rocsparse_index_base_PKT1_PKT2_PKS4_S4_S5_PS6_PS9_PS4_,"axG",@progbits,_ZN9rocsparseL32bsr2csr_block_per_row_2_7_kernelILj256ELj6E21rocsparse_complex_numIfEiiEEv20rocsparse_direction_T3_S4_21rocsparse_index_base_PKT1_PKT2_PKS4_S4_S5_PS6_PS9_PS4_,comdat
	.globl	_ZN9rocsparseL32bsr2csr_block_per_row_2_7_kernelILj256ELj6E21rocsparse_complex_numIfEiiEEv20rocsparse_direction_T3_S4_21rocsparse_index_base_PKT1_PKT2_PKS4_S4_S5_PS6_PS9_PS4_ ; -- Begin function _ZN9rocsparseL32bsr2csr_block_per_row_2_7_kernelILj256ELj6E21rocsparse_complex_numIfEiiEEv20rocsparse_direction_T3_S4_21rocsparse_index_base_PKT1_PKT2_PKS4_S4_S5_PS6_PS9_PS4_
	.p2align	8
	.type	_ZN9rocsparseL32bsr2csr_block_per_row_2_7_kernelILj256ELj6E21rocsparse_complex_numIfEiiEEv20rocsparse_direction_T3_S4_21rocsparse_index_base_PKT1_PKT2_PKS4_S4_S5_PS6_PS9_PS4_,@function
_ZN9rocsparseL32bsr2csr_block_per_row_2_7_kernelILj256ELj6E21rocsparse_complex_numIfEiiEEv20rocsparse_direction_T3_S4_21rocsparse_index_base_PKT1_PKT2_PKS4_S4_S5_PS6_PS9_PS4_: ; @_ZN9rocsparseL32bsr2csr_block_per_row_2_7_kernelILj256ELj6E21rocsparse_complex_numIfEiiEEv20rocsparse_direction_T3_S4_21rocsparse_index_base_PKT1_PKT2_PKS4_S4_S5_PS6_PS9_PS4_
; %bb.0:
	s_clause 0x1
	s_load_b32 s12, s[0:1], 0x2c
	s_load_b64 s[2:3], s[0:1], 0x38
	s_bfe_u32 s4, ttmp6, 0x4000c
	s_and_b32 s5, ttmp6, 15
	s_add_co_i32 s4, s4, 1
	s_getreg_b32 s6, hwreg(HW_REG_IB_STS2, 6, 4)
	s_mul_i32 s4, ttmp9, s4
	s_delay_alu instid0(SALU_CYCLE_1) | instskip(SKIP_4) | instid1(VALU_DEP_1)
	s_add_co_i32 s5, s5, s4
	s_cmp_eq_u32 s6, 0
	s_cselect_b32 s4, ttmp9, s5
	s_mov_b32 s5, exec_lo
	v_or_b32_e32 v1, s4, v0
	v_cmpx_eq_u32_e32 0, v1
	s_cbranch_execz .LBB161_2
; %bb.1:
	s_wait_kmcnt 0x0
	v_dual_mov_b32 v1, 0 :: v_dual_mov_b32 v2, s12
	global_store_b32 v1, v2, s[2:3]
.LBB161_2:
	s_wait_xcnt 0x0
	s_or_b32 exec_lo, exec_lo, s5
	v_and_b32_e32 v1, 7, v0
	s_mov_b32 s5, exec_lo
	s_delay_alu instid0(VALU_DEP_1)
	v_cmpx_gt_u32_e32 6, v1
	s_cbranch_execz .LBB161_6
; %bb.3:
	s_clause 0x1
	s_load_b64 s[6:7], s[0:1], 0x18
	s_load_b32 s13, s[0:1], 0xc
	s_ashr_i32 s5, s4, 31
	v_lshrrev_b32_e32 v0, 3, v0
	s_lshl_b64 s[8:9], s[4:5], 2
	s_mul_i32 s4, s4, 6
	s_delay_alu instid0(SALU_CYCLE_1)
	v_add3_u32 v5, v1, s4, 1
	s_wait_kmcnt 0x0
	s_add_nc_u64 s[6:7], s[6:7], s[8:9]
	s_load_b64 s[10:11], s[6:7], 0x0
	s_wait_kmcnt 0x0
	s_sub_co_i32 s5, s10, s13
	s_sub_co_i32 s11, s11, s13
	v_add_nc_u32_e32 v2, s5, v0
	s_sub_co_i32 s6, s11, s5
	s_mul_i32 s7, s5, 36
	s_mul_i32 s6, s6, 6
	s_delay_alu instid0(SALU_CYCLE_1) | instskip(SKIP_2) | instid1(VALU_DEP_2)
	v_mul_lo_u32 v4, s6, v1
	s_add_co_i32 s6, s6, s12
	v_cmp_gt_i32_e32 vcc_lo, s11, v2
	v_add3_u32 v3, s6, s7, v4
	global_store_b32 v5, v3, s[2:3] scale_offset
	s_wait_xcnt 0x0
	s_and_b32 exec_lo, exec_lo, vcc_lo
	s_cbranch_execz .LBB161_6
; %bb.4:
	s_clause 0x4
	s_load_b64 s[2:3], s[0:1], 0x20
	s_load_b64 s[4:5], s[0:1], 0x30
	s_load_b32 s14, s[0:1], 0x0
	s_load_b64 s[6:7], s[0:1], 0x10
	s_load_b64 s[8:9], s[0:1], 0x40
	v_mul_u32_u24_e32 v0, 6, v0
	s_wait_xcnt 0x0
	s_mul_i32 s0, s10, 36
	v_mad_u32 v3, v2, 36, v1
	s_mov_b32 s1, 0
	v_add3_u32 v0, v4, s0, v0
	s_mul_i32 s0, s13, 36
	v_mul_u32_u24_e32 v4, 5, v1
	s_delay_alu instid0(VALU_DEP_2)
	v_subrev_nc_u32_e32 v0, s0, v0
	s_wait_kmcnt 0x0
	s_cmp_eq_u32 s14, 0
	s_cselect_b32 vcc_lo, -1, 0
.LBB161_5:                              ; =>This Inner Loop Header: Depth=1
	global_load_b32 v5, v2, s[2:3] scale_offset
	v_dual_add_nc_u32 v1, v4, v3 :: v_dual_add_nc_u32 v6, 6, v3
	v_dual_add_nc_u32 v7, 12, v3 :: v_dual_add_nc_u32 v8, 18, v3
	;; [unrolled: 1-line block ×3, first 2 shown]
	s_delay_alu instid0(VALU_DEP_3) | instskip(SKIP_2) | instid1(VALU_DEP_2)
	v_dual_cndmask_b32 v18, v3, v1 :: v_dual_add_nc_u32 v11, 1, v1
	v_dual_add_nc_u32 v12, 2, v1 :: v_dual_add_nc_u32 v13, 3, v1
	v_dual_add_nc_u32 v14, 4, v1 :: v_dual_add_nc_u32 v1, 5, v1
	v_dual_cndmask_b32 v19, v6, v11 :: v_dual_cndmask_b32 v20, v7, v12
	s_delay_alu instid0(VALU_DEP_2) | instskip(SKIP_1) | instid1(VALU_DEP_3)
	v_dual_cndmask_b32 v21, v8, v13 :: v_dual_cndmask_b32 v22, v9, v14
	s_wait_xcnt 0x0
	v_dual_cndmask_b32 v1, v10, v1 :: v_dual_add_nc_u32 v2, 32, v2
	s_clause 0x5
	global_load_b64 v[6:7], v18, s[6:7] scale_offset
	global_load_b64 v[8:9], v19, s[6:7] scale_offset
	;; [unrolled: 1-line block ×6, first 2 shown]
	v_add_nc_u32_e32 v3, 0x480, v3
	v_cmp_le_i32_e64 s0, s11, v2
	s_or_b32 s1, s0, s1
	s_wait_loadcnt 0x6
	v_subrev_nc_u32_e32 v5, s13, v5
	s_wait_xcnt 0x5
	s_delay_alu instid0(VALU_DEP_1) | instskip(SKIP_1) | instid1(VALU_DEP_1)
	v_mad_u32 v18, v5, 6, s12
	s_wait_xcnt 0x0
	v_dual_ashrrev_i32 v1, 31, v0 :: v_dual_add_nc_u32 v19, 1, v18
	s_delay_alu instid0(VALU_DEP_1)
	v_lshl_add_u64 v[22:23], v[0:1], 2, s[8:9]
	v_lshl_add_u64 v[24:25], v[0:1], 3, s[4:5]
	v_add_nc_u32_e32 v0, 0xc0, v0
	v_dual_add_nc_u32 v20, 2, v18 :: v_dual_add_nc_u32 v21, 3, v18
	v_dual_add_nc_u32 v26, 4, v18 :: v_dual_add_nc_u32 v27, 5, v18
	s_wait_loadcnt 0x4
	global_store_b128 v[24:25], v[6:9], off
	s_wait_loadcnt 0x2
	global_store_b128 v[24:25], v[10:13], off offset:16
	s_wait_loadcnt 0x0
	global_store_b128 v[24:25], v[14:17], off offset:32
	s_clause 0x1
	global_store_b128 v[22:23], v[18:21], off
	global_store_b64 v[22:23], v[26:27], off offset:16
	s_wait_xcnt 0x0
	s_and_not1_b32 exec_lo, exec_lo, s1
	s_cbranch_execnz .LBB161_5
.LBB161_6:
	s_endpgm
	.section	.rodata,"a",@progbits
	.p2align	6, 0x0
	.amdhsa_kernel _ZN9rocsparseL32bsr2csr_block_per_row_2_7_kernelILj256ELj6E21rocsparse_complex_numIfEiiEEv20rocsparse_direction_T3_S4_21rocsparse_index_base_PKT1_PKT2_PKS4_S4_S5_PS6_PS9_PS4_
		.amdhsa_group_segment_fixed_size 0
		.amdhsa_private_segment_fixed_size 0
		.amdhsa_kernarg_size 72
		.amdhsa_user_sgpr_count 2
		.amdhsa_user_sgpr_dispatch_ptr 0
		.amdhsa_user_sgpr_queue_ptr 0
		.amdhsa_user_sgpr_kernarg_segment_ptr 1
		.amdhsa_user_sgpr_dispatch_id 0
		.amdhsa_user_sgpr_kernarg_preload_length 0
		.amdhsa_user_sgpr_kernarg_preload_offset 0
		.amdhsa_user_sgpr_private_segment_size 0
		.amdhsa_wavefront_size32 1
		.amdhsa_uses_dynamic_stack 0
		.amdhsa_enable_private_segment 0
		.amdhsa_system_sgpr_workgroup_id_x 1
		.amdhsa_system_sgpr_workgroup_id_y 0
		.amdhsa_system_sgpr_workgroup_id_z 0
		.amdhsa_system_sgpr_workgroup_info 0
		.amdhsa_system_vgpr_workitem_id 0
		.amdhsa_next_free_vgpr 28
		.amdhsa_next_free_sgpr 15
		.amdhsa_named_barrier_count 0
		.amdhsa_reserve_vcc 1
		.amdhsa_float_round_mode_32 0
		.amdhsa_float_round_mode_16_64 0
		.amdhsa_float_denorm_mode_32 3
		.amdhsa_float_denorm_mode_16_64 3
		.amdhsa_fp16_overflow 0
		.amdhsa_memory_ordered 1
		.amdhsa_forward_progress 1
		.amdhsa_inst_pref_size 7
		.amdhsa_round_robin_scheduling 0
		.amdhsa_exception_fp_ieee_invalid_op 0
		.amdhsa_exception_fp_denorm_src 0
		.amdhsa_exception_fp_ieee_div_zero 0
		.amdhsa_exception_fp_ieee_overflow 0
		.amdhsa_exception_fp_ieee_underflow 0
		.amdhsa_exception_fp_ieee_inexact 0
		.amdhsa_exception_int_div_zero 0
	.end_amdhsa_kernel
	.section	.text._ZN9rocsparseL32bsr2csr_block_per_row_2_7_kernelILj256ELj6E21rocsparse_complex_numIfEiiEEv20rocsparse_direction_T3_S4_21rocsparse_index_base_PKT1_PKT2_PKS4_S4_S5_PS6_PS9_PS4_,"axG",@progbits,_ZN9rocsparseL32bsr2csr_block_per_row_2_7_kernelILj256ELj6E21rocsparse_complex_numIfEiiEEv20rocsparse_direction_T3_S4_21rocsparse_index_base_PKT1_PKT2_PKS4_S4_S5_PS6_PS9_PS4_,comdat
.Lfunc_end161:
	.size	_ZN9rocsparseL32bsr2csr_block_per_row_2_7_kernelILj256ELj6E21rocsparse_complex_numIfEiiEEv20rocsparse_direction_T3_S4_21rocsparse_index_base_PKT1_PKT2_PKS4_S4_S5_PS6_PS9_PS4_, .Lfunc_end161-_ZN9rocsparseL32bsr2csr_block_per_row_2_7_kernelILj256ELj6E21rocsparse_complex_numIfEiiEEv20rocsparse_direction_T3_S4_21rocsparse_index_base_PKT1_PKT2_PKS4_S4_S5_PS6_PS9_PS4_
                                        ; -- End function
	.set _ZN9rocsparseL32bsr2csr_block_per_row_2_7_kernelILj256ELj6E21rocsparse_complex_numIfEiiEEv20rocsparse_direction_T3_S4_21rocsparse_index_base_PKT1_PKT2_PKS4_S4_S5_PS6_PS9_PS4_.num_vgpr, 28
	.set _ZN9rocsparseL32bsr2csr_block_per_row_2_7_kernelILj256ELj6E21rocsparse_complex_numIfEiiEEv20rocsparse_direction_T3_S4_21rocsparse_index_base_PKT1_PKT2_PKS4_S4_S5_PS6_PS9_PS4_.num_agpr, 0
	.set _ZN9rocsparseL32bsr2csr_block_per_row_2_7_kernelILj256ELj6E21rocsparse_complex_numIfEiiEEv20rocsparse_direction_T3_S4_21rocsparse_index_base_PKT1_PKT2_PKS4_S4_S5_PS6_PS9_PS4_.numbered_sgpr, 15
	.set _ZN9rocsparseL32bsr2csr_block_per_row_2_7_kernelILj256ELj6E21rocsparse_complex_numIfEiiEEv20rocsparse_direction_T3_S4_21rocsparse_index_base_PKT1_PKT2_PKS4_S4_S5_PS6_PS9_PS4_.num_named_barrier, 0
	.set _ZN9rocsparseL32bsr2csr_block_per_row_2_7_kernelILj256ELj6E21rocsparse_complex_numIfEiiEEv20rocsparse_direction_T3_S4_21rocsparse_index_base_PKT1_PKT2_PKS4_S4_S5_PS6_PS9_PS4_.private_seg_size, 0
	.set _ZN9rocsparseL32bsr2csr_block_per_row_2_7_kernelILj256ELj6E21rocsparse_complex_numIfEiiEEv20rocsparse_direction_T3_S4_21rocsparse_index_base_PKT1_PKT2_PKS4_S4_S5_PS6_PS9_PS4_.uses_vcc, 1
	.set _ZN9rocsparseL32bsr2csr_block_per_row_2_7_kernelILj256ELj6E21rocsparse_complex_numIfEiiEEv20rocsparse_direction_T3_S4_21rocsparse_index_base_PKT1_PKT2_PKS4_S4_S5_PS6_PS9_PS4_.uses_flat_scratch, 0
	.set _ZN9rocsparseL32bsr2csr_block_per_row_2_7_kernelILj256ELj6E21rocsparse_complex_numIfEiiEEv20rocsparse_direction_T3_S4_21rocsparse_index_base_PKT1_PKT2_PKS4_S4_S5_PS6_PS9_PS4_.has_dyn_sized_stack, 0
	.set _ZN9rocsparseL32bsr2csr_block_per_row_2_7_kernelILj256ELj6E21rocsparse_complex_numIfEiiEEv20rocsparse_direction_T3_S4_21rocsparse_index_base_PKT1_PKT2_PKS4_S4_S5_PS6_PS9_PS4_.has_recursion, 0
	.set _ZN9rocsparseL32bsr2csr_block_per_row_2_7_kernelILj256ELj6E21rocsparse_complex_numIfEiiEEv20rocsparse_direction_T3_S4_21rocsparse_index_base_PKT1_PKT2_PKS4_S4_S5_PS6_PS9_PS4_.has_indirect_call, 0
	.section	.AMDGPU.csdata,"",@progbits
; Kernel info:
; codeLenInByte = 772
; TotalNumSgprs: 17
; NumVgprs: 28
; ScratchSize: 0
; MemoryBound: 0
; FloatMode: 240
; IeeeMode: 1
; LDSByteSize: 0 bytes/workgroup (compile time only)
; SGPRBlocks: 0
; VGPRBlocks: 1
; NumSGPRsForWavesPerEU: 17
; NumVGPRsForWavesPerEU: 28
; NamedBarCnt: 0
; Occupancy: 16
; WaveLimiterHint : 0
; COMPUTE_PGM_RSRC2:SCRATCH_EN: 0
; COMPUTE_PGM_RSRC2:USER_SGPR: 2
; COMPUTE_PGM_RSRC2:TRAP_HANDLER: 0
; COMPUTE_PGM_RSRC2:TGID_X_EN: 1
; COMPUTE_PGM_RSRC2:TGID_Y_EN: 0
; COMPUTE_PGM_RSRC2:TGID_Z_EN: 0
; COMPUTE_PGM_RSRC2:TIDIG_COMP_CNT: 0
	.section	.text._ZN9rocsparseL32bsr2csr_block_per_row_2_7_kernelILj256ELj7E21rocsparse_complex_numIfEiiEEv20rocsparse_direction_T3_S4_21rocsparse_index_base_PKT1_PKT2_PKS4_S4_S5_PS6_PS9_PS4_,"axG",@progbits,_ZN9rocsparseL32bsr2csr_block_per_row_2_7_kernelILj256ELj7E21rocsparse_complex_numIfEiiEEv20rocsparse_direction_T3_S4_21rocsparse_index_base_PKT1_PKT2_PKS4_S4_S5_PS6_PS9_PS4_,comdat
	.globl	_ZN9rocsparseL32bsr2csr_block_per_row_2_7_kernelILj256ELj7E21rocsparse_complex_numIfEiiEEv20rocsparse_direction_T3_S4_21rocsparse_index_base_PKT1_PKT2_PKS4_S4_S5_PS6_PS9_PS4_ ; -- Begin function _ZN9rocsparseL32bsr2csr_block_per_row_2_7_kernelILj256ELj7E21rocsparse_complex_numIfEiiEEv20rocsparse_direction_T3_S4_21rocsparse_index_base_PKT1_PKT2_PKS4_S4_S5_PS6_PS9_PS4_
	.p2align	8
	.type	_ZN9rocsparseL32bsr2csr_block_per_row_2_7_kernelILj256ELj7E21rocsparse_complex_numIfEiiEEv20rocsparse_direction_T3_S4_21rocsparse_index_base_PKT1_PKT2_PKS4_S4_S5_PS6_PS9_PS4_,@function
_ZN9rocsparseL32bsr2csr_block_per_row_2_7_kernelILj256ELj7E21rocsparse_complex_numIfEiiEEv20rocsparse_direction_T3_S4_21rocsparse_index_base_PKT1_PKT2_PKS4_S4_S5_PS6_PS9_PS4_: ; @_ZN9rocsparseL32bsr2csr_block_per_row_2_7_kernelILj256ELj7E21rocsparse_complex_numIfEiiEEv20rocsparse_direction_T3_S4_21rocsparse_index_base_PKT1_PKT2_PKS4_S4_S5_PS6_PS9_PS4_
; %bb.0:
	s_clause 0x1
	s_load_b32 s12, s[0:1], 0x2c
	s_load_b64 s[2:3], s[0:1], 0x38
	s_bfe_u32 s4, ttmp6, 0x4000c
	s_and_b32 s5, ttmp6, 15
	s_add_co_i32 s4, s4, 1
	s_getreg_b32 s6, hwreg(HW_REG_IB_STS2, 6, 4)
	s_mul_i32 s4, ttmp9, s4
	s_delay_alu instid0(SALU_CYCLE_1) | instskip(SKIP_4) | instid1(VALU_DEP_1)
	s_add_co_i32 s5, s5, s4
	s_cmp_eq_u32 s6, 0
	s_cselect_b32 s4, ttmp9, s5
	s_mov_b32 s5, exec_lo
	v_or_b32_e32 v1, s4, v0
	v_cmpx_eq_u32_e32 0, v1
	s_cbranch_execz .LBB162_2
; %bb.1:
	s_wait_kmcnt 0x0
	v_dual_mov_b32 v1, 0 :: v_dual_mov_b32 v2, s12
	global_store_b32 v1, v2, s[2:3]
.LBB162_2:
	s_wait_xcnt 0x0
	s_or_b32 exec_lo, exec_lo, s5
	v_and_b32_e32 v1, 7, v0
	s_mov_b32 s5, exec_lo
	s_delay_alu instid0(VALU_DEP_1)
	v_cmpx_ne_u32_e32 7, v1
	s_cbranch_execz .LBB162_6
; %bb.3:
	s_clause 0x1
	s_load_b64 s[6:7], s[0:1], 0x18
	s_load_b32 s13, s[0:1], 0xc
	s_ashr_i32 s5, s4, 31
	v_lshrrev_b32_e32 v0, 3, v0
	s_lshl_b64 s[8:9], s[4:5], 2
	s_mul_i32 s4, s4, 7
	s_delay_alu instid0(SALU_CYCLE_1)
	v_add3_u32 v5, v1, s4, 1
	s_wait_kmcnt 0x0
	s_add_nc_u64 s[6:7], s[6:7], s[8:9]
	s_load_b64 s[10:11], s[6:7], 0x0
	s_wait_kmcnt 0x0
	s_sub_co_i32 s5, s10, s13
	s_sub_co_i32 s11, s11, s13
	v_add_nc_u32_e32 v2, s5, v0
	s_sub_co_i32 s6, s11, s5
	s_mul_i32 s7, s5, 49
	s_mul_i32 s6, s6, 7
	s_delay_alu instid0(SALU_CYCLE_1) | instskip(SKIP_2) | instid1(VALU_DEP_2)
	v_mul_lo_u32 v4, s6, v1
	s_add_co_i32 s6, s6, s12
	v_cmp_gt_i32_e32 vcc_lo, s11, v2
	v_add3_u32 v3, s6, s7, v4
	global_store_b32 v5, v3, s[2:3] scale_offset
	s_wait_xcnt 0x0
	s_and_b32 exec_lo, exec_lo, vcc_lo
	s_cbranch_execz .LBB162_6
; %bb.4:
	s_clause 0x4
	s_load_b64 s[2:3], s[0:1], 0x20
	s_load_b64 s[4:5], s[0:1], 0x30
	s_load_b32 s14, s[0:1], 0x0
	s_load_b64 s[6:7], s[0:1], 0x10
	s_load_b64 s[8:9], s[0:1], 0x40
	v_mul_u32_u24_e32 v0, 7, v0
	s_wait_xcnt 0x0
	s_mul_i32 s0, s10, 49
	v_mad_u32 v3, v2, 49, v1
	s_mov_b32 s1, 0
	v_add3_u32 v0, v4, s0, v0
	s_mul_i32 s0, s13, 49
	v_mul_u32_u24_e32 v4, 6, v1
	s_delay_alu instid0(VALU_DEP_2)
	v_subrev_nc_u32_e32 v0, s0, v0
	s_wait_kmcnt 0x0
	s_cmp_eq_u32 s14, 0
	s_cselect_b32 vcc_lo, -1, 0
.LBB162_5:                              ; =>This Inner Loop Header: Depth=1
	global_load_b32 v5, v2, s[2:3] scale_offset
	v_dual_add_nc_u32 v1, v4, v3 :: v_dual_add_nc_u32 v8, 7, v3
	v_dual_add_nc_u32 v13, 42, v3 :: v_dual_add_nc_u32 v11, 28, v3
	s_delay_alu instid0(VALU_DEP_2) | instskip(SKIP_4) | instid1(VALU_DEP_3)
	v_dual_add_nc_u32 v12, 35, v3 :: v_dual_add_nc_u32 v14, 1, v1
	v_dual_add_nc_u32 v15, 2, v1 :: v_dual_add_nc_u32 v16, 3, v1
	;; [unrolled: 1-line block ×3, first 2 shown]
	v_dual_cndmask_b32 v6, v3, v1 :: v_dual_add_nc_u32 v1, 5, v1
	v_dual_add_nc_u32 v9, 14, v3 :: v_dual_add_nc_u32 v10, 21, v3
	v_dual_cndmask_b32 v19, v8, v14 :: v_dual_cndmask_b32 v22, v13, v17
	s_delay_alu instid0(VALU_DEP_3) | instskip(NEXT) | instid1(VALU_DEP_3)
	v_dual_cndmask_b32 v18, v11, v18 :: v_dual_cndmask_b32 v1, v12, v1
	v_dual_cndmask_b32 v23, v9, v15 :: v_dual_cndmask_b32 v24, v10, v16
	s_clause 0x6
	global_load_b64 v[6:7], v6, s[6:7] scale_offset
	global_load_b64 v[20:21], v22, s[6:7] scale_offset
	;; [unrolled: 1-line block ×7, first 2 shown]
	s_wait_xcnt 0x3
	v_dual_ashrrev_i32 v1, 31, v0 :: v_dual_add_nc_u32 v2, 32, v2
	v_add_nc_u32_e32 v3, 0x620, v3
	s_delay_alu instid0(VALU_DEP_2) | instskip(NEXT) | instid1(VALU_DEP_3)
	v_lshl_add_u64 v[26:27], v[0:1], 2, s[8:9]
	v_cmp_le_i32_e64 s0, s11, v2
	v_lshl_add_u64 v[28:29], v[0:1], 3, s[4:5]
	s_or_b32 s1, s0, s1
	s_wait_loadcnt 0x7
	v_subrev_nc_u32_e32 v5, s13, v5
	s_delay_alu instid0(VALU_DEP_1) | instskip(SKIP_1) | instid1(VALU_DEP_1)
	v_mad_u32 v18, v5, 7, s12
	s_wait_xcnt 0x2
	v_add_nc_u32_e32 v19, 1, v18
	s_wait_loadcnt 0x5
	global_store_b64 v0, v[20:21], s[4:5] offset:48 scale_offset
	s_wait_xcnt 0x0
	v_add_nc_u32_e32 v0, 0xe0, v0
	v_dual_add_nc_u32 v20, 2, v18 :: v_dual_add_nc_u32 v21, 3, v18
	v_dual_add_nc_u32 v22, 4, v18 :: v_dual_add_nc_u32 v23, 5, v18
	v_add_nc_u32_e32 v24, 6, v18
	s_wait_loadcnt 0x2
	global_store_b128 v[28:29], v[6:9], off
	s_wait_loadcnt 0x0
	s_clause 0x1
	global_store_b128 v[28:29], v[14:17], off offset:16
	global_store_b128 v[28:29], v[10:13], off offset:32
	s_clause 0x1
	global_store_b128 v[26:27], v[18:21], off
	global_store_b96 v[26:27], v[22:24], off offset:16
	s_wait_xcnt 0x0
	s_and_not1_b32 exec_lo, exec_lo, s1
	s_cbranch_execnz .LBB162_5
.LBB162_6:
	s_endpgm
	.section	.rodata,"a",@progbits
	.p2align	6, 0x0
	.amdhsa_kernel _ZN9rocsparseL32bsr2csr_block_per_row_2_7_kernelILj256ELj7E21rocsparse_complex_numIfEiiEEv20rocsparse_direction_T3_S4_21rocsparse_index_base_PKT1_PKT2_PKS4_S4_S5_PS6_PS9_PS4_
		.amdhsa_group_segment_fixed_size 0
		.amdhsa_private_segment_fixed_size 0
		.amdhsa_kernarg_size 72
		.amdhsa_user_sgpr_count 2
		.amdhsa_user_sgpr_dispatch_ptr 0
		.amdhsa_user_sgpr_queue_ptr 0
		.amdhsa_user_sgpr_kernarg_segment_ptr 1
		.amdhsa_user_sgpr_dispatch_id 0
		.amdhsa_user_sgpr_kernarg_preload_length 0
		.amdhsa_user_sgpr_kernarg_preload_offset 0
		.amdhsa_user_sgpr_private_segment_size 0
		.amdhsa_wavefront_size32 1
		.amdhsa_uses_dynamic_stack 0
		.amdhsa_enable_private_segment 0
		.amdhsa_system_sgpr_workgroup_id_x 1
		.amdhsa_system_sgpr_workgroup_id_y 0
		.amdhsa_system_sgpr_workgroup_id_z 0
		.amdhsa_system_sgpr_workgroup_info 0
		.amdhsa_system_vgpr_workitem_id 0
		.amdhsa_next_free_vgpr 30
		.amdhsa_next_free_sgpr 15
		.amdhsa_named_barrier_count 0
		.amdhsa_reserve_vcc 1
		.amdhsa_float_round_mode_32 0
		.amdhsa_float_round_mode_16_64 0
		.amdhsa_float_denorm_mode_32 3
		.amdhsa_float_denorm_mode_16_64 3
		.amdhsa_fp16_overflow 0
		.amdhsa_memory_ordered 1
		.amdhsa_forward_progress 1
		.amdhsa_inst_pref_size 7
		.amdhsa_round_robin_scheduling 0
		.amdhsa_exception_fp_ieee_invalid_op 0
		.amdhsa_exception_fp_denorm_src 0
		.amdhsa_exception_fp_ieee_div_zero 0
		.amdhsa_exception_fp_ieee_overflow 0
		.amdhsa_exception_fp_ieee_underflow 0
		.amdhsa_exception_fp_ieee_inexact 0
		.amdhsa_exception_int_div_zero 0
	.end_amdhsa_kernel
	.section	.text._ZN9rocsparseL32bsr2csr_block_per_row_2_7_kernelILj256ELj7E21rocsparse_complex_numIfEiiEEv20rocsparse_direction_T3_S4_21rocsparse_index_base_PKT1_PKT2_PKS4_S4_S5_PS6_PS9_PS4_,"axG",@progbits,_ZN9rocsparseL32bsr2csr_block_per_row_2_7_kernelILj256ELj7E21rocsparse_complex_numIfEiiEEv20rocsparse_direction_T3_S4_21rocsparse_index_base_PKT1_PKT2_PKS4_S4_S5_PS6_PS9_PS4_,comdat
.Lfunc_end162:
	.size	_ZN9rocsparseL32bsr2csr_block_per_row_2_7_kernelILj256ELj7E21rocsparse_complex_numIfEiiEEv20rocsparse_direction_T3_S4_21rocsparse_index_base_PKT1_PKT2_PKS4_S4_S5_PS6_PS9_PS4_, .Lfunc_end162-_ZN9rocsparseL32bsr2csr_block_per_row_2_7_kernelILj256ELj7E21rocsparse_complex_numIfEiiEEv20rocsparse_direction_T3_S4_21rocsparse_index_base_PKT1_PKT2_PKS4_S4_S5_PS6_PS9_PS4_
                                        ; -- End function
	.set _ZN9rocsparseL32bsr2csr_block_per_row_2_7_kernelILj256ELj7E21rocsparse_complex_numIfEiiEEv20rocsparse_direction_T3_S4_21rocsparse_index_base_PKT1_PKT2_PKS4_S4_S5_PS6_PS9_PS4_.num_vgpr, 30
	.set _ZN9rocsparseL32bsr2csr_block_per_row_2_7_kernelILj256ELj7E21rocsparse_complex_numIfEiiEEv20rocsparse_direction_T3_S4_21rocsparse_index_base_PKT1_PKT2_PKS4_S4_S5_PS6_PS9_PS4_.num_agpr, 0
	.set _ZN9rocsparseL32bsr2csr_block_per_row_2_7_kernelILj256ELj7E21rocsparse_complex_numIfEiiEEv20rocsparse_direction_T3_S4_21rocsparse_index_base_PKT1_PKT2_PKS4_S4_S5_PS6_PS9_PS4_.numbered_sgpr, 15
	.set _ZN9rocsparseL32bsr2csr_block_per_row_2_7_kernelILj256ELj7E21rocsparse_complex_numIfEiiEEv20rocsparse_direction_T3_S4_21rocsparse_index_base_PKT1_PKT2_PKS4_S4_S5_PS6_PS9_PS4_.num_named_barrier, 0
	.set _ZN9rocsparseL32bsr2csr_block_per_row_2_7_kernelILj256ELj7E21rocsparse_complex_numIfEiiEEv20rocsparse_direction_T3_S4_21rocsparse_index_base_PKT1_PKT2_PKS4_S4_S5_PS6_PS9_PS4_.private_seg_size, 0
	.set _ZN9rocsparseL32bsr2csr_block_per_row_2_7_kernelILj256ELj7E21rocsparse_complex_numIfEiiEEv20rocsparse_direction_T3_S4_21rocsparse_index_base_PKT1_PKT2_PKS4_S4_S5_PS6_PS9_PS4_.uses_vcc, 1
	.set _ZN9rocsparseL32bsr2csr_block_per_row_2_7_kernelILj256ELj7E21rocsparse_complex_numIfEiiEEv20rocsparse_direction_T3_S4_21rocsparse_index_base_PKT1_PKT2_PKS4_S4_S5_PS6_PS9_PS4_.uses_flat_scratch, 0
	.set _ZN9rocsparseL32bsr2csr_block_per_row_2_7_kernelILj256ELj7E21rocsparse_complex_numIfEiiEEv20rocsparse_direction_T3_S4_21rocsparse_index_base_PKT1_PKT2_PKS4_S4_S5_PS6_PS9_PS4_.has_dyn_sized_stack, 0
	.set _ZN9rocsparseL32bsr2csr_block_per_row_2_7_kernelILj256ELj7E21rocsparse_complex_numIfEiiEEv20rocsparse_direction_T3_S4_21rocsparse_index_base_PKT1_PKT2_PKS4_S4_S5_PS6_PS9_PS4_.has_recursion, 0
	.set _ZN9rocsparseL32bsr2csr_block_per_row_2_7_kernelILj256ELj7E21rocsparse_complex_numIfEiiEEv20rocsparse_direction_T3_S4_21rocsparse_index_base_PKT1_PKT2_PKS4_S4_S5_PS6_PS9_PS4_.has_indirect_call, 0
	.section	.AMDGPU.csdata,"",@progbits
; Kernel info:
; codeLenInByte = 820
; TotalNumSgprs: 17
; NumVgprs: 30
; ScratchSize: 0
; MemoryBound: 0
; FloatMode: 240
; IeeeMode: 1
; LDSByteSize: 0 bytes/workgroup (compile time only)
; SGPRBlocks: 0
; VGPRBlocks: 1
; NumSGPRsForWavesPerEU: 17
; NumVGPRsForWavesPerEU: 30
; NamedBarCnt: 0
; Occupancy: 16
; WaveLimiterHint : 0
; COMPUTE_PGM_RSRC2:SCRATCH_EN: 0
; COMPUTE_PGM_RSRC2:USER_SGPR: 2
; COMPUTE_PGM_RSRC2:TRAP_HANDLER: 0
; COMPUTE_PGM_RSRC2:TGID_X_EN: 1
; COMPUTE_PGM_RSRC2:TGID_Y_EN: 0
; COMPUTE_PGM_RSRC2:TGID_Z_EN: 0
; COMPUTE_PGM_RSRC2:TIDIG_COMP_CNT: 0
	.section	.text._ZN9rocsparseL33bsr2csr_block_per_row_8_32_kernelILj1024ELj8E21rocsparse_complex_numIfEiiEEv20rocsparse_direction_T3_S4_21rocsparse_index_base_PKT1_PKT2_PKS4_S4_S5_PS6_PS9_PS4_,"axG",@progbits,_ZN9rocsparseL33bsr2csr_block_per_row_8_32_kernelILj1024ELj8E21rocsparse_complex_numIfEiiEEv20rocsparse_direction_T3_S4_21rocsparse_index_base_PKT1_PKT2_PKS4_S4_S5_PS6_PS9_PS4_,comdat
	.globl	_ZN9rocsparseL33bsr2csr_block_per_row_8_32_kernelILj1024ELj8E21rocsparse_complex_numIfEiiEEv20rocsparse_direction_T3_S4_21rocsparse_index_base_PKT1_PKT2_PKS4_S4_S5_PS6_PS9_PS4_ ; -- Begin function _ZN9rocsparseL33bsr2csr_block_per_row_8_32_kernelILj1024ELj8E21rocsparse_complex_numIfEiiEEv20rocsparse_direction_T3_S4_21rocsparse_index_base_PKT1_PKT2_PKS4_S4_S5_PS6_PS9_PS4_
	.p2align	8
	.type	_ZN9rocsparseL33bsr2csr_block_per_row_8_32_kernelILj1024ELj8E21rocsparse_complex_numIfEiiEEv20rocsparse_direction_T3_S4_21rocsparse_index_base_PKT1_PKT2_PKS4_S4_S5_PS6_PS9_PS4_,@function
_ZN9rocsparseL33bsr2csr_block_per_row_8_32_kernelILj1024ELj8E21rocsparse_complex_numIfEiiEEv20rocsparse_direction_T3_S4_21rocsparse_index_base_PKT1_PKT2_PKS4_S4_S5_PS6_PS9_PS4_: ; @_ZN9rocsparseL33bsr2csr_block_per_row_8_32_kernelILj1024ELj8E21rocsparse_complex_numIfEiiEEv20rocsparse_direction_T3_S4_21rocsparse_index_base_PKT1_PKT2_PKS4_S4_S5_PS6_PS9_PS4_
; %bb.0:
	s_clause 0x1
	s_load_b64 s[2:3], s[0:1], 0x28
	s_load_b64 s[4:5], s[0:1], 0x38
	s_bfe_u32 s6, ttmp6, 0x4000c
	s_and_b32 s7, ttmp6, 15
	s_add_co_i32 s6, s6, 1
	s_getreg_b32 s8, hwreg(HW_REG_IB_STS2, 6, 4)
	s_mul_i32 s6, ttmp9, s6
	s_delay_alu instid0(SALU_CYCLE_1) | instskip(SKIP_4) | instid1(VALU_DEP_1)
	s_add_co_i32 s7, s7, s6
	s_cmp_eq_u32 s8, 0
	s_cselect_b32 s6, ttmp9, s7
	s_mov_b32 s7, exec_lo
	v_or_b32_e32 v1, s6, v0
	v_cmpx_eq_u32_e32 0, v1
	s_cbranch_execz .LBB163_2
; %bb.1:
	s_wait_kmcnt 0x0
	v_dual_mov_b32 v1, 0 :: v_dual_mov_b32 v2, s3
	global_store_b32 v1, v2, s[4:5]
.LBB163_2:
	s_wait_xcnt 0x0
	s_or_b32 exec_lo, exec_lo, s7
	v_and_b32_e32 v1, 7, v0
	v_bfe_u32 v2, v0, 3, 3
	s_mov_b32 s7, exec_lo
	s_delay_alu instid0(VALU_DEP_1) | instskip(SKIP_1) | instid1(VALU_DEP_1)
	v_max_i32_e32 v3, v2, v1
	s_wait_kmcnt 0x0
	v_cmpx_gt_i32_e64 s2, v3
	s_cbranch_execz .LBB163_6
; %bb.3:
	s_clause 0x1
	s_load_b64 s[8:9], s[0:1], 0x18
	s_load_b32 s10, s[0:1], 0xc
	s_ashr_i32 s7, s6, 31
	v_lshrrev_b32_e32 v3, 6, v0
	s_lshl_b64 s[12:13], s[6:7], 2
	v_mad_u32 v5, s2, s6, v2
	s_wait_kmcnt 0x0
	s_add_nc_u64 s[8:9], s[8:9], s[12:13]
	s_load_b64 s[12:13], s[8:9], 0x0
	s_wait_kmcnt 0x0
	s_sub_co_i32 s8, s12, s10
	s_sub_co_i32 s11, s13, s10
	s_mul_i32 s12, s2, s2
	s_sub_co_i32 s13, s11, s8
	s_mul_i32 s9, s8, s12
	s_mul_i32 s7, s13, s2
	v_add_nc_u32_e32 v0, s8, v3
	s_add_co_i32 s14, s7, s3
	s_delay_alu instid0(SALU_CYCLE_1) | instskip(NEXT) | instid1(SALU_CYCLE_1)
	s_add_co_i32 s14, s14, s9
	v_mad_u32 v4, s7, v2, s14
	s_delay_alu instid0(VALU_DEP_2)
	v_cmp_gt_i32_e32 vcc_lo, s11, v0
	global_store_b32 v5, v4, s[4:5] offset:4 scale_offset
	s_wait_xcnt 0x0
	s_and_b32 exec_lo, exec_lo, vcc_lo
	s_cbranch_execz .LBB163_6
; %bb.4:
	s_clause 0x2
	s_load_b64 s[4:5], s[0:1], 0x20
	s_load_b64 s[6:7], s[0:1], 0x30
	s_load_b32 s14, s[0:1], 0x0
	v_mad_u32 v3, s2, s8, v3
	v_mad_u32 v4, s2, v1, v2
	v_mad_u32 v5, s2, v2, v1
	s_load_b64 s[8:9], s[0:1], 0x10
	s_delay_alu instid0(VALU_DEP_3)
	v_mad_u32 v3, s13, v2, v3
	s_wait_xcnt 0x0
	s_load_b64 s[0:1], s[0:1], 0x40
	s_wait_kmcnt 0x0
	s_cmp_eq_u32 s14, 0
	s_cselect_b32 vcc_lo, -1, 0
	s_delay_alu instid0(VALU_DEP_1) | instskip(NEXT) | instid1(VALU_DEP_3)
	v_mad_u32 v3, s2, v3, v1
	v_cndmask_b32_e32 v2, v4, v5, vcc_lo
	v_add_nc_u32_e32 v1, s3, v1
	s_mov_b32 s3, 0
	s_lshl_b32 s13, s2, 4
	s_delay_alu instid0(VALU_DEP_2)
	v_mad_u32 v2, s12, v0, v2
	s_lshl_b32 s12, s12, 4
.LBB163_5:                              ; =>This Inner Loop Header: Depth=1
	global_load_b32 v6, v0, s[4:5] scale_offset
	global_load_b64 v[4:5], v2, s[8:9] scale_offset
	s_wait_xcnt 0x0
	v_dual_add_nc_u32 v0, 16, v0 :: v_dual_add_nc_u32 v2, s12, v2
	s_delay_alu instid0(VALU_DEP_1) | instskip(SKIP_3) | instid1(VALU_DEP_1)
	v_cmp_le_i32_e32 vcc_lo, s11, v0
	s_or_b32 s3, vcc_lo, s3
	s_wait_loadcnt 0x1
	v_subrev_nc_u32_e32 v6, s10, v6
	v_mad_u32 v6, v6, s2, v1
	global_store_b32 v3, v6, s[0:1] scale_offset
	s_wait_loadcnt 0x0
	global_store_b64 v3, v[4:5], s[6:7] scale_offset
	s_wait_xcnt 0x0
	v_add_nc_u32_e32 v3, s13, v3
	s_and_not1_b32 exec_lo, exec_lo, s3
	s_cbranch_execnz .LBB163_5
.LBB163_6:
	s_endpgm
	.section	.rodata,"a",@progbits
	.p2align	6, 0x0
	.amdhsa_kernel _ZN9rocsparseL33bsr2csr_block_per_row_8_32_kernelILj1024ELj8E21rocsparse_complex_numIfEiiEEv20rocsparse_direction_T3_S4_21rocsparse_index_base_PKT1_PKT2_PKS4_S4_S5_PS6_PS9_PS4_
		.amdhsa_group_segment_fixed_size 0
		.amdhsa_private_segment_fixed_size 0
		.amdhsa_kernarg_size 72
		.amdhsa_user_sgpr_count 2
		.amdhsa_user_sgpr_dispatch_ptr 0
		.amdhsa_user_sgpr_queue_ptr 0
		.amdhsa_user_sgpr_kernarg_segment_ptr 1
		.amdhsa_user_sgpr_dispatch_id 0
		.amdhsa_user_sgpr_kernarg_preload_length 0
		.amdhsa_user_sgpr_kernarg_preload_offset 0
		.amdhsa_user_sgpr_private_segment_size 0
		.amdhsa_wavefront_size32 1
		.amdhsa_uses_dynamic_stack 0
		.amdhsa_enable_private_segment 0
		.amdhsa_system_sgpr_workgroup_id_x 1
		.amdhsa_system_sgpr_workgroup_id_y 0
		.amdhsa_system_sgpr_workgroup_id_z 0
		.amdhsa_system_sgpr_workgroup_info 0
		.amdhsa_system_vgpr_workitem_id 0
		.amdhsa_next_free_vgpr 7
		.amdhsa_next_free_sgpr 15
		.amdhsa_named_barrier_count 0
		.amdhsa_reserve_vcc 1
		.amdhsa_float_round_mode_32 0
		.amdhsa_float_round_mode_16_64 0
		.amdhsa_float_denorm_mode_32 3
		.amdhsa_float_denorm_mode_16_64 3
		.amdhsa_fp16_overflow 0
		.amdhsa_memory_ordered 1
		.amdhsa_forward_progress 1
		.amdhsa_inst_pref_size 5
		.amdhsa_round_robin_scheduling 0
		.amdhsa_exception_fp_ieee_invalid_op 0
		.amdhsa_exception_fp_denorm_src 0
		.amdhsa_exception_fp_ieee_div_zero 0
		.amdhsa_exception_fp_ieee_overflow 0
		.amdhsa_exception_fp_ieee_underflow 0
		.amdhsa_exception_fp_ieee_inexact 0
		.amdhsa_exception_int_div_zero 0
	.end_amdhsa_kernel
	.section	.text._ZN9rocsparseL33bsr2csr_block_per_row_8_32_kernelILj1024ELj8E21rocsparse_complex_numIfEiiEEv20rocsparse_direction_T3_S4_21rocsparse_index_base_PKT1_PKT2_PKS4_S4_S5_PS6_PS9_PS4_,"axG",@progbits,_ZN9rocsparseL33bsr2csr_block_per_row_8_32_kernelILj1024ELj8E21rocsparse_complex_numIfEiiEEv20rocsparse_direction_T3_S4_21rocsparse_index_base_PKT1_PKT2_PKS4_S4_S5_PS6_PS9_PS4_,comdat
.Lfunc_end163:
	.size	_ZN9rocsparseL33bsr2csr_block_per_row_8_32_kernelILj1024ELj8E21rocsparse_complex_numIfEiiEEv20rocsparse_direction_T3_S4_21rocsparse_index_base_PKT1_PKT2_PKS4_S4_S5_PS6_PS9_PS4_, .Lfunc_end163-_ZN9rocsparseL33bsr2csr_block_per_row_8_32_kernelILj1024ELj8E21rocsparse_complex_numIfEiiEEv20rocsparse_direction_T3_S4_21rocsparse_index_base_PKT1_PKT2_PKS4_S4_S5_PS6_PS9_PS4_
                                        ; -- End function
	.set _ZN9rocsparseL33bsr2csr_block_per_row_8_32_kernelILj1024ELj8E21rocsparse_complex_numIfEiiEEv20rocsparse_direction_T3_S4_21rocsparse_index_base_PKT1_PKT2_PKS4_S4_S5_PS6_PS9_PS4_.num_vgpr, 7
	.set _ZN9rocsparseL33bsr2csr_block_per_row_8_32_kernelILj1024ELj8E21rocsparse_complex_numIfEiiEEv20rocsparse_direction_T3_S4_21rocsparse_index_base_PKT1_PKT2_PKS4_S4_S5_PS6_PS9_PS4_.num_agpr, 0
	.set _ZN9rocsparseL33bsr2csr_block_per_row_8_32_kernelILj1024ELj8E21rocsparse_complex_numIfEiiEEv20rocsparse_direction_T3_S4_21rocsparse_index_base_PKT1_PKT2_PKS4_S4_S5_PS6_PS9_PS4_.numbered_sgpr, 15
	.set _ZN9rocsparseL33bsr2csr_block_per_row_8_32_kernelILj1024ELj8E21rocsparse_complex_numIfEiiEEv20rocsparse_direction_T3_S4_21rocsparse_index_base_PKT1_PKT2_PKS4_S4_S5_PS6_PS9_PS4_.num_named_barrier, 0
	.set _ZN9rocsparseL33bsr2csr_block_per_row_8_32_kernelILj1024ELj8E21rocsparse_complex_numIfEiiEEv20rocsparse_direction_T3_S4_21rocsparse_index_base_PKT1_PKT2_PKS4_S4_S5_PS6_PS9_PS4_.private_seg_size, 0
	.set _ZN9rocsparseL33bsr2csr_block_per_row_8_32_kernelILj1024ELj8E21rocsparse_complex_numIfEiiEEv20rocsparse_direction_T3_S4_21rocsparse_index_base_PKT1_PKT2_PKS4_S4_S5_PS6_PS9_PS4_.uses_vcc, 1
	.set _ZN9rocsparseL33bsr2csr_block_per_row_8_32_kernelILj1024ELj8E21rocsparse_complex_numIfEiiEEv20rocsparse_direction_T3_S4_21rocsparse_index_base_PKT1_PKT2_PKS4_S4_S5_PS6_PS9_PS4_.uses_flat_scratch, 0
	.set _ZN9rocsparseL33bsr2csr_block_per_row_8_32_kernelILj1024ELj8E21rocsparse_complex_numIfEiiEEv20rocsparse_direction_T3_S4_21rocsparse_index_base_PKT1_PKT2_PKS4_S4_S5_PS6_PS9_PS4_.has_dyn_sized_stack, 0
	.set _ZN9rocsparseL33bsr2csr_block_per_row_8_32_kernelILj1024ELj8E21rocsparse_complex_numIfEiiEEv20rocsparse_direction_T3_S4_21rocsparse_index_base_PKT1_PKT2_PKS4_S4_S5_PS6_PS9_PS4_.has_recursion, 0
	.set _ZN9rocsparseL33bsr2csr_block_per_row_8_32_kernelILj1024ELj8E21rocsparse_complex_numIfEiiEEv20rocsparse_direction_T3_S4_21rocsparse_index_base_PKT1_PKT2_PKS4_S4_S5_PS6_PS9_PS4_.has_indirect_call, 0
	.section	.AMDGPU.csdata,"",@progbits
; Kernel info:
; codeLenInByte = 544
; TotalNumSgprs: 17
; NumVgprs: 7
; ScratchSize: 0
; MemoryBound: 0
; FloatMode: 240
; IeeeMode: 1
; LDSByteSize: 0 bytes/workgroup (compile time only)
; SGPRBlocks: 0
; VGPRBlocks: 0
; NumSGPRsForWavesPerEU: 17
; NumVGPRsForWavesPerEU: 7
; NamedBarCnt: 0
; Occupancy: 16
; WaveLimiterHint : 0
; COMPUTE_PGM_RSRC2:SCRATCH_EN: 0
; COMPUTE_PGM_RSRC2:USER_SGPR: 2
; COMPUTE_PGM_RSRC2:TRAP_HANDLER: 0
; COMPUTE_PGM_RSRC2:TGID_X_EN: 1
; COMPUTE_PGM_RSRC2:TGID_Y_EN: 0
; COMPUTE_PGM_RSRC2:TGID_Z_EN: 0
; COMPUTE_PGM_RSRC2:TIDIG_COMP_CNT: 0
	.section	.text._ZN9rocsparseL33bsr2csr_block_per_row_8_32_kernelILj1024ELj16E21rocsparse_complex_numIfEiiEEv20rocsparse_direction_T3_S4_21rocsparse_index_base_PKT1_PKT2_PKS4_S4_S5_PS6_PS9_PS4_,"axG",@progbits,_ZN9rocsparseL33bsr2csr_block_per_row_8_32_kernelILj1024ELj16E21rocsparse_complex_numIfEiiEEv20rocsparse_direction_T3_S4_21rocsparse_index_base_PKT1_PKT2_PKS4_S4_S5_PS6_PS9_PS4_,comdat
	.globl	_ZN9rocsparseL33bsr2csr_block_per_row_8_32_kernelILj1024ELj16E21rocsparse_complex_numIfEiiEEv20rocsparse_direction_T3_S4_21rocsparse_index_base_PKT1_PKT2_PKS4_S4_S5_PS6_PS9_PS4_ ; -- Begin function _ZN9rocsparseL33bsr2csr_block_per_row_8_32_kernelILj1024ELj16E21rocsparse_complex_numIfEiiEEv20rocsparse_direction_T3_S4_21rocsparse_index_base_PKT1_PKT2_PKS4_S4_S5_PS6_PS9_PS4_
	.p2align	8
	.type	_ZN9rocsparseL33bsr2csr_block_per_row_8_32_kernelILj1024ELj16E21rocsparse_complex_numIfEiiEEv20rocsparse_direction_T3_S4_21rocsparse_index_base_PKT1_PKT2_PKS4_S4_S5_PS6_PS9_PS4_,@function
_ZN9rocsparseL33bsr2csr_block_per_row_8_32_kernelILj1024ELj16E21rocsparse_complex_numIfEiiEEv20rocsparse_direction_T3_S4_21rocsparse_index_base_PKT1_PKT2_PKS4_S4_S5_PS6_PS9_PS4_: ; @_ZN9rocsparseL33bsr2csr_block_per_row_8_32_kernelILj1024ELj16E21rocsparse_complex_numIfEiiEEv20rocsparse_direction_T3_S4_21rocsparse_index_base_PKT1_PKT2_PKS4_S4_S5_PS6_PS9_PS4_
; %bb.0:
	s_clause 0x1
	s_load_b64 s[2:3], s[0:1], 0x28
	s_load_b64 s[4:5], s[0:1], 0x38
	s_bfe_u32 s6, ttmp6, 0x4000c
	s_and_b32 s7, ttmp6, 15
	s_add_co_i32 s6, s6, 1
	s_getreg_b32 s8, hwreg(HW_REG_IB_STS2, 6, 4)
	s_mul_i32 s6, ttmp9, s6
	s_delay_alu instid0(SALU_CYCLE_1) | instskip(SKIP_4) | instid1(VALU_DEP_1)
	s_add_co_i32 s7, s7, s6
	s_cmp_eq_u32 s8, 0
	s_cselect_b32 s6, ttmp9, s7
	s_mov_b32 s7, exec_lo
	v_or_b32_e32 v1, s6, v0
	v_cmpx_eq_u32_e32 0, v1
	s_cbranch_execz .LBB164_2
; %bb.1:
	s_wait_kmcnt 0x0
	v_dual_mov_b32 v1, 0 :: v_dual_mov_b32 v2, s3
	global_store_b32 v1, v2, s[4:5]
.LBB164_2:
	s_wait_xcnt 0x0
	s_or_b32 exec_lo, exec_lo, s7
	v_and_b32_e32 v1, 15, v0
	v_bfe_u32 v2, v0, 4, 4
	s_mov_b32 s7, exec_lo
	s_delay_alu instid0(VALU_DEP_1) | instskip(SKIP_1) | instid1(VALU_DEP_1)
	v_max_i32_e32 v3, v2, v1
	s_wait_kmcnt 0x0
	v_cmpx_gt_i32_e64 s2, v3
	s_cbranch_execz .LBB164_6
; %bb.3:
	s_clause 0x1
	s_load_b64 s[8:9], s[0:1], 0x18
	s_load_b32 s10, s[0:1], 0xc
	s_ashr_i32 s7, s6, 31
	v_lshrrev_b32_e32 v3, 8, v0
	s_lshl_b64 s[12:13], s[6:7], 2
	v_mad_u32 v5, s2, s6, v2
	s_wait_kmcnt 0x0
	s_add_nc_u64 s[8:9], s[8:9], s[12:13]
	s_load_b64 s[12:13], s[8:9], 0x0
	s_wait_kmcnt 0x0
	s_sub_co_i32 s8, s12, s10
	s_sub_co_i32 s11, s13, s10
	s_mul_i32 s12, s2, s2
	s_sub_co_i32 s13, s11, s8
	s_mul_i32 s9, s8, s12
	s_mul_i32 s7, s13, s2
	v_add_nc_u32_e32 v0, s8, v3
	s_add_co_i32 s14, s7, s3
	s_delay_alu instid0(SALU_CYCLE_1) | instskip(NEXT) | instid1(SALU_CYCLE_1)
	s_add_co_i32 s14, s14, s9
	v_mad_u32 v4, s7, v2, s14
	s_delay_alu instid0(VALU_DEP_2)
	v_cmp_gt_i32_e32 vcc_lo, s11, v0
	global_store_b32 v5, v4, s[4:5] offset:4 scale_offset
	s_wait_xcnt 0x0
	s_and_b32 exec_lo, exec_lo, vcc_lo
	s_cbranch_execz .LBB164_6
; %bb.4:
	s_clause 0x2
	s_load_b64 s[4:5], s[0:1], 0x20
	s_load_b64 s[6:7], s[0:1], 0x30
	s_load_b32 s14, s[0:1], 0x0
	v_mad_u32 v3, s2, s8, v3
	v_mad_u32 v4, s2, v1, v2
	;; [unrolled: 1-line block ×3, first 2 shown]
	s_load_b64 s[8:9], s[0:1], 0x10
	s_delay_alu instid0(VALU_DEP_3)
	v_mad_u32 v3, s13, v2, v3
	s_wait_xcnt 0x0
	s_load_b64 s[0:1], s[0:1], 0x40
	s_wait_kmcnt 0x0
	s_cmp_eq_u32 s14, 0
	s_cselect_b32 vcc_lo, -1, 0
	s_delay_alu instid0(VALU_DEP_1) | instskip(NEXT) | instid1(VALU_DEP_3)
	v_mad_u32 v3, s2, v3, v1
	v_cndmask_b32_e32 v2, v4, v5, vcc_lo
	v_add_nc_u32_e32 v1, s3, v1
	s_mov_b32 s3, 0
	s_lshl_b32 s13, s2, 2
	s_delay_alu instid0(VALU_DEP_2)
	v_mad_u32 v2, s12, v0, v2
	s_lshl_b32 s12, s12, 2
.LBB164_5:                              ; =>This Inner Loop Header: Depth=1
	global_load_b32 v6, v0, s[4:5] scale_offset
	global_load_b64 v[4:5], v2, s[8:9] scale_offset
	s_wait_xcnt 0x0
	v_dual_add_nc_u32 v0, 4, v0 :: v_dual_add_nc_u32 v2, s12, v2
	s_delay_alu instid0(VALU_DEP_1) | instskip(SKIP_3) | instid1(VALU_DEP_1)
	v_cmp_le_i32_e32 vcc_lo, s11, v0
	s_or_b32 s3, vcc_lo, s3
	s_wait_loadcnt 0x1
	v_subrev_nc_u32_e32 v6, s10, v6
	v_mad_u32 v6, v6, s2, v1
	global_store_b32 v3, v6, s[0:1] scale_offset
	s_wait_loadcnt 0x0
	global_store_b64 v3, v[4:5], s[6:7] scale_offset
	s_wait_xcnt 0x0
	v_add_nc_u32_e32 v3, s13, v3
	s_and_not1_b32 exec_lo, exec_lo, s3
	s_cbranch_execnz .LBB164_5
.LBB164_6:
	s_endpgm
	.section	.rodata,"a",@progbits
	.p2align	6, 0x0
	.amdhsa_kernel _ZN9rocsparseL33bsr2csr_block_per_row_8_32_kernelILj1024ELj16E21rocsparse_complex_numIfEiiEEv20rocsparse_direction_T3_S4_21rocsparse_index_base_PKT1_PKT2_PKS4_S4_S5_PS6_PS9_PS4_
		.amdhsa_group_segment_fixed_size 0
		.amdhsa_private_segment_fixed_size 0
		.amdhsa_kernarg_size 72
		.amdhsa_user_sgpr_count 2
		.amdhsa_user_sgpr_dispatch_ptr 0
		.amdhsa_user_sgpr_queue_ptr 0
		.amdhsa_user_sgpr_kernarg_segment_ptr 1
		.amdhsa_user_sgpr_dispatch_id 0
		.amdhsa_user_sgpr_kernarg_preload_length 0
		.amdhsa_user_sgpr_kernarg_preload_offset 0
		.amdhsa_user_sgpr_private_segment_size 0
		.amdhsa_wavefront_size32 1
		.amdhsa_uses_dynamic_stack 0
		.amdhsa_enable_private_segment 0
		.amdhsa_system_sgpr_workgroup_id_x 1
		.amdhsa_system_sgpr_workgroup_id_y 0
		.amdhsa_system_sgpr_workgroup_id_z 0
		.amdhsa_system_sgpr_workgroup_info 0
		.amdhsa_system_vgpr_workitem_id 0
		.amdhsa_next_free_vgpr 7
		.amdhsa_next_free_sgpr 15
		.amdhsa_named_barrier_count 0
		.amdhsa_reserve_vcc 1
		.amdhsa_float_round_mode_32 0
		.amdhsa_float_round_mode_16_64 0
		.amdhsa_float_denorm_mode_32 3
		.amdhsa_float_denorm_mode_16_64 3
		.amdhsa_fp16_overflow 0
		.amdhsa_memory_ordered 1
		.amdhsa_forward_progress 1
		.amdhsa_inst_pref_size 5
		.amdhsa_round_robin_scheduling 0
		.amdhsa_exception_fp_ieee_invalid_op 0
		.amdhsa_exception_fp_denorm_src 0
		.amdhsa_exception_fp_ieee_div_zero 0
		.amdhsa_exception_fp_ieee_overflow 0
		.amdhsa_exception_fp_ieee_underflow 0
		.amdhsa_exception_fp_ieee_inexact 0
		.amdhsa_exception_int_div_zero 0
	.end_amdhsa_kernel
	.section	.text._ZN9rocsparseL33bsr2csr_block_per_row_8_32_kernelILj1024ELj16E21rocsparse_complex_numIfEiiEEv20rocsparse_direction_T3_S4_21rocsparse_index_base_PKT1_PKT2_PKS4_S4_S5_PS6_PS9_PS4_,"axG",@progbits,_ZN9rocsparseL33bsr2csr_block_per_row_8_32_kernelILj1024ELj16E21rocsparse_complex_numIfEiiEEv20rocsparse_direction_T3_S4_21rocsparse_index_base_PKT1_PKT2_PKS4_S4_S5_PS6_PS9_PS4_,comdat
.Lfunc_end164:
	.size	_ZN9rocsparseL33bsr2csr_block_per_row_8_32_kernelILj1024ELj16E21rocsparse_complex_numIfEiiEEv20rocsparse_direction_T3_S4_21rocsparse_index_base_PKT1_PKT2_PKS4_S4_S5_PS6_PS9_PS4_, .Lfunc_end164-_ZN9rocsparseL33bsr2csr_block_per_row_8_32_kernelILj1024ELj16E21rocsparse_complex_numIfEiiEEv20rocsparse_direction_T3_S4_21rocsparse_index_base_PKT1_PKT2_PKS4_S4_S5_PS6_PS9_PS4_
                                        ; -- End function
	.set _ZN9rocsparseL33bsr2csr_block_per_row_8_32_kernelILj1024ELj16E21rocsparse_complex_numIfEiiEEv20rocsparse_direction_T3_S4_21rocsparse_index_base_PKT1_PKT2_PKS4_S4_S5_PS6_PS9_PS4_.num_vgpr, 7
	.set _ZN9rocsparseL33bsr2csr_block_per_row_8_32_kernelILj1024ELj16E21rocsparse_complex_numIfEiiEEv20rocsparse_direction_T3_S4_21rocsparse_index_base_PKT1_PKT2_PKS4_S4_S5_PS6_PS9_PS4_.num_agpr, 0
	.set _ZN9rocsparseL33bsr2csr_block_per_row_8_32_kernelILj1024ELj16E21rocsparse_complex_numIfEiiEEv20rocsparse_direction_T3_S4_21rocsparse_index_base_PKT1_PKT2_PKS4_S4_S5_PS6_PS9_PS4_.numbered_sgpr, 15
	.set _ZN9rocsparseL33bsr2csr_block_per_row_8_32_kernelILj1024ELj16E21rocsparse_complex_numIfEiiEEv20rocsparse_direction_T3_S4_21rocsparse_index_base_PKT1_PKT2_PKS4_S4_S5_PS6_PS9_PS4_.num_named_barrier, 0
	.set _ZN9rocsparseL33bsr2csr_block_per_row_8_32_kernelILj1024ELj16E21rocsparse_complex_numIfEiiEEv20rocsparse_direction_T3_S4_21rocsparse_index_base_PKT1_PKT2_PKS4_S4_S5_PS6_PS9_PS4_.private_seg_size, 0
	.set _ZN9rocsparseL33bsr2csr_block_per_row_8_32_kernelILj1024ELj16E21rocsparse_complex_numIfEiiEEv20rocsparse_direction_T3_S4_21rocsparse_index_base_PKT1_PKT2_PKS4_S4_S5_PS6_PS9_PS4_.uses_vcc, 1
	.set _ZN9rocsparseL33bsr2csr_block_per_row_8_32_kernelILj1024ELj16E21rocsparse_complex_numIfEiiEEv20rocsparse_direction_T3_S4_21rocsparse_index_base_PKT1_PKT2_PKS4_S4_S5_PS6_PS9_PS4_.uses_flat_scratch, 0
	.set _ZN9rocsparseL33bsr2csr_block_per_row_8_32_kernelILj1024ELj16E21rocsparse_complex_numIfEiiEEv20rocsparse_direction_T3_S4_21rocsparse_index_base_PKT1_PKT2_PKS4_S4_S5_PS6_PS9_PS4_.has_dyn_sized_stack, 0
	.set _ZN9rocsparseL33bsr2csr_block_per_row_8_32_kernelILj1024ELj16E21rocsparse_complex_numIfEiiEEv20rocsparse_direction_T3_S4_21rocsparse_index_base_PKT1_PKT2_PKS4_S4_S5_PS6_PS9_PS4_.has_recursion, 0
	.set _ZN9rocsparseL33bsr2csr_block_per_row_8_32_kernelILj1024ELj16E21rocsparse_complex_numIfEiiEEv20rocsparse_direction_T3_S4_21rocsparse_index_base_PKT1_PKT2_PKS4_S4_S5_PS6_PS9_PS4_.has_indirect_call, 0
	.section	.AMDGPU.csdata,"",@progbits
; Kernel info:
; codeLenInByte = 544
; TotalNumSgprs: 17
; NumVgprs: 7
; ScratchSize: 0
; MemoryBound: 0
; FloatMode: 240
; IeeeMode: 1
; LDSByteSize: 0 bytes/workgroup (compile time only)
; SGPRBlocks: 0
; VGPRBlocks: 0
; NumSGPRsForWavesPerEU: 17
; NumVGPRsForWavesPerEU: 7
; NamedBarCnt: 0
; Occupancy: 16
; WaveLimiterHint : 0
; COMPUTE_PGM_RSRC2:SCRATCH_EN: 0
; COMPUTE_PGM_RSRC2:USER_SGPR: 2
; COMPUTE_PGM_RSRC2:TRAP_HANDLER: 0
; COMPUTE_PGM_RSRC2:TGID_X_EN: 1
; COMPUTE_PGM_RSRC2:TGID_Y_EN: 0
; COMPUTE_PGM_RSRC2:TGID_Z_EN: 0
; COMPUTE_PGM_RSRC2:TIDIG_COMP_CNT: 0
	.section	.text._ZN9rocsparseL33bsr2csr_block_per_row_8_32_kernelILj1024ELj32E21rocsparse_complex_numIfEiiEEv20rocsparse_direction_T3_S4_21rocsparse_index_base_PKT1_PKT2_PKS4_S4_S5_PS6_PS9_PS4_,"axG",@progbits,_ZN9rocsparseL33bsr2csr_block_per_row_8_32_kernelILj1024ELj32E21rocsparse_complex_numIfEiiEEv20rocsparse_direction_T3_S4_21rocsparse_index_base_PKT1_PKT2_PKS4_S4_S5_PS6_PS9_PS4_,comdat
	.globl	_ZN9rocsparseL33bsr2csr_block_per_row_8_32_kernelILj1024ELj32E21rocsparse_complex_numIfEiiEEv20rocsparse_direction_T3_S4_21rocsparse_index_base_PKT1_PKT2_PKS4_S4_S5_PS6_PS9_PS4_ ; -- Begin function _ZN9rocsparseL33bsr2csr_block_per_row_8_32_kernelILj1024ELj32E21rocsparse_complex_numIfEiiEEv20rocsparse_direction_T3_S4_21rocsparse_index_base_PKT1_PKT2_PKS4_S4_S5_PS6_PS9_PS4_
	.p2align	8
	.type	_ZN9rocsparseL33bsr2csr_block_per_row_8_32_kernelILj1024ELj32E21rocsparse_complex_numIfEiiEEv20rocsparse_direction_T3_S4_21rocsparse_index_base_PKT1_PKT2_PKS4_S4_S5_PS6_PS9_PS4_,@function
_ZN9rocsparseL33bsr2csr_block_per_row_8_32_kernelILj1024ELj32E21rocsparse_complex_numIfEiiEEv20rocsparse_direction_T3_S4_21rocsparse_index_base_PKT1_PKT2_PKS4_S4_S5_PS6_PS9_PS4_: ; @_ZN9rocsparseL33bsr2csr_block_per_row_8_32_kernelILj1024ELj32E21rocsparse_complex_numIfEiiEEv20rocsparse_direction_T3_S4_21rocsparse_index_base_PKT1_PKT2_PKS4_S4_S5_PS6_PS9_PS4_
; %bb.0:
	s_clause 0x1
	s_load_b64 s[2:3], s[0:1], 0x28
	s_load_b64 s[6:7], s[0:1], 0x38
	s_bfe_u32 s4, ttmp6, 0x4000c
	s_and_b32 s5, ttmp6, 15
	s_add_co_i32 s4, s4, 1
	s_getreg_b32 s8, hwreg(HW_REG_IB_STS2, 6, 4)
	s_mul_i32 s4, ttmp9, s4
	s_delay_alu instid0(SALU_CYCLE_1) | instskip(SKIP_3) | instid1(SALU_CYCLE_1)
	s_add_co_i32 s5, s5, s4
	s_cmp_eq_u32 s8, 0
	s_mov_b32 s4, exec_lo
	s_cselect_b32 s8, ttmp9, s5
	v_or_b32_e32 v1, s8, v0
	s_delay_alu instid0(VALU_DEP_1)
	v_cmpx_eq_u32_e32 0, v1
	s_cbranch_execz .LBB165_2
; %bb.1:
	s_wait_kmcnt 0x0
	v_dual_mov_b32 v1, 0 :: v_dual_mov_b32 v2, s3
	global_store_b32 v1, v2, s[6:7]
.LBB165_2:
	s_wait_xcnt 0x0
	s_or_b32 exec_lo, exec_lo, s4
	v_dual_lshrrev_b32 v0, 5, v0 :: v_dual_bitop2_b32 v1, 31, v0 bitop3:0x40
	s_mov_b32 s4, exec_lo
	s_delay_alu instid0(VALU_DEP_1) | instskip(SKIP_1) | instid1(VALU_DEP_1)
	v_max_i32_e32 v2, v0, v1
	s_wait_kmcnt 0x0
	v_cmpx_gt_i32_e64 s2, v2
	s_cbranch_execz .LBB165_6
; %bb.3:
	s_clause 0x1
	s_load_b64 s[4:5], s[0:1], 0x18
	s_load_b32 s12, s[0:1], 0xc
	s_ashr_i32 s9, s8, 31
	s_mul_i32 s14, s2, s2
	s_lshl_b64 s[10:11], s[8:9], 2
	v_mad_u32 v3, s2, s8, v0
	s_wait_kmcnt 0x0
	s_add_nc_u64 s[4:5], s[4:5], s[10:11]
	s_load_b64 s[16:17], s[4:5], 0x0
	s_wait_kmcnt 0x0
	s_sub_co_i32 s4, s16, s12
	s_sub_co_i32 s13, s17, s12
	s_mul_i32 s10, s4, s14
	s_sub_co_i32 s5, s13, s4
	s_delay_alu instid0(SALU_CYCLE_1) | instskip(NEXT) | instid1(SALU_CYCLE_1)
	s_mul_i32 s9, s5, s2
	s_add_co_i32 s11, s9, s3
	s_delay_alu instid0(SALU_CYCLE_1)
	s_add_co_i32 s11, s11, s10
	s_cmp_ge_i32 s16, s17
	v_mad_u32 v2, s9, v0, s11
	global_store_b32 v3, v2, s[6:7] offset:4 scale_offset
	s_cbranch_scc1 .LBB165_6
; %bb.4:
	s_wait_xcnt 0x0
	v_mul_lo_u32 v2, v0, s5
	s_clause 0x3
	s_load_b64 s[16:17], s[0:1], 0x20
	s_load_b32 s5, s[0:1], 0x0
	s_load_b64 s[6:7], s[0:1], 0x10
	s_load_b64 s[8:9], s[0:1], 0x30
	v_mad_u32 v3, s2, v1, v0
	v_mad_u32 v4, s2, v0, v1
	s_wait_xcnt 0x0
	s_load_b64 s[0:1], s[0:1], 0x40
	s_delay_alu instid0(VALU_DEP_3) | instskip(SKIP_3) | instid1(VALU_DEP_1)
	v_mad_u32 v2, s2, s4, v2
	s_wait_kmcnt 0x0
	s_cmp_eq_u32 s5, 0
	s_cselect_b32 vcc_lo, -1, 0
	v_mad_u32 v0, s2, v2, v1
	s_delay_alu instid0(VALU_DEP_3) | instskip(SKIP_1) | instid1(VALU_DEP_1)
	v_dual_cndmask_b32 v2, v3, v4 :: v_dual_add_nc_u32 v1, s3, v1
	s_ashr_i32 s5, s4, 31
	v_add_nc_u32_e32 v2, s10, v2
	s_lshl_b64 s[10:11], s[4:5], 2
	s_delay_alu instid0(SALU_CYCLE_1)
	s_add_nc_u64 s[10:11], s[16:17], s[10:11]
.LBB165_5:                              ; =>This Inner Loop Header: Depth=1
	global_load_b64 v[4:5], v2, s[6:7] scale_offset
	s_load_b32 s3, s[10:11], 0x0
	v_add_nc_u32_e32 v2, s14, v2
	s_add_co_i32 s4, s4, 1
	s_wait_xcnt 0x0
	s_add_nc_u64 s[10:11], s[10:11], 4
	s_wait_kmcnt 0x0
	s_sub_co_i32 s3, s3, s12
	s_cmp_lt_i32 s4, s13
	v_mad_u32 v3, s3, s2, v1
	global_store_b32 v0, v3, s[0:1] scale_offset
	s_wait_loadcnt 0x0
	global_store_b64 v0, v[4:5], s[8:9] scale_offset
	s_wait_xcnt 0x0
	v_add_nc_u32_e32 v0, s2, v0
	s_cbranch_scc1 .LBB165_5
.LBB165_6:
	s_endpgm
	.section	.rodata,"a",@progbits
	.p2align	6, 0x0
	.amdhsa_kernel _ZN9rocsparseL33bsr2csr_block_per_row_8_32_kernelILj1024ELj32E21rocsparse_complex_numIfEiiEEv20rocsparse_direction_T3_S4_21rocsparse_index_base_PKT1_PKT2_PKS4_S4_S5_PS6_PS9_PS4_
		.amdhsa_group_segment_fixed_size 0
		.amdhsa_private_segment_fixed_size 0
		.amdhsa_kernarg_size 72
		.amdhsa_user_sgpr_count 2
		.amdhsa_user_sgpr_dispatch_ptr 0
		.amdhsa_user_sgpr_queue_ptr 0
		.amdhsa_user_sgpr_kernarg_segment_ptr 1
		.amdhsa_user_sgpr_dispatch_id 0
		.amdhsa_user_sgpr_kernarg_preload_length 0
		.amdhsa_user_sgpr_kernarg_preload_offset 0
		.amdhsa_user_sgpr_private_segment_size 0
		.amdhsa_wavefront_size32 1
		.amdhsa_uses_dynamic_stack 0
		.amdhsa_enable_private_segment 0
		.amdhsa_system_sgpr_workgroup_id_x 1
		.amdhsa_system_sgpr_workgroup_id_y 0
		.amdhsa_system_sgpr_workgroup_id_z 0
		.amdhsa_system_sgpr_workgroup_info 0
		.amdhsa_system_vgpr_workitem_id 0
		.amdhsa_next_free_vgpr 6
		.amdhsa_next_free_sgpr 18
		.amdhsa_named_barrier_count 0
		.amdhsa_reserve_vcc 1
		.amdhsa_float_round_mode_32 0
		.amdhsa_float_round_mode_16_64 0
		.amdhsa_float_denorm_mode_32 3
		.amdhsa_float_denorm_mode_16_64 3
		.amdhsa_fp16_overflow 0
		.amdhsa_memory_ordered 1
		.amdhsa_forward_progress 1
		.amdhsa_inst_pref_size 5
		.amdhsa_round_robin_scheduling 0
		.amdhsa_exception_fp_ieee_invalid_op 0
		.amdhsa_exception_fp_denorm_src 0
		.amdhsa_exception_fp_ieee_div_zero 0
		.amdhsa_exception_fp_ieee_overflow 0
		.amdhsa_exception_fp_ieee_underflow 0
		.amdhsa_exception_fp_ieee_inexact 0
		.amdhsa_exception_int_div_zero 0
	.end_amdhsa_kernel
	.section	.text._ZN9rocsparseL33bsr2csr_block_per_row_8_32_kernelILj1024ELj32E21rocsparse_complex_numIfEiiEEv20rocsparse_direction_T3_S4_21rocsparse_index_base_PKT1_PKT2_PKS4_S4_S5_PS6_PS9_PS4_,"axG",@progbits,_ZN9rocsparseL33bsr2csr_block_per_row_8_32_kernelILj1024ELj32E21rocsparse_complex_numIfEiiEEv20rocsparse_direction_T3_S4_21rocsparse_index_base_PKT1_PKT2_PKS4_S4_S5_PS6_PS9_PS4_,comdat
.Lfunc_end165:
	.size	_ZN9rocsparseL33bsr2csr_block_per_row_8_32_kernelILj1024ELj32E21rocsparse_complex_numIfEiiEEv20rocsparse_direction_T3_S4_21rocsparse_index_base_PKT1_PKT2_PKS4_S4_S5_PS6_PS9_PS4_, .Lfunc_end165-_ZN9rocsparseL33bsr2csr_block_per_row_8_32_kernelILj1024ELj32E21rocsparse_complex_numIfEiiEEv20rocsparse_direction_T3_S4_21rocsparse_index_base_PKT1_PKT2_PKS4_S4_S5_PS6_PS9_PS4_
                                        ; -- End function
	.set _ZN9rocsparseL33bsr2csr_block_per_row_8_32_kernelILj1024ELj32E21rocsparse_complex_numIfEiiEEv20rocsparse_direction_T3_S4_21rocsparse_index_base_PKT1_PKT2_PKS4_S4_S5_PS6_PS9_PS4_.num_vgpr, 6
	.set _ZN9rocsparseL33bsr2csr_block_per_row_8_32_kernelILj1024ELj32E21rocsparse_complex_numIfEiiEEv20rocsparse_direction_T3_S4_21rocsparse_index_base_PKT1_PKT2_PKS4_S4_S5_PS6_PS9_PS4_.num_agpr, 0
	.set _ZN9rocsparseL33bsr2csr_block_per_row_8_32_kernelILj1024ELj32E21rocsparse_complex_numIfEiiEEv20rocsparse_direction_T3_S4_21rocsparse_index_base_PKT1_PKT2_PKS4_S4_S5_PS6_PS9_PS4_.numbered_sgpr, 18
	.set _ZN9rocsparseL33bsr2csr_block_per_row_8_32_kernelILj1024ELj32E21rocsparse_complex_numIfEiiEEv20rocsparse_direction_T3_S4_21rocsparse_index_base_PKT1_PKT2_PKS4_S4_S5_PS6_PS9_PS4_.num_named_barrier, 0
	.set _ZN9rocsparseL33bsr2csr_block_per_row_8_32_kernelILj1024ELj32E21rocsparse_complex_numIfEiiEEv20rocsparse_direction_T3_S4_21rocsparse_index_base_PKT1_PKT2_PKS4_S4_S5_PS6_PS9_PS4_.private_seg_size, 0
	.set _ZN9rocsparseL33bsr2csr_block_per_row_8_32_kernelILj1024ELj32E21rocsparse_complex_numIfEiiEEv20rocsparse_direction_T3_S4_21rocsparse_index_base_PKT1_PKT2_PKS4_S4_S5_PS6_PS9_PS4_.uses_vcc, 1
	.set _ZN9rocsparseL33bsr2csr_block_per_row_8_32_kernelILj1024ELj32E21rocsparse_complex_numIfEiiEEv20rocsparse_direction_T3_S4_21rocsparse_index_base_PKT1_PKT2_PKS4_S4_S5_PS6_PS9_PS4_.uses_flat_scratch, 0
	.set _ZN9rocsparseL33bsr2csr_block_per_row_8_32_kernelILj1024ELj32E21rocsparse_complex_numIfEiiEEv20rocsparse_direction_T3_S4_21rocsparse_index_base_PKT1_PKT2_PKS4_S4_S5_PS6_PS9_PS4_.has_dyn_sized_stack, 0
	.set _ZN9rocsparseL33bsr2csr_block_per_row_8_32_kernelILj1024ELj32E21rocsparse_complex_numIfEiiEEv20rocsparse_direction_T3_S4_21rocsparse_index_base_PKT1_PKT2_PKS4_S4_S5_PS6_PS9_PS4_.has_recursion, 0
	.set _ZN9rocsparseL33bsr2csr_block_per_row_8_32_kernelILj1024ELj32E21rocsparse_complex_numIfEiiEEv20rocsparse_direction_T3_S4_21rocsparse_index_base_PKT1_PKT2_PKS4_S4_S5_PS6_PS9_PS4_.has_indirect_call, 0
	.section	.AMDGPU.csdata,"",@progbits
; Kernel info:
; codeLenInByte = 516
; TotalNumSgprs: 20
; NumVgprs: 6
; ScratchSize: 0
; MemoryBound: 0
; FloatMode: 240
; IeeeMode: 1
; LDSByteSize: 0 bytes/workgroup (compile time only)
; SGPRBlocks: 0
; VGPRBlocks: 0
; NumSGPRsForWavesPerEU: 20
; NumVGPRsForWavesPerEU: 6
; NamedBarCnt: 0
; Occupancy: 16
; WaveLimiterHint : 0
; COMPUTE_PGM_RSRC2:SCRATCH_EN: 0
; COMPUTE_PGM_RSRC2:USER_SGPR: 2
; COMPUTE_PGM_RSRC2:TRAP_HANDLER: 0
; COMPUTE_PGM_RSRC2:TGID_X_EN: 1
; COMPUTE_PGM_RSRC2:TGID_Y_EN: 0
; COMPUTE_PGM_RSRC2:TGID_Z_EN: 0
; COMPUTE_PGM_RSRC2:TIDIG_COMP_CNT: 0
	.section	.text._ZN9rocsparseL35bsr2csr_block_per_row_33_256_kernelILj1024ELj64ELj32E21rocsparse_complex_numIfEiiEEv20rocsparse_direction_T4_S4_21rocsparse_index_base_PKT2_PKT3_PKS4_S4_S5_PS6_PS9_PS4_,"axG",@progbits,_ZN9rocsparseL35bsr2csr_block_per_row_33_256_kernelILj1024ELj64ELj32E21rocsparse_complex_numIfEiiEEv20rocsparse_direction_T4_S4_21rocsparse_index_base_PKT2_PKT3_PKS4_S4_S5_PS6_PS9_PS4_,comdat
	.globl	_ZN9rocsparseL35bsr2csr_block_per_row_33_256_kernelILj1024ELj64ELj32E21rocsparse_complex_numIfEiiEEv20rocsparse_direction_T4_S4_21rocsparse_index_base_PKT2_PKT3_PKS4_S4_S5_PS6_PS9_PS4_ ; -- Begin function _ZN9rocsparseL35bsr2csr_block_per_row_33_256_kernelILj1024ELj64ELj32E21rocsparse_complex_numIfEiiEEv20rocsparse_direction_T4_S4_21rocsparse_index_base_PKT2_PKT3_PKS4_S4_S5_PS6_PS9_PS4_
	.p2align	8
	.type	_ZN9rocsparseL35bsr2csr_block_per_row_33_256_kernelILj1024ELj64ELj32E21rocsparse_complex_numIfEiiEEv20rocsparse_direction_T4_S4_21rocsparse_index_base_PKT2_PKT3_PKS4_S4_S5_PS6_PS9_PS4_,@function
_ZN9rocsparseL35bsr2csr_block_per_row_33_256_kernelILj1024ELj64ELj32E21rocsparse_complex_numIfEiiEEv20rocsparse_direction_T4_S4_21rocsparse_index_base_PKT2_PKT3_PKS4_S4_S5_PS6_PS9_PS4_: ; @_ZN9rocsparseL35bsr2csr_block_per_row_33_256_kernelILj1024ELj64ELj32E21rocsparse_complex_numIfEiiEEv20rocsparse_direction_T4_S4_21rocsparse_index_base_PKT2_PKT3_PKS4_S4_S5_PS6_PS9_PS4_
; %bb.0:
	s_load_b64 s[2:3], s[0:1], 0x18
	s_bfe_u32 s4, ttmp6, 0x4000c
	s_and_b32 s5, ttmp6, 15
	s_add_co_i32 s4, s4, 1
	s_getreg_b32 s6, hwreg(HW_REG_IB_STS2, 6, 4)
	s_mul_i32 s4, ttmp9, s4
	s_delay_alu instid0(SALU_CYCLE_1)
	s_add_co_i32 s5, s5, s4
	s_cmp_eq_u32 s6, 0
	s_cselect_b32 s10, ttmp9, s5
	s_clause 0x1
	s_load_b64 s[4:5], s[0:1], 0x28
	s_load_b64 s[8:9], s[0:1], 0x38
	s_ashr_i32 s11, s10, 31
	v_or_b32_e32 v1, s10, v0
	s_lshl_b64 s[6:7], s[10:11], 2
	s_wait_kmcnt 0x0
	s_add_nc_u64 s[2:3], s[2:3], s[6:7]
	s_load_b64 s[14:15], s[2:3], 0x0
	s_wait_xcnt 0x0
	s_mov_b32 s2, exec_lo
	v_cmpx_eq_u32_e32 0, v1
	s_cbranch_execz .LBB166_2
; %bb.1:
	v_dual_mov_b32 v1, 0 :: v_dual_mov_b32 v2, s5
	global_store_b32 v1, v2, s[8:9]
.LBB166_2:
	s_wait_xcnt 0x0
	s_or_b32 exec_lo, exec_lo, s2
	s_load_b32 s16, s[0:1], 0xc
	v_lshrrev_b32_e32 v2, 5, v0
	s_mul_i32 s10, s4, s10
	s_delay_alu instid0(VALU_DEP_1)
	v_cmp_gt_i32_e64 s2, s4, v2
	s_wait_kmcnt 0x0
	s_sub_co_i32 s6, s14, s16
	s_sub_co_i32 s17, s15, s16
	s_mul_i32 s7, s4, s6
	s_sub_co_i32 s12, s17, s6
	s_mul_i32 s3, s7, s4
	s_mul_i32 s13, s12, s4
	s_add_co_i32 s18, s3, s5
	s_delay_alu instid0(SALU_CYCLE_1)
	s_add_co_i32 s18, s18, s13
	s_and_saveexec_b32 s3, s2
	s_cbranch_execz .LBB166_4
; %bb.3:
	v_mad_u32 v1, v2, s13, s18
	v_add_nc_u32_e32 v3, s10, v2
	global_store_b32 v3, v1, s[8:9] offset:4 scale_offset
.LBB166_4:
	s_wait_xcnt 0x0
	s_or_b32 exec_lo, exec_lo, s3
	v_or_b32_e32 v1, 32, v2
	s_delay_alu instid0(VALU_DEP_1)
	v_cmp_gt_i32_e64 s3, s4, v1
	s_and_saveexec_b32 s19, s3
	s_cbranch_execz .LBB166_6
; %bb.5:
	v_mov_b32_e32 v3, 0
	s_ashr_i32 s11, s10, 31
	v_mad_u32 v1, v1, s13, s18
	s_delay_alu instid0(VALU_DEP_2) | instskip(NEXT) | instid1(VALU_DEP_1)
	v_add_nc_u64_e32 v[4:5], s[10:11], v[2:3]
	v_lshl_add_u64 v[4:5], v[4:5], 2, s[8:9]
	global_store_b32 v[4:5], v1, off offset:132
.LBB166_6:
	s_wait_xcnt 0x0
	s_or_b32 exec_lo, exec_lo, s19
	s_cmp_lt_i32 s14, s15
	s_cbranch_scc0 .LBB166_17
; %bb.7:
	s_clause 0x1
	s_load_b64 s[20:21], s[0:1], 0x20
	s_load_b32 s18, s[0:1], 0x0
	v_mad_u32 v8, v2, s12, s7
	v_dual_add_nc_u32 v3, s7, v2 :: v_dual_bitop2_b32 v0, 31, v0 bitop3:0x40
	s_clause 0x2
	s_load_b64 s[8:9], s[0:1], 0x10
	s_load_b64 s[10:11], s[0:1], 0x30
	;; [unrolled: 1-line block ×3, first 2 shown]
	v_dual_add_nc_u32 v5, s7, v0 :: v_dual_bitop2_b32 v1, 32, v0 bitop3:0x54
	v_add_nc_u32_e32 v4, 32, v3
	v_mul_lo_u32 v3, s4, v3
	s_wait_xcnt 0x0
	v_cmp_gt_i32_e64 s0, s4, v0
	v_lshl_add_u32 v6, s15, 5, v8
	v_add_nc_u32_e32 v7, 32, v5
	v_mul_lo_u32 v4, s4, v4
	v_mul_lo_u32 v5, s4, v5
	v_mul_lo_u32 v8, s4, v8
	s_wait_kmcnt 0x0
	s_cmp_eq_u32 s18, 0
	s_cselect_b32 vcc_lo, -1, 0
	s_lshl_b32 s1, s14, 5
	s_ashr_i32 s7, s6, 31
	v_subrev_nc_u32_e32 v9, s1, v6
	v_mul_lo_u32 v6, s4, v7
	v_cmp_gt_i32_e64 s1, s4, v1
	s_lshl_b64 s[22:23], s[6:7], 2
	s_mul_i32 s14, s4, s4
	v_mul_lo_u32 v7, s4, v9
	s_and_b32 s15, s2, s0
	s_and_b32 s2, s2, s1
	;; [unrolled: 1-line block ×4, first 2 shown]
	s_add_nc_u64 s[0:1], s[20:21], s[22:23]
	s_branch .LBB166_9
.LBB166_8:                              ;   in Loop: Header=BB166_9 Depth=1
	s_wait_xcnt 0x0
	s_or_b32 exec_lo, exec_lo, s7
	v_dual_add_nc_u32 v4, s14, v4 :: v_dual_add_nc_u32 v3, s14, v3
	v_dual_add_nc_u32 v2, s14, v2 :: v_dual_add_nc_u32 v7, s4, v7
	v_add_nc_u32_e32 v8, s4, v8
	s_add_co_i32 s6, s6, 1
	s_add_nc_u64 s[0:1], s[0:1], 4
	s_cmp_ge_i32 s6, s17
	s_cbranch_scc1 .LBB166_17
.LBB166_9:                              ; =>This Inner Loop Header: Depth=1
	s_load_b32 s7, s[0:1], 0x0
	s_wait_kmcnt 0x0
	s_sub_co_i32 s7, s7, s16
	s_delay_alu instid0(SALU_CYCLE_1) | instskip(NEXT) | instid1(SALU_CYCLE_1)
	s_mul_i32 s7, s7, s4
	s_add_co_i32 s7, s7, s5
	s_delay_alu instid0(SALU_CYCLE_1)
	v_add_nc_u32_e32 v9, s7, v0
	s_and_saveexec_b32 s19, s15
	s_cbranch_execz .LBB166_11
; %bb.10:                               ;   in Loop: Header=BB166_9 Depth=1
	v_dual_add_nc_u32 v10, v0, v3 :: v_dual_add_nc_u32 v11, v5, v2
	s_delay_alu instid0(VALU_DEP_1)
	v_dual_add_nc_u32 v12, v0, v8 :: v_dual_cndmask_b32 v10, v11, v10, vcc_lo
	global_load_b64 v[10:11], v10, s[8:9] scale_offset
	global_store_b32 v12, v9, s[12:13] scale_offset
	s_wait_loadcnt 0x0
	global_store_b64 v12, v[10:11], s[10:11] scale_offset
.LBB166_11:                             ;   in Loop: Header=BB166_9 Depth=1
	s_wait_xcnt 0x0
	s_or_b32 exec_lo, exec_lo, s19
	v_dual_add_nc_u32 v10, s7, v1 :: v_dual_add_nc_u32 v11, v6, v2
	s_and_saveexec_b32 s7, s2
	s_cbranch_execnz .LBB166_14
; %bb.12:                               ;   in Loop: Header=BB166_9 Depth=1
	s_or_b32 exec_lo, exec_lo, s7
	v_add_nc_u32_e32 v12, v0, v4
	s_and_saveexec_b32 s7, s18
	s_cbranch_execnz .LBB166_15
.LBB166_13:                             ;   in Loop: Header=BB166_9 Depth=1
	s_or_b32 exec_lo, exec_lo, s7
	s_and_saveexec_b32 s7, s3
	s_cbranch_execz .LBB166_8
	s_branch .LBB166_16
.LBB166_14:                             ;   in Loop: Header=BB166_9 Depth=1
	v_add3_u32 v12, v0, v3, 32
	v_add3_u32 v14, v0, v8, 32
	s_delay_alu instid0(VALU_DEP_2)
	v_cndmask_b32_e32 v12, v11, v12, vcc_lo
	global_load_b64 v[12:13], v12, s[8:9] scale_offset
	global_store_b32 v14, v10, s[12:13] scale_offset
	s_wait_loadcnt 0x0
	global_store_b64 v14, v[12:13], s[10:11] scale_offset
	s_wait_xcnt 0x0
	s_or_b32 exec_lo, exec_lo, s7
	v_add_nc_u32_e32 v12, v0, v4
	s_and_saveexec_b32 s7, s18
	s_cbranch_execz .LBB166_13
.LBB166_15:                             ;   in Loop: Header=BB166_9 Depth=1
	v_add3_u32 v13, v5, v2, 32
	s_delay_alu instid0(VALU_DEP_1)
	v_cndmask_b32_e32 v13, v13, v12, vcc_lo
	global_load_b64 v[14:15], v13, s[8:9] scale_offset
	s_wait_xcnt 0x0
	v_add_nc_u32_e32 v13, v0, v7
	global_store_b32 v13, v9, s[12:13] scale_offset
	s_wait_loadcnt 0x0
	global_store_b64 v13, v[14:15], s[10:11] scale_offset
	s_wait_xcnt 0x0
	s_or_b32 exec_lo, exec_lo, s7
	s_and_saveexec_b32 s7, s3
	s_cbranch_execz .LBB166_8
.LBB166_16:                             ;   in Loop: Header=BB166_9 Depth=1
	v_cndmask_b32_e32 v9, v11, v12, vcc_lo
	s_delay_alu instid0(VALU_DEP_1)
	v_add_nc_u32_e32 v9, 32, v9
	global_load_b64 v[12:13], v9, s[8:9] scale_offset
	s_wait_xcnt 0x0
	v_add3_u32 v9, v0, v7, 32
	global_store_b32 v9, v10, s[12:13] scale_offset
	s_wait_loadcnt 0x0
	global_store_b64 v9, v[12:13], s[10:11] scale_offset
	s_branch .LBB166_8
.LBB166_17:
	s_endpgm
	.section	.rodata,"a",@progbits
	.p2align	6, 0x0
	.amdhsa_kernel _ZN9rocsparseL35bsr2csr_block_per_row_33_256_kernelILj1024ELj64ELj32E21rocsparse_complex_numIfEiiEEv20rocsparse_direction_T4_S4_21rocsparse_index_base_PKT2_PKT3_PKS4_S4_S5_PS6_PS9_PS4_
		.amdhsa_group_segment_fixed_size 0
		.amdhsa_private_segment_fixed_size 0
		.amdhsa_kernarg_size 72
		.amdhsa_user_sgpr_count 2
		.amdhsa_user_sgpr_dispatch_ptr 0
		.amdhsa_user_sgpr_queue_ptr 0
		.amdhsa_user_sgpr_kernarg_segment_ptr 1
		.amdhsa_user_sgpr_dispatch_id 0
		.amdhsa_user_sgpr_kernarg_preload_length 0
		.amdhsa_user_sgpr_kernarg_preload_offset 0
		.amdhsa_user_sgpr_private_segment_size 0
		.amdhsa_wavefront_size32 1
		.amdhsa_uses_dynamic_stack 0
		.amdhsa_enable_private_segment 0
		.amdhsa_system_sgpr_workgroup_id_x 1
		.amdhsa_system_sgpr_workgroup_id_y 0
		.amdhsa_system_sgpr_workgroup_id_z 0
		.amdhsa_system_sgpr_workgroup_info 0
		.amdhsa_system_vgpr_workitem_id 0
		.amdhsa_next_free_vgpr 16
		.amdhsa_next_free_sgpr 24
		.amdhsa_named_barrier_count 0
		.amdhsa_reserve_vcc 1
		.amdhsa_float_round_mode_32 0
		.amdhsa_float_round_mode_16_64 0
		.amdhsa_float_denorm_mode_32 3
		.amdhsa_float_denorm_mode_16_64 3
		.amdhsa_fp16_overflow 0
		.amdhsa_memory_ordered 1
		.amdhsa_forward_progress 1
		.amdhsa_inst_pref_size 8
		.amdhsa_round_robin_scheduling 0
		.amdhsa_exception_fp_ieee_invalid_op 0
		.amdhsa_exception_fp_denorm_src 0
		.amdhsa_exception_fp_ieee_div_zero 0
		.amdhsa_exception_fp_ieee_overflow 0
		.amdhsa_exception_fp_ieee_underflow 0
		.amdhsa_exception_fp_ieee_inexact 0
		.amdhsa_exception_int_div_zero 0
	.end_amdhsa_kernel
	.section	.text._ZN9rocsparseL35bsr2csr_block_per_row_33_256_kernelILj1024ELj64ELj32E21rocsparse_complex_numIfEiiEEv20rocsparse_direction_T4_S4_21rocsparse_index_base_PKT2_PKT3_PKS4_S4_S5_PS6_PS9_PS4_,"axG",@progbits,_ZN9rocsparseL35bsr2csr_block_per_row_33_256_kernelILj1024ELj64ELj32E21rocsparse_complex_numIfEiiEEv20rocsparse_direction_T4_S4_21rocsparse_index_base_PKT2_PKT3_PKS4_S4_S5_PS6_PS9_PS4_,comdat
.Lfunc_end166:
	.size	_ZN9rocsparseL35bsr2csr_block_per_row_33_256_kernelILj1024ELj64ELj32E21rocsparse_complex_numIfEiiEEv20rocsparse_direction_T4_S4_21rocsparse_index_base_PKT2_PKT3_PKS4_S4_S5_PS6_PS9_PS4_, .Lfunc_end166-_ZN9rocsparseL35bsr2csr_block_per_row_33_256_kernelILj1024ELj64ELj32E21rocsparse_complex_numIfEiiEEv20rocsparse_direction_T4_S4_21rocsparse_index_base_PKT2_PKT3_PKS4_S4_S5_PS6_PS9_PS4_
                                        ; -- End function
	.set _ZN9rocsparseL35bsr2csr_block_per_row_33_256_kernelILj1024ELj64ELj32E21rocsparse_complex_numIfEiiEEv20rocsparse_direction_T4_S4_21rocsparse_index_base_PKT2_PKT3_PKS4_S4_S5_PS6_PS9_PS4_.num_vgpr, 16
	.set _ZN9rocsparseL35bsr2csr_block_per_row_33_256_kernelILj1024ELj64ELj32E21rocsparse_complex_numIfEiiEEv20rocsparse_direction_T4_S4_21rocsparse_index_base_PKT2_PKT3_PKS4_S4_S5_PS6_PS9_PS4_.num_agpr, 0
	.set _ZN9rocsparseL35bsr2csr_block_per_row_33_256_kernelILj1024ELj64ELj32E21rocsparse_complex_numIfEiiEEv20rocsparse_direction_T4_S4_21rocsparse_index_base_PKT2_PKT3_PKS4_S4_S5_PS6_PS9_PS4_.numbered_sgpr, 24
	.set _ZN9rocsparseL35bsr2csr_block_per_row_33_256_kernelILj1024ELj64ELj32E21rocsparse_complex_numIfEiiEEv20rocsparse_direction_T4_S4_21rocsparse_index_base_PKT2_PKT3_PKS4_S4_S5_PS6_PS9_PS4_.num_named_barrier, 0
	.set _ZN9rocsparseL35bsr2csr_block_per_row_33_256_kernelILj1024ELj64ELj32E21rocsparse_complex_numIfEiiEEv20rocsparse_direction_T4_S4_21rocsparse_index_base_PKT2_PKT3_PKS4_S4_S5_PS6_PS9_PS4_.private_seg_size, 0
	.set _ZN9rocsparseL35bsr2csr_block_per_row_33_256_kernelILj1024ELj64ELj32E21rocsparse_complex_numIfEiiEEv20rocsparse_direction_T4_S4_21rocsparse_index_base_PKT2_PKT3_PKS4_S4_S5_PS6_PS9_PS4_.uses_vcc, 1
	.set _ZN9rocsparseL35bsr2csr_block_per_row_33_256_kernelILj1024ELj64ELj32E21rocsparse_complex_numIfEiiEEv20rocsparse_direction_T4_S4_21rocsparse_index_base_PKT2_PKT3_PKS4_S4_S5_PS6_PS9_PS4_.uses_flat_scratch, 0
	.set _ZN9rocsparseL35bsr2csr_block_per_row_33_256_kernelILj1024ELj64ELj32E21rocsparse_complex_numIfEiiEEv20rocsparse_direction_T4_S4_21rocsparse_index_base_PKT2_PKT3_PKS4_S4_S5_PS6_PS9_PS4_.has_dyn_sized_stack, 0
	.set _ZN9rocsparseL35bsr2csr_block_per_row_33_256_kernelILj1024ELj64ELj32E21rocsparse_complex_numIfEiiEEv20rocsparse_direction_T4_S4_21rocsparse_index_base_PKT2_PKT3_PKS4_S4_S5_PS6_PS9_PS4_.has_recursion, 0
	.set _ZN9rocsparseL35bsr2csr_block_per_row_33_256_kernelILj1024ELj64ELj32E21rocsparse_complex_numIfEiiEEv20rocsparse_direction_T4_S4_21rocsparse_index_base_PKT2_PKT3_PKS4_S4_S5_PS6_PS9_PS4_.has_indirect_call, 0
	.section	.AMDGPU.csdata,"",@progbits
; Kernel info:
; codeLenInByte = 1012
; TotalNumSgprs: 26
; NumVgprs: 16
; ScratchSize: 0
; MemoryBound: 0
; FloatMode: 240
; IeeeMode: 1
; LDSByteSize: 0 bytes/workgroup (compile time only)
; SGPRBlocks: 0
; VGPRBlocks: 0
; NumSGPRsForWavesPerEU: 26
; NumVGPRsForWavesPerEU: 16
; NamedBarCnt: 0
; Occupancy: 16
; WaveLimiterHint : 1
; COMPUTE_PGM_RSRC2:SCRATCH_EN: 0
; COMPUTE_PGM_RSRC2:USER_SGPR: 2
; COMPUTE_PGM_RSRC2:TRAP_HANDLER: 0
; COMPUTE_PGM_RSRC2:TGID_X_EN: 1
; COMPUTE_PGM_RSRC2:TGID_Y_EN: 0
; COMPUTE_PGM_RSRC2:TGID_Z_EN: 0
; COMPUTE_PGM_RSRC2:TIDIG_COMP_CNT: 0
	.section	.text._ZN9rocsparseL35bsr2csr_block_per_row_33_256_kernelILj1024ELj128ELj32E21rocsparse_complex_numIfEiiEEv20rocsparse_direction_T4_S4_21rocsparse_index_base_PKT2_PKT3_PKS4_S4_S5_PS6_PS9_PS4_,"axG",@progbits,_ZN9rocsparseL35bsr2csr_block_per_row_33_256_kernelILj1024ELj128ELj32E21rocsparse_complex_numIfEiiEEv20rocsparse_direction_T4_S4_21rocsparse_index_base_PKT2_PKT3_PKS4_S4_S5_PS6_PS9_PS4_,comdat
	.globl	_ZN9rocsparseL35bsr2csr_block_per_row_33_256_kernelILj1024ELj128ELj32E21rocsparse_complex_numIfEiiEEv20rocsparse_direction_T4_S4_21rocsparse_index_base_PKT2_PKT3_PKS4_S4_S5_PS6_PS9_PS4_ ; -- Begin function _ZN9rocsparseL35bsr2csr_block_per_row_33_256_kernelILj1024ELj128ELj32E21rocsparse_complex_numIfEiiEEv20rocsparse_direction_T4_S4_21rocsparse_index_base_PKT2_PKT3_PKS4_S4_S5_PS6_PS9_PS4_
	.p2align	8
	.type	_ZN9rocsparseL35bsr2csr_block_per_row_33_256_kernelILj1024ELj128ELj32E21rocsparse_complex_numIfEiiEEv20rocsparse_direction_T4_S4_21rocsparse_index_base_PKT2_PKT3_PKS4_S4_S5_PS6_PS9_PS4_,@function
_ZN9rocsparseL35bsr2csr_block_per_row_33_256_kernelILj1024ELj128ELj32E21rocsparse_complex_numIfEiiEEv20rocsparse_direction_T4_S4_21rocsparse_index_base_PKT2_PKT3_PKS4_S4_S5_PS6_PS9_PS4_: ; @_ZN9rocsparseL35bsr2csr_block_per_row_33_256_kernelILj1024ELj128ELj32E21rocsparse_complex_numIfEiiEEv20rocsparse_direction_T4_S4_21rocsparse_index_base_PKT2_PKT3_PKS4_S4_S5_PS6_PS9_PS4_
; %bb.0:
	s_load_b64 s[4:5], s[0:1], 0x18
	s_bfe_u32 s2, ttmp6, 0x4000c
	s_and_b32 s3, ttmp6, 15
	s_add_co_i32 s2, s2, 1
	s_getreg_b32 s6, hwreg(HW_REG_IB_STS2, 6, 4)
	s_mul_i32 s2, ttmp9, s2
	s_delay_alu instid0(SALU_CYCLE_1)
	s_add_co_i32 s3, s3, s2
	s_cmp_eq_u32 s6, 0
	s_clause 0x1
	s_load_b64 s[8:9], s[0:1], 0x28
	s_load_b64 s[6:7], s[0:1], 0x38
	s_cselect_b32 s2, ttmp9, s3
	s_delay_alu instid0(SALU_CYCLE_1)
	s_ashr_i32 s3, s2, 31
	v_or_b32_e32 v1, s2, v0
	s_lshl_b64 s[10:11], s[2:3], 2
	s_mov_b32 s3, exec_lo
	s_wait_kmcnt 0x0
	s_add_nc_u64 s[4:5], s[4:5], s[10:11]
	s_load_b64 s[18:19], s[4:5], 0x0
	v_cmpx_eq_u32_e32 0, v1
	s_cbranch_execz .LBB167_2
; %bb.1:
	v_dual_mov_b32 v1, 0 :: v_dual_mov_b32 v2, s9
	global_store_b32 v1, v2, s[6:7]
.LBB167_2:
	s_wait_xcnt 0x0
	s_or_b32 exec_lo, exec_lo, s3
	s_load_b32 s22, s[0:1], 0xc
	v_lshrrev_b32_e32 v2, 5, v0
	s_mul_i32 s12, s8, s2
	s_delay_alu instid0(VALU_DEP_1)
	v_cmp_gt_i32_e64 s4, s8, v2
	s_wait_kmcnt 0x0
	s_sub_co_i32 s10, s18, s22
	s_sub_co_i32 s23, s19, s22
	s_mul_i32 s11, s8, s10
	s_sub_co_i32 s34, s23, s10
	s_mul_i32 s3, s11, s8
	s_mul_i32 s14, s34, s8
	s_add_co_i32 s15, s3, s9
	s_delay_alu instid0(SALU_CYCLE_1)
	s_add_co_i32 s15, s15, s14
	s_and_saveexec_b32 s2, s4
	s_cbranch_execz .LBB167_4
; %bb.3:
	v_mad_u32 v1, v2, s14, s15
	v_add_nc_u32_e32 v3, s12, v2
	global_store_b32 v3, v1, s[6:7] offset:4 scale_offset
.LBB167_4:
	s_wait_xcnt 0x0
	s_or_b32 exec_lo, exec_lo, s2
	v_or_b32_e32 v1, 32, v2
	s_delay_alu instid0(VALU_DEP_1)
	v_cmp_gt_i32_e64 s5, s8, v1
	s_and_saveexec_b32 s2, s5
	s_cbranch_execz .LBB167_6
; %bb.5:
	v_mov_b32_e32 v3, 0
	s_ashr_i32 s13, s12, 31
	v_mad_u32 v1, v1, s14, s15
	s_delay_alu instid0(VALU_DEP_2) | instskip(NEXT) | instid1(VALU_DEP_1)
	v_add_nc_u64_e32 v[4:5], s[12:13], v[2:3]
	v_lshl_add_u64 v[4:5], v[4:5], 2, s[6:7]
	global_store_b32 v[4:5], v1, off offset:132
.LBB167_6:
	s_wait_xcnt 0x0
	s_or_b32 exec_lo, exec_lo, s2
	v_or_b32_e32 v1, 64, v2
	s_delay_alu instid0(VALU_DEP_1)
	v_cmp_gt_i32_e64 s2, s8, v1
	s_and_saveexec_b32 s3, s2
	s_cbranch_execz .LBB167_8
; %bb.7:
	v_mov_b32_e32 v3, 0
	s_ashr_i32 s13, s12, 31
	v_mad_u32 v1, v1, s14, s15
	s_delay_alu instid0(VALU_DEP_2) | instskip(NEXT) | instid1(VALU_DEP_1)
	v_add_nc_u64_e32 v[4:5], s[12:13], v[2:3]
	v_lshl_add_u64 v[4:5], v[4:5], 2, s[6:7]
	global_store_b32 v[4:5], v1, off offset:260
.LBB167_8:
	;; [unrolled: 16-line block ×3, first 2 shown]
	s_wait_xcnt 0x0
	s_or_b32 exec_lo, exec_lo, s16
	s_cmp_lt_i32 s18, s19
	s_cbranch_scc0 .LBB167_45
; %bb.11:
	s_clause 0x1
	s_load_b64 s[20:21], s[0:1], 0x20
	s_load_b32 s7, s[0:1], 0x0
	v_mad_u32 v15, v2, s34, s11
	v_dual_add_nc_u32 v8, s11, v2 :: v_dual_bitop2_b32 v0, 31, v0 bitop3:0x40
	s_clause 0x2
	s_load_b64 s[12:13], s[0:1], 0x10
	s_load_b64 s[14:15], s[0:1], 0x30
	;; [unrolled: 1-line block ×3, first 2 shown]
	s_mul_i32 s24, s8, s8
	s_mov_b32 s25, 0
	v_dual_add_nc_u32 v12, s11, v0 :: v_dual_bitop2_b32 v1, 32, v0 bitop3:0x54
	v_dual_add_nc_u32 v5, 32, v8 :: v_dual_add_nc_u32 v6, 64, v8
	v_add_nc_u32_e32 v7, 0x60, v8
	v_mad_u32 v11, 0x60, s19, v15
	v_lshl_add_u32 v13, s19, 5, v15
	v_lshl_add_u32 v14, s19, 6, v15
	v_add_nc_u32_e32 v9, 0x60, v12
	v_dual_add_nc_u32 v10, 64, v12 :: v_dual_add_nc_u32 v16, 32, v12
	v_or_b32_e32 v3, 64, v0
	v_or_b32_e32 v4, 0x60, v0
	s_wait_kmcnt 0x0
	s_cmp_eq_u32 s7, 0
	v_mul_lo_u32 v5, s8, v5
	s_cselect_b32 vcc_lo, -1, 0
	s_lshl_b32 s11, s18, 5
	v_mul_lo_u32 v6, s8, v6
	v_subrev_nc_u32_e32 v13, s11, v13
	s_lshl_b32 s11, s18, 6
	s_mulk_i32 s18, 0x60
	v_subrev_nc_u32_e32 v14, s11, v14
	v_subrev_nc_u32_e32 v17, s18, v11
	v_mul_lo_u32 v7, s8, v7
	v_mul_lo_u32 v8, s8, v8
	v_mad_u32 v9, s8, v9, v2
	v_mad_u32 v10, s8, v10, v2
	;; [unrolled: 1-line block ×4, first 2 shown]
	v_mul_lo_u32 v12, s8, v13
	v_mul_lo_u32 v13, s8, v14
	;; [unrolled: 1-line block ×4, first 2 shown]
	v_cmp_gt_i32_e64 s0, s8, v0
	v_cmp_gt_i32_e64 s1, s8, v1
	;; [unrolled: 1-line block ×4, first 2 shown]
	s_ashr_i32 s11, s10, 31
	s_and_b32 s26, s4, s0
	s_and_b32 s27, s4, s1
	;; [unrolled: 1-line block ×8, first 2 shown]
	s_lshl_b64 s[0:1], s[10:11], 2
	s_and_b32 s28, s4, s6
	s_and_b32 s4, s4, s7
	;; [unrolled: 1-line block ×8, first 2 shown]
	s_add_nc_u64 s[0:1], s[20:21], s[0:1]
	s_branch .LBB167_13
.LBB167_12:                             ;   in Loop: Header=BB167_13 Depth=1
	s_wait_xcnt 0x0
	s_or_b32 exec_lo, exec_lo, s7
	v_dual_add_nc_u32 v5, s24, v5 :: v_dual_add_nc_u32 v6, s24, v6
	v_dual_add_nc_u32 v7, s24, v7 :: v_dual_add_nc_u32 v8, s24, v8
	;; [unrolled: 1-line block ×4, first 2 shown]
	s_add_co_i32 s10, s10, 1
	s_add_co_i32 s25, s25, s24
	s_cmp_ge_i32 s10, s23
	s_add_nc_u64 s[0:1], s[0:1], 4
	s_cbranch_scc1 .LBB167_45
.LBB167_13:                             ; =>This Inner Loop Header: Depth=1
	s_load_b32 s7, s[0:1], 0x0
	s_wait_kmcnt 0x0
	s_sub_co_i32 s7, s7, s22
	s_delay_alu instid0(SALU_CYCLE_1) | instskip(NEXT) | instid1(SALU_CYCLE_1)
	s_mul_i32 s7, s7, s8
	s_add_co_i32 s7, s7, s9
	s_delay_alu instid0(SALU_CYCLE_1)
	v_add_nc_u32_e32 v16, s7, v0
	s_and_saveexec_b32 s11, s26
	s_cbranch_execz .LBB167_15
; %bb.14:                               ;   in Loop: Header=BB167_13 Depth=1
	v_dual_add_nc_u32 v17, v0, v8 :: v_dual_add_nc_u32 v18, s25, v2
	s_delay_alu instid0(VALU_DEP_1)
	v_cndmask_b32_e32 v17, v18, v17, vcc_lo
	global_load_b64 v[18:19], v17, s[12:13] scale_offset
	s_wait_xcnt 0x0
	v_add_nc_u32_e32 v17, v0, v15
	global_store_b32 v17, v16, s[16:17] scale_offset
	s_wait_loadcnt 0x0
	global_store_b64 v17, v[18:19], s[14:15] scale_offset
.LBB167_15:                             ;   in Loop: Header=BB167_13 Depth=1
	s_wait_xcnt 0x0
	s_or_b32 exec_lo, exec_lo, s11
	v_dual_add_nc_u32 v17, s7, v1 :: v_dual_add_nc_u32 v22, s25, v11
	s_and_saveexec_b32 s11, s27
	s_cbranch_execz .LBB167_17
; %bb.16:                               ;   in Loop: Header=BB167_13 Depth=1
	v_add3_u32 v18, v0, v8, 32
	v_add3_u32 v20, v0, v15, 32
	s_delay_alu instid0(VALU_DEP_2)
	v_cndmask_b32_e32 v18, v22, v18, vcc_lo
	global_load_b64 v[18:19], v18, s[12:13] scale_offset
	global_store_b32 v20, v17, s[16:17] scale_offset
	s_wait_loadcnt 0x0
	global_store_b64 v20, v[18:19], s[14:15] scale_offset
.LBB167_17:                             ;   in Loop: Header=BB167_13 Depth=1
	s_wait_xcnt 0x0
	s_or_b32 exec_lo, exec_lo, s11
	v_dual_add_nc_u32 v18, s7, v3 :: v_dual_add_nc_u32 v21, s25, v10
	s_and_saveexec_b32 s11, s28
	s_cbranch_execz .LBB167_19
; %bb.18:                               ;   in Loop: Header=BB167_13 Depth=1
	v_add3_u32 v19, v0, v8, 64
	s_delay_alu instid0(VALU_DEP_1)
	v_cndmask_b32_e32 v19, v21, v19, vcc_lo
	global_load_b64 v[24:25], v19, s[12:13] scale_offset
	s_wait_xcnt 0x0
	v_add3_u32 v19, v0, v15, 64
	global_store_b32 v19, v18, s[16:17] scale_offset
	s_wait_loadcnt 0x0
	global_store_b64 v19, v[24:25], s[14:15] scale_offset
.LBB167_19:                             ;   in Loop: Header=BB167_13 Depth=1
	s_wait_xcnt 0x0
	s_or_b32 exec_lo, exec_lo, s11
	v_dual_add_nc_u32 v19, s7, v4 :: v_dual_add_nc_u32 v20, s25, v9
	s_and_saveexec_b32 s7, s4
	s_cbranch_execnz .LBB167_32
; %bb.20:                               ;   in Loop: Header=BB167_13 Depth=1
	s_or_b32 exec_lo, exec_lo, s7
	v_add_nc_u32_e32 v23, v0, v5
	s_and_saveexec_b32 s7, s29
	s_cbranch_execnz .LBB167_33
.LBB167_21:                             ;   in Loop: Header=BB167_13 Depth=1
	s_or_b32 exec_lo, exec_lo, s7
	s_and_saveexec_b32 s7, s30
	s_cbranch_execnz .LBB167_34
.LBB167_22:                             ;   in Loop: Header=BB167_13 Depth=1
	s_or_b32 exec_lo, exec_lo, s7
	s_and_saveexec_b32 s7, s31
	s_cbranch_execnz .LBB167_35
.LBB167_23:                             ;   in Loop: Header=BB167_13 Depth=1
	s_or_b32 exec_lo, exec_lo, s7
	s_and_saveexec_b32 s7, s5
	s_cbranch_execnz .LBB167_36
.LBB167_24:                             ;   in Loop: Header=BB167_13 Depth=1
	s_or_b32 exec_lo, exec_lo, s7
	v_add_nc_u32_e32 v22, v0, v6
	s_and_saveexec_b32 s7, s33
	s_cbranch_execnz .LBB167_37
.LBB167_25:                             ;   in Loop: Header=BB167_13 Depth=1
	s_or_b32 exec_lo, exec_lo, s7
	s_and_saveexec_b32 s7, s34
	s_cbranch_execnz .LBB167_38
.LBB167_26:                             ;   in Loop: Header=BB167_13 Depth=1
	s_or_b32 exec_lo, exec_lo, s7
	s_and_saveexec_b32 s7, s18
	s_cbranch_execnz .LBB167_39
.LBB167_27:                             ;   in Loop: Header=BB167_13 Depth=1
	s_or_b32 exec_lo, exec_lo, s7
	s_and_saveexec_b32 s7, s2
	s_cbranch_execnz .LBB167_40
.LBB167_28:                             ;   in Loop: Header=BB167_13 Depth=1
	s_or_b32 exec_lo, exec_lo, s7
	v_add_nc_u32_e32 v21, v0, v7
	s_and_saveexec_b32 s7, s19
	s_cbranch_execnz .LBB167_41
.LBB167_29:                             ;   in Loop: Header=BB167_13 Depth=1
	s_or_b32 exec_lo, exec_lo, s7
	s_and_saveexec_b32 s7, s35
	s_cbranch_execnz .LBB167_42
.LBB167_30:                             ;   in Loop: Header=BB167_13 Depth=1
	s_or_b32 exec_lo, exec_lo, s7
	s_and_saveexec_b32 s7, s6
	s_cbranch_execnz .LBB167_43
.LBB167_31:                             ;   in Loop: Header=BB167_13 Depth=1
	s_or_b32 exec_lo, exec_lo, s7
	s_and_saveexec_b32 s7, s3
	s_cbranch_execz .LBB167_12
	s_branch .LBB167_44
.LBB167_32:                             ;   in Loop: Header=BB167_13 Depth=1
	v_add3_u32 v23, v0, v8, 0x60
	s_delay_alu instid0(VALU_DEP_1)
	v_cndmask_b32_e32 v23, v20, v23, vcc_lo
	global_load_b64 v[24:25], v23, s[12:13] scale_offset
	s_wait_xcnt 0x0
	v_add3_u32 v23, v0, v15, 0x60
	global_store_b32 v23, v19, s[16:17] scale_offset
	s_wait_loadcnt 0x0
	global_store_b64 v23, v[24:25], s[14:15] scale_offset
	s_wait_xcnt 0x0
	s_or_b32 exec_lo, exec_lo, s7
	v_add_nc_u32_e32 v23, v0, v5
	s_and_saveexec_b32 s7, s29
	s_cbranch_execz .LBB167_21
.LBB167_33:                             ;   in Loop: Header=BB167_13 Depth=1
	v_add3_u32 v24, v2, s25, 32
	v_add_nc_u32_e32 v26, v0, v12
	s_delay_alu instid0(VALU_DEP_2)
	v_cndmask_b32_e32 v24, v24, v23, vcc_lo
	global_load_b64 v[24:25], v24, s[12:13] scale_offset
	global_store_b32 v26, v16, s[16:17] scale_offset
	s_wait_loadcnt 0x0
	global_store_b64 v26, v[24:25], s[14:15] scale_offset
	s_wait_xcnt 0x0
	s_or_b32 exec_lo, exec_lo, s7
	s_and_saveexec_b32 s7, s30
	s_cbranch_execz .LBB167_22
.LBB167_34:                             ;   in Loop: Header=BB167_13 Depth=1
	v_cndmask_b32_e32 v22, v22, v23, vcc_lo
	v_add3_u32 v24, v0, v12, 32
	s_delay_alu instid0(VALU_DEP_2)
	v_add_nc_u32_e32 v22, 32, v22
	global_load_b64 v[22:23], v22, s[12:13] scale_offset
	global_store_b32 v24, v17, s[16:17] scale_offset
	s_wait_loadcnt 0x0
	global_store_b64 v24, v[22:23], s[14:15] scale_offset
	s_wait_xcnt 0x0
	s_or_b32 exec_lo, exec_lo, s7
	s_and_saveexec_b32 s7, s31
	s_cbranch_execz .LBB167_23
.LBB167_35:                             ;   in Loop: Header=BB167_13 Depth=1
	v_add3_u32 v22, v0, v5, 64
	v_add3_u32 v23, v10, s25, 32
	;; [unrolled: 1-line block ×3, first 2 shown]
	s_delay_alu instid0(VALU_DEP_2)
	v_cndmask_b32_e32 v22, v23, v22, vcc_lo
	global_load_b64 v[22:23], v22, s[12:13] scale_offset
	global_store_b32 v24, v18, s[16:17] scale_offset
	s_wait_loadcnt 0x0
	global_store_b64 v24, v[22:23], s[14:15] scale_offset
	s_wait_xcnt 0x0
	s_or_b32 exec_lo, exec_lo, s7
	s_and_saveexec_b32 s7, s5
	s_cbranch_execz .LBB167_24
.LBB167_36:                             ;   in Loop: Header=BB167_13 Depth=1
	v_add3_u32 v22, v0, v5, 0x60
	v_add3_u32 v23, v9, s25, 32
	v_add3_u32 v24, v0, v12, 0x60
	s_delay_alu instid0(VALU_DEP_2)
	v_cndmask_b32_e32 v22, v23, v22, vcc_lo
	global_load_b64 v[22:23], v22, s[12:13] scale_offset
	global_store_b32 v24, v19, s[16:17] scale_offset
	s_wait_loadcnt 0x0
	global_store_b64 v24, v[22:23], s[14:15] scale_offset
	s_wait_xcnt 0x0
	s_or_b32 exec_lo, exec_lo, s7
	v_add_nc_u32_e32 v22, v0, v6
	s_and_saveexec_b32 s7, s33
	s_cbranch_execz .LBB167_25
.LBB167_37:                             ;   in Loop: Header=BB167_13 Depth=1
	v_add3_u32 v23, v2, s25, 64
	s_delay_alu instid0(VALU_DEP_1)
	v_cndmask_b32_e32 v23, v23, v22, vcc_lo
	global_load_b64 v[24:25], v23, s[12:13] scale_offset
	s_wait_xcnt 0x0
	v_add_nc_u32_e32 v23, v0, v13
	global_store_b32 v23, v16, s[16:17] scale_offset
	s_wait_loadcnt 0x0
	global_store_b64 v23, v[24:25], s[14:15] scale_offset
	s_wait_xcnt 0x0
	s_or_b32 exec_lo, exec_lo, s7
	s_and_saveexec_b32 s7, s34
	s_cbranch_execz .LBB167_26
.LBB167_38:                             ;   in Loop: Header=BB167_13 Depth=1
	v_add3_u32 v23, v0, v6, 32
	v_add3_u32 v24, v11, s25, 64
	s_delay_alu instid0(VALU_DEP_1)
	v_cndmask_b32_e32 v23, v24, v23, vcc_lo
	global_load_b64 v[24:25], v23, s[12:13] scale_offset
	s_wait_xcnt 0x0
	v_add3_u32 v23, v0, v13, 32
	global_store_b32 v23, v17, s[16:17] scale_offset
	s_wait_loadcnt 0x0
	global_store_b64 v23, v[24:25], s[14:15] scale_offset
	s_wait_xcnt 0x0
	s_or_b32 exec_lo, exec_lo, s7
	s_and_saveexec_b32 s7, s18
	s_cbranch_execz .LBB167_27
.LBB167_39:                             ;   in Loop: Header=BB167_13 Depth=1
	v_cndmask_b32_e32 v21, v21, v22, vcc_lo
	s_delay_alu instid0(VALU_DEP_1)
	v_add_nc_u32_e32 v21, 64, v21
	global_load_b64 v[22:23], v21, s[12:13] scale_offset
	s_wait_xcnt 0x0
	v_add3_u32 v21, v0, v13, 64
	global_store_b32 v21, v18, s[16:17] scale_offset
	s_wait_loadcnt 0x0
	global_store_b64 v21, v[22:23], s[14:15] scale_offset
	s_wait_xcnt 0x0
	s_or_b32 exec_lo, exec_lo, s7
	s_and_saveexec_b32 s7, s2
	s_cbranch_execz .LBB167_28
.LBB167_40:                             ;   in Loop: Header=BB167_13 Depth=1
	v_add3_u32 v21, v0, v6, 0x60
	v_add3_u32 v22, v9, s25, 64
	s_delay_alu instid0(VALU_DEP_1)
	v_cndmask_b32_e32 v21, v22, v21, vcc_lo
	global_load_b64 v[22:23], v21, s[12:13] scale_offset
	s_wait_xcnt 0x0
	v_add3_u32 v21, v0, v13, 0x60
	global_store_b32 v21, v19, s[16:17] scale_offset
	s_wait_loadcnt 0x0
	global_store_b64 v21, v[22:23], s[14:15] scale_offset
	s_wait_xcnt 0x0
	s_or_b32 exec_lo, exec_lo, s7
	v_add_nc_u32_e32 v21, v0, v7
	s_and_saveexec_b32 s7, s19
	s_cbranch_execz .LBB167_29
.LBB167_41:                             ;   in Loop: Header=BB167_13 Depth=1
	v_add3_u32 v22, v2, s25, 0x60
	s_delay_alu instid0(VALU_DEP_1)
	v_dual_add_nc_u32 v24, v0, v14 :: v_dual_cndmask_b32 v22, v22, v21, vcc_lo
	global_load_b64 v[22:23], v22, s[12:13] scale_offset
	global_store_b32 v24, v16, s[16:17] scale_offset
	s_wait_loadcnt 0x0
	global_store_b64 v24, v[22:23], s[14:15] scale_offset
	s_wait_xcnt 0x0
	s_or_b32 exec_lo, exec_lo, s7
	s_and_saveexec_b32 s7, s35
	s_cbranch_execz .LBB167_30
.LBB167_42:                             ;   in Loop: Header=BB167_13 Depth=1
	v_add3_u32 v16, v0, v7, 32
	v_add3_u32 v22, v11, s25, 0x60
	s_delay_alu instid0(VALU_DEP_1)
	v_cndmask_b32_e32 v16, v22, v16, vcc_lo
	global_load_b64 v[22:23], v16, s[12:13] scale_offset
	s_wait_xcnt 0x0
	v_add3_u32 v16, v0, v14, 32
	global_store_b32 v16, v17, s[16:17] scale_offset
	s_wait_loadcnt 0x0
	global_store_b64 v16, v[22:23], s[14:15] scale_offset
	s_wait_xcnt 0x0
	s_or_b32 exec_lo, exec_lo, s7
	s_and_saveexec_b32 s7, s6
	s_cbranch_execz .LBB167_31
.LBB167_43:                             ;   in Loop: Header=BB167_13 Depth=1
	v_add3_u32 v16, v0, v7, 64
	v_add3_u32 v17, v10, s25, 0x60
	;; [unrolled: 1-line block ×3, first 2 shown]
	s_delay_alu instid0(VALU_DEP_2)
	v_cndmask_b32_e32 v16, v17, v16, vcc_lo
	global_load_b64 v[16:17], v16, s[12:13] scale_offset
	global_store_b32 v22, v18, s[16:17] scale_offset
	s_wait_loadcnt 0x0
	global_store_b64 v22, v[16:17], s[14:15] scale_offset
	s_wait_xcnt 0x0
	s_or_b32 exec_lo, exec_lo, s7
	s_and_saveexec_b32 s7, s3
	s_cbranch_execz .LBB167_12
.LBB167_44:                             ;   in Loop: Header=BB167_13 Depth=1
	v_cndmask_b32_e32 v16, v20, v21, vcc_lo
	v_add3_u32 v18, v0, v14, 0x60
	s_delay_alu instid0(VALU_DEP_2)
	v_add_nc_u32_e32 v16, 0x60, v16
	global_load_b64 v[16:17], v16, s[12:13] scale_offset
	global_store_b32 v18, v19, s[16:17] scale_offset
	s_wait_loadcnt 0x0
	global_store_b64 v18, v[16:17], s[14:15] scale_offset
	s_branch .LBB167_12
.LBB167_45:
	s_endpgm
	.section	.rodata,"a",@progbits
	.p2align	6, 0x0
	.amdhsa_kernel _ZN9rocsparseL35bsr2csr_block_per_row_33_256_kernelILj1024ELj128ELj32E21rocsparse_complex_numIfEiiEEv20rocsparse_direction_T4_S4_21rocsparse_index_base_PKT2_PKT3_PKS4_S4_S5_PS6_PS9_PS4_
		.amdhsa_group_segment_fixed_size 0
		.amdhsa_private_segment_fixed_size 0
		.amdhsa_kernarg_size 72
		.amdhsa_user_sgpr_count 2
		.amdhsa_user_sgpr_dispatch_ptr 0
		.amdhsa_user_sgpr_queue_ptr 0
		.amdhsa_user_sgpr_kernarg_segment_ptr 1
		.amdhsa_user_sgpr_dispatch_id 0
		.amdhsa_user_sgpr_kernarg_preload_length 0
		.amdhsa_user_sgpr_kernarg_preload_offset 0
		.amdhsa_user_sgpr_private_segment_size 0
		.amdhsa_wavefront_size32 1
		.amdhsa_uses_dynamic_stack 0
		.amdhsa_enable_private_segment 0
		.amdhsa_system_sgpr_workgroup_id_x 1
		.amdhsa_system_sgpr_workgroup_id_y 0
		.amdhsa_system_sgpr_workgroup_id_z 0
		.amdhsa_system_sgpr_workgroup_info 0
		.amdhsa_system_vgpr_workitem_id 0
		.amdhsa_next_free_vgpr 27
		.amdhsa_next_free_sgpr 36
		.amdhsa_named_barrier_count 0
		.amdhsa_reserve_vcc 1
		.amdhsa_float_round_mode_32 0
		.amdhsa_float_round_mode_16_64 0
		.amdhsa_float_denorm_mode_32 3
		.amdhsa_float_denorm_mode_16_64 3
		.amdhsa_fp16_overflow 0
		.amdhsa_memory_ordered 1
		.amdhsa_forward_progress 1
		.amdhsa_inst_pref_size 21
		.amdhsa_round_robin_scheduling 0
		.amdhsa_exception_fp_ieee_invalid_op 0
		.amdhsa_exception_fp_denorm_src 0
		.amdhsa_exception_fp_ieee_div_zero 0
		.amdhsa_exception_fp_ieee_overflow 0
		.amdhsa_exception_fp_ieee_underflow 0
		.amdhsa_exception_fp_ieee_inexact 0
		.amdhsa_exception_int_div_zero 0
	.end_amdhsa_kernel
	.section	.text._ZN9rocsparseL35bsr2csr_block_per_row_33_256_kernelILj1024ELj128ELj32E21rocsparse_complex_numIfEiiEEv20rocsparse_direction_T4_S4_21rocsparse_index_base_PKT2_PKT3_PKS4_S4_S5_PS6_PS9_PS4_,"axG",@progbits,_ZN9rocsparseL35bsr2csr_block_per_row_33_256_kernelILj1024ELj128ELj32E21rocsparse_complex_numIfEiiEEv20rocsparse_direction_T4_S4_21rocsparse_index_base_PKT2_PKT3_PKS4_S4_S5_PS6_PS9_PS4_,comdat
.Lfunc_end167:
	.size	_ZN9rocsparseL35bsr2csr_block_per_row_33_256_kernelILj1024ELj128ELj32E21rocsparse_complex_numIfEiiEEv20rocsparse_direction_T4_S4_21rocsparse_index_base_PKT2_PKT3_PKS4_S4_S5_PS6_PS9_PS4_, .Lfunc_end167-_ZN9rocsparseL35bsr2csr_block_per_row_33_256_kernelILj1024ELj128ELj32E21rocsparse_complex_numIfEiiEEv20rocsparse_direction_T4_S4_21rocsparse_index_base_PKT2_PKT3_PKS4_S4_S5_PS6_PS9_PS4_
                                        ; -- End function
	.set _ZN9rocsparseL35bsr2csr_block_per_row_33_256_kernelILj1024ELj128ELj32E21rocsparse_complex_numIfEiiEEv20rocsparse_direction_T4_S4_21rocsparse_index_base_PKT2_PKT3_PKS4_S4_S5_PS6_PS9_PS4_.num_vgpr, 27
	.set _ZN9rocsparseL35bsr2csr_block_per_row_33_256_kernelILj1024ELj128ELj32E21rocsparse_complex_numIfEiiEEv20rocsparse_direction_T4_S4_21rocsparse_index_base_PKT2_PKT3_PKS4_S4_S5_PS6_PS9_PS4_.num_agpr, 0
	.set _ZN9rocsparseL35bsr2csr_block_per_row_33_256_kernelILj1024ELj128ELj32E21rocsparse_complex_numIfEiiEEv20rocsparse_direction_T4_S4_21rocsparse_index_base_PKT2_PKT3_PKS4_S4_S5_PS6_PS9_PS4_.numbered_sgpr, 36
	.set _ZN9rocsparseL35bsr2csr_block_per_row_33_256_kernelILj1024ELj128ELj32E21rocsparse_complex_numIfEiiEEv20rocsparse_direction_T4_S4_21rocsparse_index_base_PKT2_PKT3_PKS4_S4_S5_PS6_PS9_PS4_.num_named_barrier, 0
	.set _ZN9rocsparseL35bsr2csr_block_per_row_33_256_kernelILj1024ELj128ELj32E21rocsparse_complex_numIfEiiEEv20rocsparse_direction_T4_S4_21rocsparse_index_base_PKT2_PKT3_PKS4_S4_S5_PS6_PS9_PS4_.private_seg_size, 0
	.set _ZN9rocsparseL35bsr2csr_block_per_row_33_256_kernelILj1024ELj128ELj32E21rocsparse_complex_numIfEiiEEv20rocsparse_direction_T4_S4_21rocsparse_index_base_PKT2_PKT3_PKS4_S4_S5_PS6_PS9_PS4_.uses_vcc, 1
	.set _ZN9rocsparseL35bsr2csr_block_per_row_33_256_kernelILj1024ELj128ELj32E21rocsparse_complex_numIfEiiEEv20rocsparse_direction_T4_S4_21rocsparse_index_base_PKT2_PKT3_PKS4_S4_S5_PS6_PS9_PS4_.uses_flat_scratch, 0
	.set _ZN9rocsparseL35bsr2csr_block_per_row_33_256_kernelILj1024ELj128ELj32E21rocsparse_complex_numIfEiiEEv20rocsparse_direction_T4_S4_21rocsparse_index_base_PKT2_PKT3_PKS4_S4_S5_PS6_PS9_PS4_.has_dyn_sized_stack, 0
	.set _ZN9rocsparseL35bsr2csr_block_per_row_33_256_kernelILj1024ELj128ELj32E21rocsparse_complex_numIfEiiEEv20rocsparse_direction_T4_S4_21rocsparse_index_base_PKT2_PKT3_PKS4_S4_S5_PS6_PS9_PS4_.has_recursion, 0
	.set _ZN9rocsparseL35bsr2csr_block_per_row_33_256_kernelILj1024ELj128ELj32E21rocsparse_complex_numIfEiiEEv20rocsparse_direction_T4_S4_21rocsparse_index_base_PKT2_PKT3_PKS4_S4_S5_PS6_PS9_PS4_.has_indirect_call, 0
	.section	.AMDGPU.csdata,"",@progbits
; Kernel info:
; codeLenInByte = 2604
; TotalNumSgprs: 38
; NumVgprs: 27
; ScratchSize: 0
; MemoryBound: 0
; FloatMode: 240
; IeeeMode: 1
; LDSByteSize: 0 bytes/workgroup (compile time only)
; SGPRBlocks: 0
; VGPRBlocks: 1
; NumSGPRsForWavesPerEU: 38
; NumVGPRsForWavesPerEU: 27
; NamedBarCnt: 0
; Occupancy: 16
; WaveLimiterHint : 1
; COMPUTE_PGM_RSRC2:SCRATCH_EN: 0
; COMPUTE_PGM_RSRC2:USER_SGPR: 2
; COMPUTE_PGM_RSRC2:TRAP_HANDLER: 0
; COMPUTE_PGM_RSRC2:TGID_X_EN: 1
; COMPUTE_PGM_RSRC2:TGID_Y_EN: 0
; COMPUTE_PGM_RSRC2:TGID_Z_EN: 0
; COMPUTE_PGM_RSRC2:TIDIG_COMP_CNT: 0
	.section	.text._ZN9rocsparseL35bsr2csr_block_per_row_33_256_kernelILj1024ELj256ELj32E21rocsparse_complex_numIfEiiEEv20rocsparse_direction_T4_S4_21rocsparse_index_base_PKT2_PKT3_PKS4_S4_S5_PS6_PS9_PS4_,"axG",@progbits,_ZN9rocsparseL35bsr2csr_block_per_row_33_256_kernelILj1024ELj256ELj32E21rocsparse_complex_numIfEiiEEv20rocsparse_direction_T4_S4_21rocsparse_index_base_PKT2_PKT3_PKS4_S4_S5_PS6_PS9_PS4_,comdat
	.globl	_ZN9rocsparseL35bsr2csr_block_per_row_33_256_kernelILj1024ELj256ELj32E21rocsparse_complex_numIfEiiEEv20rocsparse_direction_T4_S4_21rocsparse_index_base_PKT2_PKT3_PKS4_S4_S5_PS6_PS9_PS4_ ; -- Begin function _ZN9rocsparseL35bsr2csr_block_per_row_33_256_kernelILj1024ELj256ELj32E21rocsparse_complex_numIfEiiEEv20rocsparse_direction_T4_S4_21rocsparse_index_base_PKT2_PKT3_PKS4_S4_S5_PS6_PS9_PS4_
	.p2align	8
	.type	_ZN9rocsparseL35bsr2csr_block_per_row_33_256_kernelILj1024ELj256ELj32E21rocsparse_complex_numIfEiiEEv20rocsparse_direction_T4_S4_21rocsparse_index_base_PKT2_PKT3_PKS4_S4_S5_PS6_PS9_PS4_,@function
_ZN9rocsparseL35bsr2csr_block_per_row_33_256_kernelILj1024ELj256ELj32E21rocsparse_complex_numIfEiiEEv20rocsparse_direction_T4_S4_21rocsparse_index_base_PKT2_PKT3_PKS4_S4_S5_PS6_PS9_PS4_: ; @_ZN9rocsparseL35bsr2csr_block_per_row_33_256_kernelILj1024ELj256ELj32E21rocsparse_complex_numIfEiiEEv20rocsparse_direction_T4_S4_21rocsparse_index_base_PKT2_PKT3_PKS4_S4_S5_PS6_PS9_PS4_
; %bb.0:
	s_load_b64 s[2:3], s[0:1], 0x18
	s_bfe_u32 s4, ttmp6, 0x4000c
	s_and_b32 s5, ttmp6, 15
	s_add_co_i32 s4, s4, 1
	s_getreg_b32 s6, hwreg(HW_REG_IB_STS2, 6, 4)
	s_mul_i32 s4, ttmp9, s4
	s_clause 0x1
	s_load_b64 s[16:17], s[0:1], 0x28
	s_load_b64 s[10:11], s[0:1], 0x38
	s_add_co_i32 s5, s5, s4
	s_cmp_eq_u32 s6, 0
	s_cselect_b32 s4, ttmp9, s5
	s_delay_alu instid0(SALU_CYCLE_1)
	s_ashr_i32 s5, s4, 31
	v_or_b32_e32 v1, s4, v0
	s_lshl_b64 s[6:7], s[4:5], 2
	s_wait_kmcnt 0x0
	s_add_nc_u64 s[2:3], s[2:3], s[6:7]
	s_load_b64 s[26:27], s[2:3], 0x0
	s_wait_xcnt 0x0
	s_mov_b32 s2, exec_lo
	v_cmpx_eq_u32_e32 0, v1
	s_cbranch_execz .LBB168_2
; %bb.1:
	v_dual_mov_b32 v1, 0 :: v_dual_mov_b32 v2, s17
	global_store_b32 v1, v2, s[10:11]
.LBB168_2:
	s_wait_xcnt 0x0
	s_or_b32 exec_lo, exec_lo, s2
	s_load_b32 s30, s[0:1], 0xc
	v_lshrrev_b32_e32 v2, 5, v0
	s_mul_i32 s12, s16, s4
	s_delay_alu instid0(VALU_DEP_1)
	v_cmp_gt_i32_e64 s2, s16, v2
	s_wait_kmcnt 0x0
	s_sub_co_i32 s18, s26, s30
	s_sub_co_i32 s31, s27, s30
	s_mul_i32 s19, s16, s18
	s_sub_co_i32 s86, s31, s18
	s_mul_i32 s3, s19, s16
	s_mul_i32 s14, s86, s16
	s_add_co_i32 s15, s3, s17
	s_delay_alu instid0(SALU_CYCLE_1)
	s_add_co_i32 s15, s15, s14
	s_and_saveexec_b32 s3, s2
	s_cbranch_execz .LBB168_4
; %bb.3:
	v_mad_u32 v1, v2, s14, s15
	v_add_nc_u32_e32 v3, s12, v2
	global_store_b32 v3, v1, s[10:11] offset:4 scale_offset
.LBB168_4:
	s_wait_xcnt 0x0
	s_or_b32 exec_lo, exec_lo, s3
	v_or_b32_e32 v1, 32, v2
	s_delay_alu instid0(VALU_DEP_1)
	v_cmp_gt_i32_e64 s3, s16, v1
	s_and_saveexec_b32 s4, s3
	s_cbranch_execz .LBB168_6
; %bb.5:
	v_mov_b32_e32 v3, 0
	s_ashr_i32 s13, s12, 31
	v_mad_u32 v1, v1, s14, s15
	s_delay_alu instid0(VALU_DEP_2) | instskip(NEXT) | instid1(VALU_DEP_1)
	v_add_nc_u64_e32 v[4:5], s[12:13], v[2:3]
	v_lshl_add_u64 v[4:5], v[4:5], 2, s[10:11]
	global_store_b32 v[4:5], v1, off offset:132
.LBB168_6:
	s_wait_xcnt 0x0
	s_or_b32 exec_lo, exec_lo, s4
	v_or_b32_e32 v1, 64, v2
	s_delay_alu instid0(VALU_DEP_1)
	v_cmp_gt_i32_e64 s5, s16, v1
	s_and_saveexec_b32 s4, s5
	s_cbranch_execz .LBB168_8
; %bb.7:
	v_mov_b32_e32 v3, 0
	s_ashr_i32 s13, s12, 31
	v_mad_u32 v1, v1, s14, s15
	s_delay_alu instid0(VALU_DEP_2) | instskip(NEXT) | instid1(VALU_DEP_1)
	v_add_nc_u64_e32 v[4:5], s[12:13], v[2:3]
	v_lshl_add_u64 v[4:5], v[4:5], 2, s[10:11]
	global_store_b32 v[4:5], v1, off offset:260
.LBB168_8:
	s_wait_xcnt 0x0
	s_or_b32 exec_lo, exec_lo, s4
	v_or_b32_e32 v1, 0x60, v2
	s_delay_alu instid0(VALU_DEP_1)
	v_cmp_gt_i32_e64 s6, s16, v1
	s_and_saveexec_b32 s4, s6
	s_cbranch_execz .LBB168_10
; %bb.9:
	v_mov_b32_e32 v3, 0
	s_ashr_i32 s13, s12, 31
	v_mad_u32 v1, v1, s14, s15
	s_delay_alu instid0(VALU_DEP_2) | instskip(NEXT) | instid1(VALU_DEP_1)
	v_add_nc_u64_e32 v[4:5], s[12:13], v[2:3]
	v_lshl_add_u64 v[4:5], v[4:5], 2, s[10:11]
	global_store_b32 v[4:5], v1, off offset:388
.LBB168_10:
	s_wait_xcnt 0x0
	s_or_b32 exec_lo, exec_lo, s4
	v_or_b32_e32 v1, 0x80, v2
	s_delay_alu instid0(VALU_DEP_1)
	v_cmp_gt_i32_e64 s7, s16, v1
	s_and_saveexec_b32 s4, s7
	s_cbranch_execz .LBB168_12
; %bb.11:
	v_mov_b32_e32 v3, 0
	s_ashr_i32 s13, s12, 31
	v_mad_u32 v1, v1, s14, s15
	s_delay_alu instid0(VALU_DEP_2) | instskip(NEXT) | instid1(VALU_DEP_1)
	v_add_nc_u64_e32 v[4:5], s[12:13], v[2:3]
	v_lshl_add_u64 v[4:5], v[4:5], 2, s[10:11]
	global_store_b32 v[4:5], v1, off offset:516
.LBB168_12:
	s_wait_xcnt 0x0
	s_or_b32 exec_lo, exec_lo, s4
	v_or_b32_e32 v1, 0xa0, v2
	s_delay_alu instid0(VALU_DEP_1)
	v_cmp_gt_i32_e64 s8, s16, v1
	s_and_saveexec_b32 s4, s8
	s_cbranch_execz .LBB168_14
; %bb.13:
	v_mov_b32_e32 v3, 0
	s_ashr_i32 s13, s12, 31
	v_mad_u32 v1, v1, s14, s15
	s_delay_alu instid0(VALU_DEP_2) | instskip(NEXT) | instid1(VALU_DEP_1)
	v_add_nc_u64_e32 v[4:5], s[12:13], v[2:3]
	v_lshl_add_u64 v[4:5], v[4:5], 2, s[10:11]
	global_store_b32 v[4:5], v1, off offset:644
.LBB168_14:
	s_wait_xcnt 0x0
	s_or_b32 exec_lo, exec_lo, s4
	v_or_b32_e32 v1, 0xc0, v2
	s_delay_alu instid0(VALU_DEP_1)
	v_cmp_gt_i32_e64 s9, s16, v1
	s_and_saveexec_b32 s4, s9
	s_cbranch_execz .LBB168_16
; %bb.15:
	v_mov_b32_e32 v3, 0
	s_ashr_i32 s13, s12, 31
	v_mad_u32 v1, v1, s14, s15
	s_delay_alu instid0(VALU_DEP_2) | instskip(NEXT) | instid1(VALU_DEP_1)
	v_add_nc_u64_e32 v[4:5], s[12:13], v[2:3]
	v_lshl_add_u64 v[4:5], v[4:5], 2, s[10:11]
	global_store_b32 v[4:5], v1, off offset:772
.LBB168_16:
	s_wait_xcnt 0x0
	s_or_b32 exec_lo, exec_lo, s4
	v_or_b32_e32 v1, 0xe0, v2
	s_delay_alu instid0(VALU_DEP_1)
	v_cmp_gt_i32_e64 s4, s16, v1
	s_and_saveexec_b32 s20, s4
	s_cbranch_execz .LBB168_18
; %bb.17:
	v_mov_b32_e32 v3, 0
	s_ashr_i32 s13, s12, 31
	v_mad_u32 v1, v1, s14, s15
	s_delay_alu instid0(VALU_DEP_2) | instskip(NEXT) | instid1(VALU_DEP_1)
	v_add_nc_u64_e32 v[4:5], s[12:13], v[2:3]
	v_lshl_add_u64 v[4:5], v[4:5], 2, s[10:11]
	global_store_b32 v[4:5], v1, off offset:900
.LBB168_18:
	s_wait_xcnt 0x0
	s_or_b32 exec_lo, exec_lo, s20
	s_cmp_lt_i32 s26, s27
	s_cbranch_scc0 .LBB168_149
; %bb.19:
	s_clause 0x3
	s_load_b64 s[28:29], s[0:1], 0x20
	s_load_b32 s11, s[0:1], 0x0
	s_load_b64 s[20:21], s[0:1], 0x10
	s_load_b64 s[22:23], s[0:1], 0x30
	v_mad_u32 v31, v2, s86, s19
	v_dual_add_nc_u32 v22, s19, v2 :: v_dual_bitop2_b32 v0, 31, v0 bitop3:0x40
	s_load_b64 s[24:25], s[0:1], 0x40
	s_mul_i32 s33, s16, s16
	s_mov_b32 s34, 0
	s_wait_xcnt 0x0
	v_cmp_gt_i32_e64 s0, s16, v0
	v_add_nc_u32_e32 v26, 0xe0, v22
	v_dual_add_nc_u32 v14, s19, v0 :: v_dual_bitop2_b32 v1, 32, v0 bitop3:0x54
	v_or_b32_e32 v3, 64, v0
	v_mad_u32 v23, 0xe0, s27, v31
	v_mad_u32 v24, 0xc0, s27, v31
	;; [unrolled: 1-line block ×5, first 2 shown]
	v_add_nc_u32_e32 v13, 0xa0, v14
	s_wait_kmcnt 0x0
	s_cmp_eq_u32 s11, 0
	v_add_nc_u32_e32 v15, 0x80, v14
	s_cselect_b32 vcc_lo, -1, 0
	s_and_b32 s35, s2, s0
	s_and_b32 s42, s3, s0
	;; [unrolled: 1-line block ×8, first 2 shown]
	s_mul_i32 s0, s26, 0xe0
	v_add_nc_u32_e32 v11, 0xe0, v14
	v_subrev_nc_u32_e32 v27, s0, v23
	v_mad_u32 v23, s16, v26, v0
	v_mad_u32 v26, 0x60, s27, v31
	v_add_nc_u32_e32 v12, 0xc0, v14
	v_add_nc_u32_e32 v16, 0x60, v14
	v_dual_add_nc_u32 v17, 64, v14 :: v_dual_add_nc_u32 v18, 32, v14
	v_add_nc_u32_e32 v19, 32, v22
	v_add_nc_u32_e32 v25, 0xc0, v22
	v_cmp_gt_i32_e64 s1, s16, v1
	s_mul_i32 s0, s26, 0xc0
	v_mad_u32 v11, s16, v11, v2
	v_mad_u32 v12, s16, v12, v2
	;; [unrolled: 1-line block ×7, first 2 shown]
	v_add_nc_u32_e32 v18, 64, v22
	v_mad_u32 v17, s16, v19, v0
	v_add_nc_u32_e32 v19, 0x60, v22
	v_add_nc_u32_e32 v20, 0x80, v22
	;; [unrolled: 1-line block ×3, first 2 shown]
	v_mad_u32 v22, s16, v25, v0
	v_subrev_nc_u32_e32 v25, s0, v24
	v_mul_lo_u32 v24, s16, v27
	v_lshl_add_u32 v27, s27, 7, v31
	s_mul_i32 s0, s26, 0xa0
	v_lshl_add_u32 v29, s27, 6, v31
	v_lshl_add_u32 v30, s27, 5, v31
	s_and_b32 s36, s2, s1
	s_and_b32 s43, s3, s1
	;; [unrolled: 1-line block ×8, first 2 shown]
	s_lshl_b32 s1, s26, 7
	v_subrev_nc_u32_e32 v28, s0, v28
	s_mul_i32 s0, s26, 0x60
	v_subrev_nc_u32_e32 v27, s1, v27
	v_subrev_nc_u32_e32 v32, s0, v26
	s_lshl_b32 s0, s26, 6
	s_lshl_b32 s1, s26, 5
	v_subrev_nc_u32_e32 v29, s0, v29
	v_subrev_nc_u32_e32 v30, s1, v30
	v_or_b32_e32 v4, 0x60, v0
	v_or_b32_e32 v5, 0x80, v0
	;; [unrolled: 1-line block ×5, first 2 shown]
	v_mad_u32 v18, s16, v18, v0
	v_mad_u32 v19, s16, v19, v0
	v_mad_u32 v20, s16, v20, v0
	v_mad_u32 v21, s16, v21, v0
	v_mul_lo_u32 v25, s16, v25
	v_mul_lo_u32 v26, s16, v28
	;; [unrolled: 1-line block ×7, first 2 shown]
	v_cmp_gt_i32_e64 s10, s16, v3
	v_cmp_gt_i32_e64 s11, s16, v4
	;; [unrolled: 1-line block ×6, first 2 shown]
	s_ashr_i32 s19, s18, 31
	v_dual_cndmask_b32 v32, v9, v8 :: v_dual_cndmask_b32 v33, v2, v17
	s_lshl_b64 s[0:1], s[18:19], 2
	s_and_b32 s37, s2, s10
	s_and_b32 s38, s2, s11
	;; [unrolled: 1-line block ×48, first 2 shown]
	s_add_nc_u64 s[0:1], s[28:29], s[0:1]
	s_branch .LBB168_21
.LBB168_20:                             ;   in Loop: Header=BB168_21 Depth=1
	s_wait_xcnt 0x0
	s_or_b32 exec_lo, exec_lo, s15
	v_dual_add_nc_u32 v24, s16, v24 :: v_dual_add_nc_u32 v25, s16, v25
	v_dual_add_nc_u32 v26, s16, v26 :: v_dual_add_nc_u32 v27, s16, v27
	v_dual_add_nc_u32 v28, s16, v28 :: v_dual_add_nc_u32 v29, s16, v29
	v_dual_add_nc_u32 v30, s16, v30 :: v_dual_add_nc_u32 v31, s16, v31
	s_add_co_i32 s18, s18, 1
	s_add_co_i32 s34, s34, s33
	s_cmp_ge_i32 s18, s31
	s_add_nc_u64 s[0:1], s[0:1], 4
	s_cbranch_scc1 .LBB168_149
.LBB168_21:                             ; =>This Inner Loop Header: Depth=1
	s_load_b32 s15, s[0:1], 0x0
	s_wait_kmcnt 0x0
	s_sub_co_i32 s15, s15, s30
	s_delay_alu instid0(SALU_CYCLE_1) | instskip(NEXT) | instid1(SALU_CYCLE_1)
	s_mul_i32 s15, s15, s16
	s_add_co_i32 s15, s15, s17
	s_delay_alu instid0(SALU_CYCLE_1)
	v_add_nc_u32_e32 v35, s15, v0
	s_and_saveexec_b32 s19, s35
	s_cbranch_execnz .LBB168_85
; %bb.22:                               ;   in Loop: Header=BB168_21 Depth=1
	s_or_b32 exec_lo, exec_lo, s19
	v_add_nc_u32_e32 v34, s15, v1
	s_and_saveexec_b32 s19, s36
	s_cbranch_execnz .LBB168_86
.LBB168_23:                             ;   in Loop: Header=BB168_21 Depth=1
	s_or_b32 exec_lo, exec_lo, s19
	v_add_nc_u32_e32 v36, s15, v3
	s_and_saveexec_b32 s19, s37
	s_cbranch_execnz .LBB168_87
.LBB168_24:                             ;   in Loop: Header=BB168_21 Depth=1
	s_or_b32 exec_lo, exec_lo, s19
	v_add_nc_u32_e32 v37, s15, v4
	s_and_saveexec_b32 s19, s38
	s_cbranch_execnz .LBB168_88
.LBB168_25:                             ;   in Loop: Header=BB168_21 Depth=1
	s_or_b32 exec_lo, exec_lo, s19
	v_add_nc_u32_e32 v38, s15, v5
	s_and_saveexec_b32 s19, s39
	s_cbranch_execnz .LBB168_89
.LBB168_26:                             ;   in Loop: Header=BB168_21 Depth=1
	s_or_b32 exec_lo, exec_lo, s19
	v_add_nc_u32_e32 v39, s15, v6
	s_and_saveexec_b32 s19, s40
	s_cbranch_execnz .LBB168_90
.LBB168_27:                             ;   in Loop: Header=BB168_21 Depth=1
	s_or_b32 exec_lo, exec_lo, s19
	v_add_nc_u32_e32 v40, s15, v7
	s_and_saveexec_b32 s19, s41
	s_cbranch_execnz .LBB168_91
.LBB168_28:                             ;   in Loop: Header=BB168_21 Depth=1
	s_or_b32 exec_lo, exec_lo, s19
	v_add_nc_u32_e32 v41, s15, v10
	s_and_saveexec_b32 s15, s2
	s_cbranch_execnz .LBB168_92
.LBB168_29:                             ;   in Loop: Header=BB168_21 Depth=1
	s_or_b32 exec_lo, exec_lo, s15
	s_and_saveexec_b32 s15, s42
	s_cbranch_execnz .LBB168_93
.LBB168_30:                             ;   in Loop: Header=BB168_21 Depth=1
	s_or_b32 exec_lo, exec_lo, s15
	s_and_saveexec_b32 s15, s43
	s_cbranch_execnz .LBB168_94
.LBB168_31:                             ;   in Loop: Header=BB168_21 Depth=1
	s_or_b32 exec_lo, exec_lo, s15
	s_and_saveexec_b32 s15, s44
	s_cbranch_execnz .LBB168_95
.LBB168_32:                             ;   in Loop: Header=BB168_21 Depth=1
	s_or_b32 exec_lo, exec_lo, s15
	s_and_saveexec_b32 s15, s45
	s_cbranch_execnz .LBB168_96
.LBB168_33:                             ;   in Loop: Header=BB168_21 Depth=1
	s_or_b32 exec_lo, exec_lo, s15
	s_and_saveexec_b32 s15, s46
	s_cbranch_execnz .LBB168_97
.LBB168_34:                             ;   in Loop: Header=BB168_21 Depth=1
	s_or_b32 exec_lo, exec_lo, s15
	s_and_saveexec_b32 s15, s47
	s_cbranch_execnz .LBB168_98
.LBB168_35:                             ;   in Loop: Header=BB168_21 Depth=1
	s_or_b32 exec_lo, exec_lo, s15
	s_and_saveexec_b32 s15, s48
	s_cbranch_execnz .LBB168_99
.LBB168_36:                             ;   in Loop: Header=BB168_21 Depth=1
	s_or_b32 exec_lo, exec_lo, s15
	s_and_saveexec_b32 s15, s3
	s_cbranch_execnz .LBB168_100
.LBB168_37:                             ;   in Loop: Header=BB168_21 Depth=1
	s_or_b32 exec_lo, exec_lo, s15
	s_and_saveexec_b32 s15, s49
	s_cbranch_execnz .LBB168_101
.LBB168_38:                             ;   in Loop: Header=BB168_21 Depth=1
	s_or_b32 exec_lo, exec_lo, s15
	s_and_saveexec_b32 s15, s50
	s_cbranch_execnz .LBB168_102
.LBB168_39:                             ;   in Loop: Header=BB168_21 Depth=1
	s_or_b32 exec_lo, exec_lo, s15
	s_and_saveexec_b32 s15, s51
	s_cbranch_execnz .LBB168_103
.LBB168_40:                             ;   in Loop: Header=BB168_21 Depth=1
	s_or_b32 exec_lo, exec_lo, s15
	s_and_saveexec_b32 s15, s52
	s_cbranch_execnz .LBB168_104
.LBB168_41:                             ;   in Loop: Header=BB168_21 Depth=1
	s_or_b32 exec_lo, exec_lo, s15
	s_and_saveexec_b32 s15, s53
	s_cbranch_execnz .LBB168_105
.LBB168_42:                             ;   in Loop: Header=BB168_21 Depth=1
	s_or_b32 exec_lo, exec_lo, s15
	s_and_saveexec_b32 s15, s54
	s_cbranch_execnz .LBB168_106
.LBB168_43:                             ;   in Loop: Header=BB168_21 Depth=1
	s_or_b32 exec_lo, exec_lo, s15
	s_and_saveexec_b32 s15, s55
	s_cbranch_execnz .LBB168_107
.LBB168_44:                             ;   in Loop: Header=BB168_21 Depth=1
	s_or_b32 exec_lo, exec_lo, s15
	s_and_saveexec_b32 s15, s5
	s_cbranch_execnz .LBB168_108
.LBB168_45:                             ;   in Loop: Header=BB168_21 Depth=1
	s_or_b32 exec_lo, exec_lo, s15
	s_and_saveexec_b32 s15, s56
	s_cbranch_execnz .LBB168_109
.LBB168_46:                             ;   in Loop: Header=BB168_21 Depth=1
	s_or_b32 exec_lo, exec_lo, s15
	s_and_saveexec_b32 s15, s57
	s_cbranch_execnz .LBB168_110
.LBB168_47:                             ;   in Loop: Header=BB168_21 Depth=1
	s_or_b32 exec_lo, exec_lo, s15
	s_and_saveexec_b32 s15, s58
	s_cbranch_execnz .LBB168_111
.LBB168_48:                             ;   in Loop: Header=BB168_21 Depth=1
	s_or_b32 exec_lo, exec_lo, s15
	s_and_saveexec_b32 s15, s59
	s_cbranch_execnz .LBB168_112
.LBB168_49:                             ;   in Loop: Header=BB168_21 Depth=1
	s_or_b32 exec_lo, exec_lo, s15
	s_and_saveexec_b32 s15, s60
	s_cbranch_execnz .LBB168_113
.LBB168_50:                             ;   in Loop: Header=BB168_21 Depth=1
	s_or_b32 exec_lo, exec_lo, s15
	s_and_saveexec_b32 s15, s61
	s_cbranch_execnz .LBB168_114
.LBB168_51:                             ;   in Loop: Header=BB168_21 Depth=1
	s_or_b32 exec_lo, exec_lo, s15
	s_and_saveexec_b32 s15, s62
	s_cbranch_execnz .LBB168_115
.LBB168_52:                             ;   in Loop: Header=BB168_21 Depth=1
	s_or_b32 exec_lo, exec_lo, s15
	s_and_saveexec_b32 s15, s6
	s_cbranch_execnz .LBB168_116
.LBB168_53:                             ;   in Loop: Header=BB168_21 Depth=1
	s_or_b32 exec_lo, exec_lo, s15
	s_and_saveexec_b32 s15, s63
	s_cbranch_execnz .LBB168_117
.LBB168_54:                             ;   in Loop: Header=BB168_21 Depth=1
	s_or_b32 exec_lo, exec_lo, s15
	s_and_saveexec_b32 s15, s64
	s_cbranch_execnz .LBB168_118
.LBB168_55:                             ;   in Loop: Header=BB168_21 Depth=1
	s_or_b32 exec_lo, exec_lo, s15
	s_and_saveexec_b32 s15, s65
	s_cbranch_execnz .LBB168_119
.LBB168_56:                             ;   in Loop: Header=BB168_21 Depth=1
	s_or_b32 exec_lo, exec_lo, s15
	s_and_saveexec_b32 s15, s66
	s_cbranch_execnz .LBB168_120
.LBB168_57:                             ;   in Loop: Header=BB168_21 Depth=1
	s_or_b32 exec_lo, exec_lo, s15
	s_and_saveexec_b32 s15, s67
	s_cbranch_execnz .LBB168_121
.LBB168_58:                             ;   in Loop: Header=BB168_21 Depth=1
	s_or_b32 exec_lo, exec_lo, s15
	s_and_saveexec_b32 s15, s68
	s_cbranch_execnz .LBB168_122
.LBB168_59:                             ;   in Loop: Header=BB168_21 Depth=1
	s_or_b32 exec_lo, exec_lo, s15
	s_and_saveexec_b32 s15, s69
	s_cbranch_execnz .LBB168_123
.LBB168_60:                             ;   in Loop: Header=BB168_21 Depth=1
	s_or_b32 exec_lo, exec_lo, s15
	s_and_saveexec_b32 s15, s7
	s_cbranch_execnz .LBB168_124
.LBB168_61:                             ;   in Loop: Header=BB168_21 Depth=1
	s_or_b32 exec_lo, exec_lo, s15
	s_and_saveexec_b32 s15, s70
	s_cbranch_execnz .LBB168_125
.LBB168_62:                             ;   in Loop: Header=BB168_21 Depth=1
	s_or_b32 exec_lo, exec_lo, s15
	s_and_saveexec_b32 s15, s71
	s_cbranch_execnz .LBB168_126
.LBB168_63:                             ;   in Loop: Header=BB168_21 Depth=1
	s_or_b32 exec_lo, exec_lo, s15
	s_and_saveexec_b32 s15, s72
	s_cbranch_execnz .LBB168_127
.LBB168_64:                             ;   in Loop: Header=BB168_21 Depth=1
	s_or_b32 exec_lo, exec_lo, s15
	s_and_saveexec_b32 s15, s73
	s_cbranch_execnz .LBB168_128
.LBB168_65:                             ;   in Loop: Header=BB168_21 Depth=1
	s_or_b32 exec_lo, exec_lo, s15
	s_and_saveexec_b32 s15, s74
	s_cbranch_execnz .LBB168_129
.LBB168_66:                             ;   in Loop: Header=BB168_21 Depth=1
	s_or_b32 exec_lo, exec_lo, s15
	s_and_saveexec_b32 s15, s75
	s_cbranch_execnz .LBB168_130
.LBB168_67:                             ;   in Loop: Header=BB168_21 Depth=1
	s_or_b32 exec_lo, exec_lo, s15
	s_and_saveexec_b32 s15, s76
	s_cbranch_execnz .LBB168_131
.LBB168_68:                             ;   in Loop: Header=BB168_21 Depth=1
	s_or_b32 exec_lo, exec_lo, s15
	s_and_saveexec_b32 s15, s8
	s_cbranch_execnz .LBB168_132
.LBB168_69:                             ;   in Loop: Header=BB168_21 Depth=1
	s_or_b32 exec_lo, exec_lo, s15
	s_and_saveexec_b32 s15, s77
	s_cbranch_execnz .LBB168_133
.LBB168_70:                             ;   in Loop: Header=BB168_21 Depth=1
	s_or_b32 exec_lo, exec_lo, s15
	s_and_saveexec_b32 s15, s78
	s_cbranch_execnz .LBB168_134
.LBB168_71:                             ;   in Loop: Header=BB168_21 Depth=1
	s_or_b32 exec_lo, exec_lo, s15
	s_and_saveexec_b32 s15, s79
	s_cbranch_execnz .LBB168_135
.LBB168_72:                             ;   in Loop: Header=BB168_21 Depth=1
	s_or_b32 exec_lo, exec_lo, s15
	s_and_saveexec_b32 s15, s80
	s_cbranch_execnz .LBB168_136
.LBB168_73:                             ;   in Loop: Header=BB168_21 Depth=1
	s_or_b32 exec_lo, exec_lo, s15
	s_and_saveexec_b32 s15, s81
	s_cbranch_execnz .LBB168_137
.LBB168_74:                             ;   in Loop: Header=BB168_21 Depth=1
	s_or_b32 exec_lo, exec_lo, s15
	s_and_saveexec_b32 s15, s82
	s_cbranch_execnz .LBB168_138
.LBB168_75:                             ;   in Loop: Header=BB168_21 Depth=1
	s_or_b32 exec_lo, exec_lo, s15
	s_and_saveexec_b32 s15, s83
	s_cbranch_execnz .LBB168_139
.LBB168_76:                             ;   in Loop: Header=BB168_21 Depth=1
	s_or_b32 exec_lo, exec_lo, s15
	s_and_saveexec_b32 s15, s9
	s_cbranch_execnz .LBB168_140
.LBB168_77:                             ;   in Loop: Header=BB168_21 Depth=1
	s_or_b32 exec_lo, exec_lo, s15
	s_and_saveexec_b32 s15, s84
	s_cbranch_execnz .LBB168_141
.LBB168_78:                             ;   in Loop: Header=BB168_21 Depth=1
	s_or_b32 exec_lo, exec_lo, s15
	s_and_saveexec_b32 s15, s85
	s_cbranch_execnz .LBB168_142
.LBB168_79:                             ;   in Loop: Header=BB168_21 Depth=1
	s_or_b32 exec_lo, exec_lo, s15
	s_and_saveexec_b32 s15, s10
	s_cbranch_execnz .LBB168_143
.LBB168_80:                             ;   in Loop: Header=BB168_21 Depth=1
	s_or_b32 exec_lo, exec_lo, s15
	s_and_saveexec_b32 s15, s11
	s_cbranch_execnz .LBB168_144
.LBB168_81:                             ;   in Loop: Header=BB168_21 Depth=1
	s_or_b32 exec_lo, exec_lo, s15
	s_and_saveexec_b32 s15, s12
	s_cbranch_execnz .LBB168_145
.LBB168_82:                             ;   in Loop: Header=BB168_21 Depth=1
	s_or_b32 exec_lo, exec_lo, s15
	s_and_saveexec_b32 s15, s13
	s_cbranch_execnz .LBB168_146
.LBB168_83:                             ;   in Loop: Header=BB168_21 Depth=1
	s_or_b32 exec_lo, exec_lo, s15
	s_and_saveexec_b32 s15, s14
	s_cbranch_execnz .LBB168_147
.LBB168_84:                             ;   in Loop: Header=BB168_21 Depth=1
	s_or_b32 exec_lo, exec_lo, s15
	s_and_saveexec_b32 s15, s4
	s_cbranch_execz .LBB168_20
	s_branch .LBB168_148
.LBB168_85:                             ;   in Loop: Header=BB168_21 Depth=1
	v_add_nc_u32_e32 v34, s34, v32
	global_load_b64 v[36:37], v34, s[20:21] scale_offset
	s_wait_xcnt 0x0
	v_add_nc_u32_e32 v34, v0, v31
	global_store_b32 v34, v35, s[24:25] scale_offset
	s_wait_loadcnt 0x0
	global_store_b64 v34, v[36:37], s[22:23] scale_offset
	s_wait_xcnt 0x0
	s_or_b32 exec_lo, exec_lo, s19
	v_add_nc_u32_e32 v34, s15, v1
	s_and_saveexec_b32 s19, s36
	s_cbranch_execz .LBB168_23
.LBB168_86:                             ;   in Loop: Header=BB168_21 Depth=1
	v_add3_u32 v36, v8, s34, 32
	v_add_nc_u32_e32 v37, s34, v2
	v_add3_u32 v38, v0, v31, 32
	s_delay_alu instid0(VALU_DEP_2)
	v_cndmask_b32_e32 v36, v37, v36, vcc_lo
	global_load_b64 v[36:37], v36, s[20:21] scale_offset
	global_store_b32 v38, v34, s[24:25] scale_offset
	s_wait_loadcnt 0x0
	global_store_b64 v38, v[36:37], s[22:23] scale_offset
	s_wait_xcnt 0x0
	s_or_b32 exec_lo, exec_lo, s19
	v_add_nc_u32_e32 v36, s15, v3
	s_and_saveexec_b32 s19, s37
	s_cbranch_execz .LBB168_24
.LBB168_87:                             ;   in Loop: Header=BB168_21 Depth=1
	v_add3_u32 v37, v8, s34, 64
	v_add_nc_u32_e32 v38, s34, v16
	s_delay_alu instid0(VALU_DEP_1)
	v_cndmask_b32_e32 v37, v38, v37, vcc_lo
	global_load_b64 v[38:39], v37, s[20:21] scale_offset
	s_wait_xcnt 0x0
	v_add3_u32 v37, v0, v31, 64
	global_store_b32 v37, v36, s[24:25] scale_offset
	s_wait_loadcnt 0x0
	global_store_b64 v37, v[38:39], s[22:23] scale_offset
	s_wait_xcnt 0x0
	s_or_b32 exec_lo, exec_lo, s19
	v_add_nc_u32_e32 v37, s15, v4
	s_and_saveexec_b32 s19, s38
	s_cbranch_execz .LBB168_25
.LBB168_88:                             ;   in Loop: Header=BB168_21 Depth=1
	v_add3_u32 v38, v8, s34, 0x60
	v_add_nc_u32_e32 v39, s34, v15
	v_add3_u32 v40, v0, v31, 0x60
	s_delay_alu instid0(VALU_DEP_2)
	v_cndmask_b32_e32 v38, v39, v38, vcc_lo
	global_load_b64 v[38:39], v38, s[20:21] scale_offset
	global_store_b32 v40, v37, s[24:25] scale_offset
	s_wait_loadcnt 0x0
	global_store_b64 v40, v[38:39], s[22:23] scale_offset
	s_wait_xcnt 0x0
	s_or_b32 exec_lo, exec_lo, s19
	v_add_nc_u32_e32 v38, s15, v5
	s_and_saveexec_b32 s19, s39
	s_cbranch_execz .LBB168_26
.LBB168_89:                             ;   in Loop: Header=BB168_21 Depth=1
	v_add3_u32 v39, v8, s34, 0x80
	v_add_nc_u32_e32 v40, s34, v14
	s_delay_alu instid0(VALU_DEP_1)
	v_cndmask_b32_e32 v39, v40, v39, vcc_lo
	global_load_b64 v[40:41], v39, s[20:21] scale_offset
	s_wait_xcnt 0x0
	v_add3_u32 v39, v0, v31, 0x80
	global_store_b32 v39, v38, s[24:25] scale_offset
	s_wait_loadcnt 0x0
	global_store_b64 v39, v[40:41], s[22:23] scale_offset
	s_wait_xcnt 0x0
	s_or_b32 exec_lo, exec_lo, s19
	v_add_nc_u32_e32 v39, s15, v6
	s_and_saveexec_b32 s19, s40
	s_cbranch_execz .LBB168_27
.LBB168_90:                             ;   in Loop: Header=BB168_21 Depth=1
	v_add3_u32 v40, v8, s34, 0xa0
	v_add_nc_u32_e32 v41, s34, v13
	v_add3_u32 v42, v0, v31, 0xa0
	s_delay_alu instid0(VALU_DEP_2)
	v_cndmask_b32_e32 v40, v41, v40, vcc_lo
	global_load_b64 v[40:41], v40, s[20:21] scale_offset
	global_store_b32 v42, v39, s[24:25] scale_offset
	s_wait_loadcnt 0x0
	global_store_b64 v42, v[40:41], s[22:23] scale_offset
	s_wait_xcnt 0x0
	s_or_b32 exec_lo, exec_lo, s19
	v_add_nc_u32_e32 v40, s15, v7
	s_and_saveexec_b32 s19, s41
	s_cbranch_execz .LBB168_28
.LBB168_91:                             ;   in Loop: Header=BB168_21 Depth=1
	v_add3_u32 v41, v8, s34, 0xc0
	v_add_nc_u32_e32 v42, s34, v12
	s_delay_alu instid0(VALU_DEP_1)
	v_cndmask_b32_e32 v41, v42, v41, vcc_lo
	global_load_b64 v[42:43], v41, s[20:21] scale_offset
	s_wait_xcnt 0x0
	v_add3_u32 v41, v0, v31, 0xc0
	global_store_b32 v41, v40, s[24:25] scale_offset
	s_wait_loadcnt 0x0
	global_store_b64 v41, v[42:43], s[22:23] scale_offset
	s_wait_xcnt 0x0
	s_or_b32 exec_lo, exec_lo, s19
	v_add_nc_u32_e32 v41, s15, v10
	s_and_saveexec_b32 s15, s2
	s_cbranch_execz .LBB168_29
.LBB168_92:                             ;   in Loop: Header=BB168_21 Depth=1
	v_add3_u32 v42, v8, s34, 0xe0
	v_add_nc_u32_e32 v43, s34, v11
	v_add3_u32 v44, v0, v31, 0xe0
	s_delay_alu instid0(VALU_DEP_2)
	v_cndmask_b32_e32 v42, v43, v42, vcc_lo
	global_load_b64 v[42:43], v42, s[20:21] scale_offset
	global_store_b32 v44, v41, s[24:25] scale_offset
	s_wait_loadcnt 0x0
	global_store_b64 v44, v[42:43], s[22:23] scale_offset
	s_wait_xcnt 0x0
	s_or_b32 exec_lo, exec_lo, s15
	s_and_saveexec_b32 s15, s42
	s_cbranch_execz .LBB168_30
.LBB168_93:                             ;   in Loop: Header=BB168_21 Depth=1
	v_dual_add_nc_u32 v42, s34, v17 :: v_dual_add_nc_u32 v44, v0, v30
	v_add3_u32 v43, v9, s34, 32
	s_delay_alu instid0(VALU_DEP_1)
	v_cndmask_b32_e32 v42, v43, v42, vcc_lo
	global_load_b64 v[42:43], v42, s[20:21] scale_offset
	global_store_b32 v44, v35, s[24:25] scale_offset
	s_wait_loadcnt 0x0
	global_store_b64 v44, v[42:43], s[22:23] scale_offset
	s_wait_xcnt 0x0
	s_or_b32 exec_lo, exec_lo, s15
	s_and_saveexec_b32 s15, s43
	s_cbranch_execz .LBB168_31
.LBB168_94:                             ;   in Loop: Header=BB168_21 Depth=1
	v_add3_u32 v42, v33, s34, 32
	v_add3_u32 v44, v0, v30, 32
	global_load_b64 v[42:43], v42, s[20:21] scale_offset
	global_store_b32 v44, v34, s[24:25] scale_offset
	s_wait_loadcnt 0x0
	global_store_b64 v44, v[42:43], s[22:23] scale_offset
	s_wait_xcnt 0x0
	s_or_b32 exec_lo, exec_lo, s15
	s_and_saveexec_b32 s15, s44
	s_cbranch_execz .LBB168_32
.LBB168_95:                             ;   in Loop: Header=BB168_21 Depth=1
	v_add3_u32 v42, v17, s34, 64
	v_add3_u32 v43, v16, s34, 32
	;; [unrolled: 1-line block ×3, first 2 shown]
	s_delay_alu instid0(VALU_DEP_2)
	v_cndmask_b32_e32 v42, v43, v42, vcc_lo
	global_load_b64 v[42:43], v42, s[20:21] scale_offset
	global_store_b32 v44, v36, s[24:25] scale_offset
	s_wait_loadcnt 0x0
	global_store_b64 v44, v[42:43], s[22:23] scale_offset
	s_wait_xcnt 0x0
	s_or_b32 exec_lo, exec_lo, s15
	s_and_saveexec_b32 s15, s45
	s_cbranch_execz .LBB168_33
.LBB168_96:                             ;   in Loop: Header=BB168_21 Depth=1
	v_add3_u32 v42, v17, s34, 0x60
	v_add3_u32 v43, v15, s34, 32
	v_add3_u32 v44, v0, v30, 0x60
	s_delay_alu instid0(VALU_DEP_2)
	v_cndmask_b32_e32 v42, v43, v42, vcc_lo
	global_load_b64 v[42:43], v42, s[20:21] scale_offset
	global_store_b32 v44, v37, s[24:25] scale_offset
	s_wait_loadcnt 0x0
	global_store_b64 v44, v[42:43], s[22:23] scale_offset
	s_wait_xcnt 0x0
	s_or_b32 exec_lo, exec_lo, s15
	s_and_saveexec_b32 s15, s46
	s_cbranch_execz .LBB168_34
.LBB168_97:                             ;   in Loop: Header=BB168_21 Depth=1
	v_add3_u32 v42, v17, s34, 0x80
	v_add3_u32 v43, v14, s34, 32
	;; [unrolled: 1-line block ×3, first 2 shown]
	s_delay_alu instid0(VALU_DEP_2)
	v_cndmask_b32_e32 v42, v43, v42, vcc_lo
	global_load_b64 v[42:43], v42, s[20:21] scale_offset
	global_store_b32 v44, v38, s[24:25] scale_offset
	s_wait_loadcnt 0x0
	global_store_b64 v44, v[42:43], s[22:23] scale_offset
	s_wait_xcnt 0x0
	s_or_b32 exec_lo, exec_lo, s15
	s_and_saveexec_b32 s15, s47
	s_cbranch_execz .LBB168_35
.LBB168_98:                             ;   in Loop: Header=BB168_21 Depth=1
	v_add3_u32 v42, v17, s34, 0xa0
	v_add3_u32 v43, v13, s34, 32
	;; [unrolled: 1-line block ×3, first 2 shown]
	s_delay_alu instid0(VALU_DEP_2)
	v_cndmask_b32_e32 v42, v43, v42, vcc_lo
	global_load_b64 v[42:43], v42, s[20:21] scale_offset
	global_store_b32 v44, v39, s[24:25] scale_offset
	s_wait_loadcnt 0x0
	global_store_b64 v44, v[42:43], s[22:23] scale_offset
	s_wait_xcnt 0x0
	s_or_b32 exec_lo, exec_lo, s15
	s_and_saveexec_b32 s15, s48
	s_cbranch_execz .LBB168_36
.LBB168_99:                             ;   in Loop: Header=BB168_21 Depth=1
	v_add3_u32 v42, v17, s34, 0xc0
	v_add3_u32 v43, v12, s34, 32
	;; [unrolled: 1-line block ×3, first 2 shown]
	s_delay_alu instid0(VALU_DEP_2)
	v_cndmask_b32_e32 v42, v43, v42, vcc_lo
	global_load_b64 v[42:43], v42, s[20:21] scale_offset
	global_store_b32 v44, v40, s[24:25] scale_offset
	s_wait_loadcnt 0x0
	global_store_b64 v44, v[42:43], s[22:23] scale_offset
	s_wait_xcnt 0x0
	s_or_b32 exec_lo, exec_lo, s15
	s_and_saveexec_b32 s15, s3
	s_cbranch_execz .LBB168_37
.LBB168_100:                            ;   in Loop: Header=BB168_21 Depth=1
	v_add3_u32 v42, v17, s34, 0xe0
	v_add3_u32 v43, v11, s34, 32
	;; [unrolled: 1-line block ×3, first 2 shown]
	s_delay_alu instid0(VALU_DEP_2)
	v_cndmask_b32_e32 v42, v43, v42, vcc_lo
	global_load_b64 v[42:43], v42, s[20:21] scale_offset
	global_store_b32 v44, v41, s[24:25] scale_offset
	s_wait_loadcnt 0x0
	global_store_b64 v44, v[42:43], s[22:23] scale_offset
	s_wait_xcnt 0x0
	s_or_b32 exec_lo, exec_lo, s15
	s_and_saveexec_b32 s15, s49
	s_cbranch_execz .LBB168_38
.LBB168_101:                            ;   in Loop: Header=BB168_21 Depth=1
	v_dual_add_nc_u32 v42, s34, v18 :: v_dual_add_nc_u32 v44, v0, v29
	v_add3_u32 v43, v9, s34, 64
	s_delay_alu instid0(VALU_DEP_1)
	v_cndmask_b32_e32 v42, v43, v42, vcc_lo
	global_load_b64 v[42:43], v42, s[20:21] scale_offset
	global_store_b32 v44, v35, s[24:25] scale_offset
	s_wait_loadcnt 0x0
	global_store_b64 v44, v[42:43], s[22:23] scale_offset
	s_wait_xcnt 0x0
	s_or_b32 exec_lo, exec_lo, s15
	s_and_saveexec_b32 s15, s50
	s_cbranch_execz .LBB168_39
.LBB168_102:                            ;   in Loop: Header=BB168_21 Depth=1
	v_add3_u32 v42, v18, s34, 32
	v_add3_u32 v43, v2, s34, 64
	;; [unrolled: 1-line block ×3, first 2 shown]
	s_delay_alu instid0(VALU_DEP_2)
	v_cndmask_b32_e32 v42, v43, v42, vcc_lo
	global_load_b64 v[42:43], v42, s[20:21] scale_offset
	global_store_b32 v44, v34, s[24:25] scale_offset
	s_wait_loadcnt 0x0
	global_store_b64 v44, v[42:43], s[22:23] scale_offset
	s_wait_xcnt 0x0
	s_or_b32 exec_lo, exec_lo, s15
	s_and_saveexec_b32 s15, s51
	s_cbranch_execz .LBB168_40
.LBB168_103:                            ;   in Loop: Header=BB168_21 Depth=1
	v_cndmask_b32_e32 v42, v16, v18, vcc_lo
	v_add3_u32 v44, v0, v29, 64
	s_delay_alu instid0(VALU_DEP_2)
	v_add3_u32 v42, v42, s34, 64
	global_load_b64 v[42:43], v42, s[20:21] scale_offset
	global_store_b32 v44, v36, s[24:25] scale_offset
	s_wait_loadcnt 0x0
	global_store_b64 v44, v[42:43], s[22:23] scale_offset
	s_wait_xcnt 0x0
	s_or_b32 exec_lo, exec_lo, s15
	s_and_saveexec_b32 s15, s52
	s_cbranch_execz .LBB168_41
.LBB168_104:                            ;   in Loop: Header=BB168_21 Depth=1
	v_add3_u32 v42, v18, s34, 0x60
	v_add3_u32 v43, v15, s34, 64
	;; [unrolled: 1-line block ×3, first 2 shown]
	s_delay_alu instid0(VALU_DEP_2)
	v_cndmask_b32_e32 v42, v43, v42, vcc_lo
	global_load_b64 v[42:43], v42, s[20:21] scale_offset
	global_store_b32 v44, v37, s[24:25] scale_offset
	s_wait_loadcnt 0x0
	global_store_b64 v44, v[42:43], s[22:23] scale_offset
	s_wait_xcnt 0x0
	s_or_b32 exec_lo, exec_lo, s15
	s_and_saveexec_b32 s15, s53
	s_cbranch_execz .LBB168_42
.LBB168_105:                            ;   in Loop: Header=BB168_21 Depth=1
	v_add3_u32 v42, v18, s34, 0x80
	v_add3_u32 v43, v14, s34, 64
	;; [unrolled: 1-line block ×3, first 2 shown]
	s_delay_alu instid0(VALU_DEP_2)
	v_cndmask_b32_e32 v42, v43, v42, vcc_lo
	global_load_b64 v[42:43], v42, s[20:21] scale_offset
	global_store_b32 v44, v38, s[24:25] scale_offset
	s_wait_loadcnt 0x0
	global_store_b64 v44, v[42:43], s[22:23] scale_offset
	s_wait_xcnt 0x0
	s_or_b32 exec_lo, exec_lo, s15
	s_and_saveexec_b32 s15, s54
	s_cbranch_execz .LBB168_43
.LBB168_106:                            ;   in Loop: Header=BB168_21 Depth=1
	v_add3_u32 v42, v18, s34, 0xa0
	v_add3_u32 v43, v13, s34, 64
	;; [unrolled: 1-line block ×3, first 2 shown]
	s_delay_alu instid0(VALU_DEP_2)
	v_cndmask_b32_e32 v42, v43, v42, vcc_lo
	global_load_b64 v[42:43], v42, s[20:21] scale_offset
	global_store_b32 v44, v39, s[24:25] scale_offset
	s_wait_loadcnt 0x0
	global_store_b64 v44, v[42:43], s[22:23] scale_offset
	s_wait_xcnt 0x0
	s_or_b32 exec_lo, exec_lo, s15
	s_and_saveexec_b32 s15, s55
	s_cbranch_execz .LBB168_44
.LBB168_107:                            ;   in Loop: Header=BB168_21 Depth=1
	v_add3_u32 v42, v18, s34, 0xc0
	v_add3_u32 v43, v12, s34, 64
	;; [unrolled: 1-line block ×3, first 2 shown]
	s_delay_alu instid0(VALU_DEP_2)
	v_cndmask_b32_e32 v42, v43, v42, vcc_lo
	global_load_b64 v[42:43], v42, s[20:21] scale_offset
	global_store_b32 v44, v40, s[24:25] scale_offset
	s_wait_loadcnt 0x0
	global_store_b64 v44, v[42:43], s[22:23] scale_offset
	s_wait_xcnt 0x0
	s_or_b32 exec_lo, exec_lo, s15
	s_and_saveexec_b32 s15, s5
	s_cbranch_execz .LBB168_45
.LBB168_108:                            ;   in Loop: Header=BB168_21 Depth=1
	v_add3_u32 v42, v18, s34, 0xe0
	v_add3_u32 v43, v11, s34, 64
	;; [unrolled: 1-line block ×3, first 2 shown]
	s_delay_alu instid0(VALU_DEP_2)
	v_cndmask_b32_e32 v42, v43, v42, vcc_lo
	global_load_b64 v[42:43], v42, s[20:21] scale_offset
	global_store_b32 v44, v41, s[24:25] scale_offset
	s_wait_loadcnt 0x0
	global_store_b64 v44, v[42:43], s[22:23] scale_offset
	s_wait_xcnt 0x0
	s_or_b32 exec_lo, exec_lo, s15
	s_and_saveexec_b32 s15, s56
	s_cbranch_execz .LBB168_46
.LBB168_109:                            ;   in Loop: Header=BB168_21 Depth=1
	v_dual_add_nc_u32 v42, s34, v19 :: v_dual_add_nc_u32 v44, v0, v28
	v_add3_u32 v43, v9, s34, 0x60
	s_delay_alu instid0(VALU_DEP_1)
	v_cndmask_b32_e32 v42, v43, v42, vcc_lo
	global_load_b64 v[42:43], v42, s[20:21] scale_offset
	global_store_b32 v44, v35, s[24:25] scale_offset
	s_wait_loadcnt 0x0
	global_store_b64 v44, v[42:43], s[22:23] scale_offset
	s_wait_xcnt 0x0
	s_or_b32 exec_lo, exec_lo, s15
	s_and_saveexec_b32 s15, s57
	s_cbranch_execz .LBB168_47
.LBB168_110:                            ;   in Loop: Header=BB168_21 Depth=1
	v_add3_u32 v42, v19, s34, 32
	v_add3_u32 v43, v2, s34, 0x60
	;; [unrolled: 1-line block ×3, first 2 shown]
	s_delay_alu instid0(VALU_DEP_2)
	v_cndmask_b32_e32 v42, v43, v42, vcc_lo
	global_load_b64 v[42:43], v42, s[20:21] scale_offset
	global_store_b32 v44, v34, s[24:25] scale_offset
	s_wait_loadcnt 0x0
	global_store_b64 v44, v[42:43], s[22:23] scale_offset
	s_wait_xcnt 0x0
	s_or_b32 exec_lo, exec_lo, s15
	s_and_saveexec_b32 s15, s58
	s_cbranch_execz .LBB168_48
.LBB168_111:                            ;   in Loop: Header=BB168_21 Depth=1
	v_add3_u32 v42, v19, s34, 64
	v_add3_u32 v43, v16, s34, 0x60
	;; [unrolled: 1-line block ×3, first 2 shown]
	s_delay_alu instid0(VALU_DEP_2)
	v_cndmask_b32_e32 v42, v43, v42, vcc_lo
	global_load_b64 v[42:43], v42, s[20:21] scale_offset
	global_store_b32 v44, v36, s[24:25] scale_offset
	s_wait_loadcnt 0x0
	global_store_b64 v44, v[42:43], s[22:23] scale_offset
	s_wait_xcnt 0x0
	s_or_b32 exec_lo, exec_lo, s15
	s_and_saveexec_b32 s15, s59
	s_cbranch_execz .LBB168_49
.LBB168_112:                            ;   in Loop: Header=BB168_21 Depth=1
	v_cndmask_b32_e32 v42, v15, v19, vcc_lo
	v_add3_u32 v44, v0, v28, 0x60
	s_delay_alu instid0(VALU_DEP_2)
	v_add3_u32 v42, v42, s34, 0x60
	global_load_b64 v[42:43], v42, s[20:21] scale_offset
	global_store_b32 v44, v37, s[24:25] scale_offset
	s_wait_loadcnt 0x0
	global_store_b64 v44, v[42:43], s[22:23] scale_offset
	s_wait_xcnt 0x0
	s_or_b32 exec_lo, exec_lo, s15
	s_and_saveexec_b32 s15, s60
	s_cbranch_execz .LBB168_50
.LBB168_113:                            ;   in Loop: Header=BB168_21 Depth=1
	v_add3_u32 v42, v19, s34, 0x80
	v_add3_u32 v43, v14, s34, 0x60
	;; [unrolled: 1-line block ×3, first 2 shown]
	s_delay_alu instid0(VALU_DEP_2)
	v_cndmask_b32_e32 v42, v43, v42, vcc_lo
	global_load_b64 v[42:43], v42, s[20:21] scale_offset
	global_store_b32 v44, v38, s[24:25] scale_offset
	s_wait_loadcnt 0x0
	global_store_b64 v44, v[42:43], s[22:23] scale_offset
	s_wait_xcnt 0x0
	s_or_b32 exec_lo, exec_lo, s15
	s_and_saveexec_b32 s15, s61
	s_cbranch_execz .LBB168_51
.LBB168_114:                            ;   in Loop: Header=BB168_21 Depth=1
	v_add3_u32 v42, v19, s34, 0xa0
	v_add3_u32 v43, v13, s34, 0x60
	;; [unrolled: 1-line block ×3, first 2 shown]
	s_delay_alu instid0(VALU_DEP_2)
	v_cndmask_b32_e32 v42, v43, v42, vcc_lo
	global_load_b64 v[42:43], v42, s[20:21] scale_offset
	global_store_b32 v44, v39, s[24:25] scale_offset
	s_wait_loadcnt 0x0
	global_store_b64 v44, v[42:43], s[22:23] scale_offset
	s_wait_xcnt 0x0
	s_or_b32 exec_lo, exec_lo, s15
	s_and_saveexec_b32 s15, s62
	s_cbranch_execz .LBB168_52
.LBB168_115:                            ;   in Loop: Header=BB168_21 Depth=1
	v_add3_u32 v42, v19, s34, 0xc0
	v_add3_u32 v43, v12, s34, 0x60
	;; [unrolled: 1-line block ×3, first 2 shown]
	s_delay_alu instid0(VALU_DEP_2)
	v_cndmask_b32_e32 v42, v43, v42, vcc_lo
	global_load_b64 v[42:43], v42, s[20:21] scale_offset
	global_store_b32 v44, v40, s[24:25] scale_offset
	s_wait_loadcnt 0x0
	global_store_b64 v44, v[42:43], s[22:23] scale_offset
	s_wait_xcnt 0x0
	s_or_b32 exec_lo, exec_lo, s15
	s_and_saveexec_b32 s15, s6
	s_cbranch_execz .LBB168_53
.LBB168_116:                            ;   in Loop: Header=BB168_21 Depth=1
	v_add3_u32 v42, v19, s34, 0xe0
	v_add3_u32 v43, v11, s34, 0x60
	;; [unrolled: 1-line block ×3, first 2 shown]
	s_delay_alu instid0(VALU_DEP_2)
	v_cndmask_b32_e32 v42, v43, v42, vcc_lo
	global_load_b64 v[42:43], v42, s[20:21] scale_offset
	global_store_b32 v44, v41, s[24:25] scale_offset
	s_wait_loadcnt 0x0
	global_store_b64 v44, v[42:43], s[22:23] scale_offset
	s_wait_xcnt 0x0
	s_or_b32 exec_lo, exec_lo, s15
	s_and_saveexec_b32 s15, s63
	s_cbranch_execz .LBB168_54
.LBB168_117:                            ;   in Loop: Header=BB168_21 Depth=1
	v_dual_add_nc_u32 v42, s34, v20 :: v_dual_add_nc_u32 v44, v0, v27
	v_add3_u32 v43, v9, s34, 0x80
	s_delay_alu instid0(VALU_DEP_1)
	v_cndmask_b32_e32 v42, v43, v42, vcc_lo
	global_load_b64 v[42:43], v42, s[20:21] scale_offset
	global_store_b32 v44, v35, s[24:25] scale_offset
	s_wait_loadcnt 0x0
	global_store_b64 v44, v[42:43], s[22:23] scale_offset
	s_wait_xcnt 0x0
	s_or_b32 exec_lo, exec_lo, s15
	s_and_saveexec_b32 s15, s64
	s_cbranch_execz .LBB168_55
.LBB168_118:                            ;   in Loop: Header=BB168_21 Depth=1
	v_add3_u32 v42, v20, s34, 32
	v_add3_u32 v43, v2, s34, 0x80
	;; [unrolled: 1-line block ×3, first 2 shown]
	s_delay_alu instid0(VALU_DEP_2)
	v_cndmask_b32_e32 v42, v43, v42, vcc_lo
	global_load_b64 v[42:43], v42, s[20:21] scale_offset
	global_store_b32 v44, v34, s[24:25] scale_offset
	s_wait_loadcnt 0x0
	global_store_b64 v44, v[42:43], s[22:23] scale_offset
	s_wait_xcnt 0x0
	s_or_b32 exec_lo, exec_lo, s15
	s_and_saveexec_b32 s15, s65
	s_cbranch_execz .LBB168_56
.LBB168_119:                            ;   in Loop: Header=BB168_21 Depth=1
	v_add3_u32 v42, v20, s34, 64
	v_add3_u32 v43, v16, s34, 0x80
	;; [unrolled: 1-line block ×3, first 2 shown]
	s_delay_alu instid0(VALU_DEP_2)
	v_cndmask_b32_e32 v42, v43, v42, vcc_lo
	global_load_b64 v[42:43], v42, s[20:21] scale_offset
	global_store_b32 v44, v36, s[24:25] scale_offset
	s_wait_loadcnt 0x0
	global_store_b64 v44, v[42:43], s[22:23] scale_offset
	s_wait_xcnt 0x0
	s_or_b32 exec_lo, exec_lo, s15
	s_and_saveexec_b32 s15, s66
	s_cbranch_execz .LBB168_57
.LBB168_120:                            ;   in Loop: Header=BB168_21 Depth=1
	v_add3_u32 v42, v20, s34, 0x60
	v_add3_u32 v43, v15, s34, 0x80
	;; [unrolled: 1-line block ×3, first 2 shown]
	s_delay_alu instid0(VALU_DEP_2)
	v_cndmask_b32_e32 v42, v43, v42, vcc_lo
	global_load_b64 v[42:43], v42, s[20:21] scale_offset
	global_store_b32 v44, v37, s[24:25] scale_offset
	s_wait_loadcnt 0x0
	global_store_b64 v44, v[42:43], s[22:23] scale_offset
	s_wait_xcnt 0x0
	s_or_b32 exec_lo, exec_lo, s15
	s_and_saveexec_b32 s15, s67
	s_cbranch_execz .LBB168_58
.LBB168_121:                            ;   in Loop: Header=BB168_21 Depth=1
	v_cndmask_b32_e32 v42, v14, v20, vcc_lo
	v_add3_u32 v44, v0, v27, 0x80
	s_delay_alu instid0(VALU_DEP_2)
	v_add3_u32 v42, v42, s34, 0x80
	global_load_b64 v[42:43], v42, s[20:21] scale_offset
	global_store_b32 v44, v38, s[24:25] scale_offset
	s_wait_loadcnt 0x0
	global_store_b64 v44, v[42:43], s[22:23] scale_offset
	s_wait_xcnt 0x0
	s_or_b32 exec_lo, exec_lo, s15
	s_and_saveexec_b32 s15, s68
	s_cbranch_execz .LBB168_59
.LBB168_122:                            ;   in Loop: Header=BB168_21 Depth=1
	v_add3_u32 v42, v20, s34, 0xa0
	v_add3_u32 v43, v13, s34, 0x80
	;; [unrolled: 1-line block ×3, first 2 shown]
	s_delay_alu instid0(VALU_DEP_2)
	v_cndmask_b32_e32 v42, v43, v42, vcc_lo
	global_load_b64 v[42:43], v42, s[20:21] scale_offset
	global_store_b32 v44, v39, s[24:25] scale_offset
	s_wait_loadcnt 0x0
	global_store_b64 v44, v[42:43], s[22:23] scale_offset
	s_wait_xcnt 0x0
	s_or_b32 exec_lo, exec_lo, s15
	s_and_saveexec_b32 s15, s69
	s_cbranch_execz .LBB168_60
.LBB168_123:                            ;   in Loop: Header=BB168_21 Depth=1
	v_add3_u32 v42, v20, s34, 0xc0
	v_add3_u32 v43, v12, s34, 0x80
	;; [unrolled: 1-line block ×3, first 2 shown]
	s_delay_alu instid0(VALU_DEP_2)
	v_cndmask_b32_e32 v42, v43, v42, vcc_lo
	global_load_b64 v[42:43], v42, s[20:21] scale_offset
	global_store_b32 v44, v40, s[24:25] scale_offset
	s_wait_loadcnt 0x0
	global_store_b64 v44, v[42:43], s[22:23] scale_offset
	s_wait_xcnt 0x0
	s_or_b32 exec_lo, exec_lo, s15
	s_and_saveexec_b32 s15, s7
	s_cbranch_execz .LBB168_61
.LBB168_124:                            ;   in Loop: Header=BB168_21 Depth=1
	v_add3_u32 v42, v20, s34, 0xe0
	v_add3_u32 v43, v11, s34, 0x80
	;; [unrolled: 1-line block ×3, first 2 shown]
	s_delay_alu instid0(VALU_DEP_2)
	v_cndmask_b32_e32 v42, v43, v42, vcc_lo
	global_load_b64 v[42:43], v42, s[20:21] scale_offset
	global_store_b32 v44, v41, s[24:25] scale_offset
	s_wait_loadcnt 0x0
	global_store_b64 v44, v[42:43], s[22:23] scale_offset
	s_wait_xcnt 0x0
	s_or_b32 exec_lo, exec_lo, s15
	s_and_saveexec_b32 s15, s70
	s_cbranch_execz .LBB168_62
.LBB168_125:                            ;   in Loop: Header=BB168_21 Depth=1
	v_dual_add_nc_u32 v42, s34, v21 :: v_dual_add_nc_u32 v44, v0, v26
	v_add3_u32 v43, v9, s34, 0xa0
	s_delay_alu instid0(VALU_DEP_1)
	v_cndmask_b32_e32 v42, v43, v42, vcc_lo
	global_load_b64 v[42:43], v42, s[20:21] scale_offset
	global_store_b32 v44, v35, s[24:25] scale_offset
	s_wait_loadcnt 0x0
	global_store_b64 v44, v[42:43], s[22:23] scale_offset
	s_wait_xcnt 0x0
	s_or_b32 exec_lo, exec_lo, s15
	s_and_saveexec_b32 s15, s71
	s_cbranch_execz .LBB168_63
.LBB168_126:                            ;   in Loop: Header=BB168_21 Depth=1
	v_add3_u32 v42, v21, s34, 32
	v_add3_u32 v43, v2, s34, 0xa0
	;; [unrolled: 1-line block ×3, first 2 shown]
	s_delay_alu instid0(VALU_DEP_2)
	v_cndmask_b32_e32 v42, v43, v42, vcc_lo
	global_load_b64 v[42:43], v42, s[20:21] scale_offset
	global_store_b32 v44, v34, s[24:25] scale_offset
	s_wait_loadcnt 0x0
	global_store_b64 v44, v[42:43], s[22:23] scale_offset
	s_wait_xcnt 0x0
	s_or_b32 exec_lo, exec_lo, s15
	s_and_saveexec_b32 s15, s72
	s_cbranch_execz .LBB168_64
.LBB168_127:                            ;   in Loop: Header=BB168_21 Depth=1
	v_add3_u32 v42, v21, s34, 64
	v_add3_u32 v43, v16, s34, 0xa0
	;; [unrolled: 1-line block ×3, first 2 shown]
	s_delay_alu instid0(VALU_DEP_2)
	v_cndmask_b32_e32 v42, v43, v42, vcc_lo
	global_load_b64 v[42:43], v42, s[20:21] scale_offset
	global_store_b32 v44, v36, s[24:25] scale_offset
	s_wait_loadcnt 0x0
	global_store_b64 v44, v[42:43], s[22:23] scale_offset
	s_wait_xcnt 0x0
	s_or_b32 exec_lo, exec_lo, s15
	s_and_saveexec_b32 s15, s73
	s_cbranch_execz .LBB168_65
.LBB168_128:                            ;   in Loop: Header=BB168_21 Depth=1
	v_add3_u32 v42, v21, s34, 0x60
	v_add3_u32 v43, v15, s34, 0xa0
	;; [unrolled: 1-line block ×3, first 2 shown]
	s_delay_alu instid0(VALU_DEP_2)
	v_cndmask_b32_e32 v42, v43, v42, vcc_lo
	global_load_b64 v[42:43], v42, s[20:21] scale_offset
	global_store_b32 v44, v37, s[24:25] scale_offset
	s_wait_loadcnt 0x0
	global_store_b64 v44, v[42:43], s[22:23] scale_offset
	s_wait_xcnt 0x0
	s_or_b32 exec_lo, exec_lo, s15
	s_and_saveexec_b32 s15, s74
	s_cbranch_execz .LBB168_66
.LBB168_129:                            ;   in Loop: Header=BB168_21 Depth=1
	v_add3_u32 v42, v21, s34, 0x80
	v_add3_u32 v43, v14, s34, 0xa0
	;; [unrolled: 1-line block ×3, first 2 shown]
	s_delay_alu instid0(VALU_DEP_2)
	v_cndmask_b32_e32 v42, v43, v42, vcc_lo
	global_load_b64 v[42:43], v42, s[20:21] scale_offset
	global_store_b32 v44, v38, s[24:25] scale_offset
	s_wait_loadcnt 0x0
	global_store_b64 v44, v[42:43], s[22:23] scale_offset
	s_wait_xcnt 0x0
	s_or_b32 exec_lo, exec_lo, s15
	s_and_saveexec_b32 s15, s75
	s_cbranch_execz .LBB168_67
.LBB168_130:                            ;   in Loop: Header=BB168_21 Depth=1
	v_cndmask_b32_e32 v42, v13, v21, vcc_lo
	v_add3_u32 v44, v0, v26, 0xa0
	s_delay_alu instid0(VALU_DEP_2)
	v_add3_u32 v42, v42, s34, 0xa0
	global_load_b64 v[42:43], v42, s[20:21] scale_offset
	global_store_b32 v44, v39, s[24:25] scale_offset
	s_wait_loadcnt 0x0
	global_store_b64 v44, v[42:43], s[22:23] scale_offset
	s_wait_xcnt 0x0
	s_or_b32 exec_lo, exec_lo, s15
	s_and_saveexec_b32 s15, s76
	s_cbranch_execz .LBB168_68
.LBB168_131:                            ;   in Loop: Header=BB168_21 Depth=1
	v_add3_u32 v42, v21, s34, 0xc0
	v_add3_u32 v43, v12, s34, 0xa0
	;; [unrolled: 1-line block ×3, first 2 shown]
	s_delay_alu instid0(VALU_DEP_2)
	v_cndmask_b32_e32 v42, v43, v42, vcc_lo
	global_load_b64 v[42:43], v42, s[20:21] scale_offset
	global_store_b32 v44, v40, s[24:25] scale_offset
	s_wait_loadcnt 0x0
	global_store_b64 v44, v[42:43], s[22:23] scale_offset
	s_wait_xcnt 0x0
	s_or_b32 exec_lo, exec_lo, s15
	s_and_saveexec_b32 s15, s8
	s_cbranch_execz .LBB168_69
.LBB168_132:                            ;   in Loop: Header=BB168_21 Depth=1
	v_add3_u32 v42, v21, s34, 0xe0
	v_add3_u32 v43, v11, s34, 0xa0
	;; [unrolled: 1-line block ×3, first 2 shown]
	s_delay_alu instid0(VALU_DEP_2)
	v_cndmask_b32_e32 v42, v43, v42, vcc_lo
	global_load_b64 v[42:43], v42, s[20:21] scale_offset
	global_store_b32 v44, v41, s[24:25] scale_offset
	s_wait_loadcnt 0x0
	global_store_b64 v44, v[42:43], s[22:23] scale_offset
	s_wait_xcnt 0x0
	s_or_b32 exec_lo, exec_lo, s15
	s_and_saveexec_b32 s15, s77
	s_cbranch_execz .LBB168_70
.LBB168_133:                            ;   in Loop: Header=BB168_21 Depth=1
	v_dual_add_nc_u32 v42, s34, v22 :: v_dual_add_nc_u32 v44, v0, v25
	v_add3_u32 v43, v9, s34, 0xc0
	s_delay_alu instid0(VALU_DEP_1)
	v_cndmask_b32_e32 v42, v43, v42, vcc_lo
	global_load_b64 v[42:43], v42, s[20:21] scale_offset
	global_store_b32 v44, v35, s[24:25] scale_offset
	s_wait_loadcnt 0x0
	global_store_b64 v44, v[42:43], s[22:23] scale_offset
	s_wait_xcnt 0x0
	s_or_b32 exec_lo, exec_lo, s15
	s_and_saveexec_b32 s15, s78
	s_cbranch_execz .LBB168_71
.LBB168_134:                            ;   in Loop: Header=BB168_21 Depth=1
	v_add3_u32 v42, v22, s34, 32
	v_add3_u32 v43, v2, s34, 0xc0
	;; [unrolled: 1-line block ×3, first 2 shown]
	s_delay_alu instid0(VALU_DEP_2)
	v_cndmask_b32_e32 v42, v43, v42, vcc_lo
	global_load_b64 v[42:43], v42, s[20:21] scale_offset
	global_store_b32 v44, v34, s[24:25] scale_offset
	s_wait_loadcnt 0x0
	global_store_b64 v44, v[42:43], s[22:23] scale_offset
	s_wait_xcnt 0x0
	s_or_b32 exec_lo, exec_lo, s15
	s_and_saveexec_b32 s15, s79
	s_cbranch_execz .LBB168_72
.LBB168_135:                            ;   in Loop: Header=BB168_21 Depth=1
	v_add3_u32 v42, v22, s34, 64
	v_add3_u32 v43, v16, s34, 0xc0
	;; [unrolled: 1-line block ×3, first 2 shown]
	s_delay_alu instid0(VALU_DEP_2)
	v_cndmask_b32_e32 v42, v43, v42, vcc_lo
	global_load_b64 v[42:43], v42, s[20:21] scale_offset
	global_store_b32 v44, v36, s[24:25] scale_offset
	s_wait_loadcnt 0x0
	global_store_b64 v44, v[42:43], s[22:23] scale_offset
	s_wait_xcnt 0x0
	s_or_b32 exec_lo, exec_lo, s15
	s_and_saveexec_b32 s15, s80
	s_cbranch_execz .LBB168_73
.LBB168_136:                            ;   in Loop: Header=BB168_21 Depth=1
	v_add3_u32 v42, v22, s34, 0x60
	v_add3_u32 v43, v15, s34, 0xc0
	;; [unrolled: 1-line block ×3, first 2 shown]
	s_delay_alu instid0(VALU_DEP_2)
	v_cndmask_b32_e32 v42, v43, v42, vcc_lo
	global_load_b64 v[42:43], v42, s[20:21] scale_offset
	global_store_b32 v44, v37, s[24:25] scale_offset
	s_wait_loadcnt 0x0
	global_store_b64 v44, v[42:43], s[22:23] scale_offset
	s_wait_xcnt 0x0
	s_or_b32 exec_lo, exec_lo, s15
	s_and_saveexec_b32 s15, s81
	s_cbranch_execz .LBB168_74
.LBB168_137:                            ;   in Loop: Header=BB168_21 Depth=1
	v_add3_u32 v42, v22, s34, 0x80
	v_add3_u32 v43, v14, s34, 0xc0
	;; [unrolled: 1-line block ×3, first 2 shown]
	s_delay_alu instid0(VALU_DEP_2)
	v_cndmask_b32_e32 v42, v43, v42, vcc_lo
	global_load_b64 v[42:43], v42, s[20:21] scale_offset
	global_store_b32 v44, v38, s[24:25] scale_offset
	s_wait_loadcnt 0x0
	global_store_b64 v44, v[42:43], s[22:23] scale_offset
	s_wait_xcnt 0x0
	s_or_b32 exec_lo, exec_lo, s15
	s_and_saveexec_b32 s15, s82
	s_cbranch_execz .LBB168_75
.LBB168_138:                            ;   in Loop: Header=BB168_21 Depth=1
	v_add3_u32 v42, v22, s34, 0xa0
	v_add3_u32 v43, v13, s34, 0xc0
	;; [unrolled: 1-line block ×3, first 2 shown]
	s_delay_alu instid0(VALU_DEP_2)
	v_cndmask_b32_e32 v42, v43, v42, vcc_lo
	global_load_b64 v[42:43], v42, s[20:21] scale_offset
	global_store_b32 v44, v39, s[24:25] scale_offset
	s_wait_loadcnt 0x0
	global_store_b64 v44, v[42:43], s[22:23] scale_offset
	s_wait_xcnt 0x0
	s_or_b32 exec_lo, exec_lo, s15
	s_and_saveexec_b32 s15, s83
	s_cbranch_execz .LBB168_76
.LBB168_139:                            ;   in Loop: Header=BB168_21 Depth=1
	v_cndmask_b32_e32 v42, v12, v22, vcc_lo
	v_add3_u32 v44, v0, v25, 0xc0
	s_delay_alu instid0(VALU_DEP_2)
	v_add3_u32 v42, v42, s34, 0xc0
	global_load_b64 v[42:43], v42, s[20:21] scale_offset
	global_store_b32 v44, v40, s[24:25] scale_offset
	s_wait_loadcnt 0x0
	global_store_b64 v44, v[42:43], s[22:23] scale_offset
	s_wait_xcnt 0x0
	s_or_b32 exec_lo, exec_lo, s15
	s_and_saveexec_b32 s15, s9
	s_cbranch_execz .LBB168_77
.LBB168_140:                            ;   in Loop: Header=BB168_21 Depth=1
	v_add3_u32 v42, v22, s34, 0xe0
	v_add3_u32 v43, v11, s34, 0xc0
	;; [unrolled: 1-line block ×3, first 2 shown]
	s_delay_alu instid0(VALU_DEP_2)
	v_cndmask_b32_e32 v42, v43, v42, vcc_lo
	global_load_b64 v[42:43], v42, s[20:21] scale_offset
	global_store_b32 v44, v41, s[24:25] scale_offset
	s_wait_loadcnt 0x0
	global_store_b64 v44, v[42:43], s[22:23] scale_offset
	s_wait_xcnt 0x0
	s_or_b32 exec_lo, exec_lo, s15
	s_and_saveexec_b32 s15, s84
	s_cbranch_execz .LBB168_78
.LBB168_141:                            ;   in Loop: Header=BB168_21 Depth=1
	v_dual_add_nc_u32 v42, s34, v23 :: v_dual_add_nc_u32 v44, v0, v24
	v_add3_u32 v43, v9, s34, 0xe0
	s_delay_alu instid0(VALU_DEP_1)
	v_cndmask_b32_e32 v42, v43, v42, vcc_lo
	global_load_b64 v[42:43], v42, s[20:21] scale_offset
	global_store_b32 v44, v35, s[24:25] scale_offset
	s_wait_loadcnt 0x0
	global_store_b64 v44, v[42:43], s[22:23] scale_offset
	s_wait_xcnt 0x0
	s_or_b32 exec_lo, exec_lo, s15
	s_and_saveexec_b32 s15, s85
	s_cbranch_execz .LBB168_79
.LBB168_142:                            ;   in Loop: Header=BB168_21 Depth=1
	v_add3_u32 v35, v23, s34, 32
	v_add3_u32 v42, v2, s34, 0xe0
	s_delay_alu instid0(VALU_DEP_1)
	v_cndmask_b32_e32 v35, v42, v35, vcc_lo
	global_load_b64 v[42:43], v35, s[20:21] scale_offset
	s_wait_xcnt 0x0
	v_add3_u32 v35, v0, v24, 32
	global_store_b32 v35, v34, s[24:25] scale_offset
	s_wait_loadcnt 0x0
	global_store_b64 v35, v[42:43], s[22:23] scale_offset
	s_wait_xcnt 0x0
	s_or_b32 exec_lo, exec_lo, s15
	s_and_saveexec_b32 s15, s10
	s_cbranch_execz .LBB168_80
.LBB168_143:                            ;   in Loop: Header=BB168_21 Depth=1
	v_add3_u32 v34, v23, s34, 64
	v_add3_u32 v35, v16, s34, 0xe0
	;; [unrolled: 1-line block ×3, first 2 shown]
	s_delay_alu instid0(VALU_DEP_2)
	v_cndmask_b32_e32 v34, v35, v34, vcc_lo
	global_load_b64 v[34:35], v34, s[20:21] scale_offset
	global_store_b32 v42, v36, s[24:25] scale_offset
	s_wait_loadcnt 0x0
	global_store_b64 v42, v[34:35], s[22:23] scale_offset
	s_wait_xcnt 0x0
	s_or_b32 exec_lo, exec_lo, s15
	s_and_saveexec_b32 s15, s11
	s_cbranch_execz .LBB168_81
.LBB168_144:                            ;   in Loop: Header=BB168_21 Depth=1
	v_add3_u32 v34, v23, s34, 0x60
	v_add3_u32 v35, v15, s34, 0xe0
	;; [unrolled: 1-line block ×3, first 2 shown]
	s_delay_alu instid0(VALU_DEP_2)
	v_cndmask_b32_e32 v34, v35, v34, vcc_lo
	global_load_b64 v[34:35], v34, s[20:21] scale_offset
	global_store_b32 v36, v37, s[24:25] scale_offset
	s_wait_loadcnt 0x0
	global_store_b64 v36, v[34:35], s[22:23] scale_offset
	s_wait_xcnt 0x0
	s_or_b32 exec_lo, exec_lo, s15
	s_and_saveexec_b32 s15, s12
	s_cbranch_execz .LBB168_82
.LBB168_145:                            ;   in Loop: Header=BB168_21 Depth=1
	v_add3_u32 v34, v23, s34, 0x80
	v_add3_u32 v35, v14, s34, 0xe0
	;; [unrolled: 1-line block ×3, first 2 shown]
	s_delay_alu instid0(VALU_DEP_2)
	v_cndmask_b32_e32 v34, v35, v34, vcc_lo
	global_load_b64 v[34:35], v34, s[20:21] scale_offset
	global_store_b32 v36, v38, s[24:25] scale_offset
	s_wait_loadcnt 0x0
	global_store_b64 v36, v[34:35], s[22:23] scale_offset
	s_wait_xcnt 0x0
	s_or_b32 exec_lo, exec_lo, s15
	s_and_saveexec_b32 s15, s13
	s_cbranch_execz .LBB168_83
.LBB168_146:                            ;   in Loop: Header=BB168_21 Depth=1
	v_add3_u32 v34, v23, s34, 0xa0
	v_add3_u32 v35, v13, s34, 0xe0
	;; [unrolled: 1-line block ×3, first 2 shown]
	s_delay_alu instid0(VALU_DEP_2)
	v_cndmask_b32_e32 v34, v35, v34, vcc_lo
	global_load_b64 v[34:35], v34, s[20:21] scale_offset
	global_store_b32 v36, v39, s[24:25] scale_offset
	s_wait_loadcnt 0x0
	global_store_b64 v36, v[34:35], s[22:23] scale_offset
	s_wait_xcnt 0x0
	s_or_b32 exec_lo, exec_lo, s15
	s_and_saveexec_b32 s15, s14
	s_cbranch_execz .LBB168_84
.LBB168_147:                            ;   in Loop: Header=BB168_21 Depth=1
	v_add3_u32 v34, v23, s34, 0xc0
	v_add3_u32 v35, v12, s34, 0xe0
	v_add3_u32 v36, v0, v24, 0xc0
	s_delay_alu instid0(VALU_DEP_2)
	v_cndmask_b32_e32 v34, v35, v34, vcc_lo
	global_load_b64 v[34:35], v34, s[20:21] scale_offset
	global_store_b32 v36, v40, s[24:25] scale_offset
	s_wait_loadcnt 0x0
	global_store_b64 v36, v[34:35], s[22:23] scale_offset
	s_wait_xcnt 0x0
	s_or_b32 exec_lo, exec_lo, s15
	s_and_saveexec_b32 s15, s4
	s_cbranch_execz .LBB168_20
.LBB168_148:                            ;   in Loop: Header=BB168_21 Depth=1
	v_cndmask_b32_e32 v34, v11, v23, vcc_lo
	v_add3_u32 v36, v0, v24, 0xe0
	s_delay_alu instid0(VALU_DEP_2)
	v_add3_u32 v34, v34, s34, 0xe0
	global_load_b64 v[34:35], v34, s[20:21] scale_offset
	global_store_b32 v36, v41, s[24:25] scale_offset
	s_wait_loadcnt 0x0
	global_store_b64 v36, v[34:35], s[22:23] scale_offset
	s_branch .LBB168_20
.LBB168_149:
	s_endpgm
	.section	.rodata,"a",@progbits
	.p2align	6, 0x0
	.amdhsa_kernel _ZN9rocsparseL35bsr2csr_block_per_row_33_256_kernelILj1024ELj256ELj32E21rocsparse_complex_numIfEiiEEv20rocsparse_direction_T4_S4_21rocsparse_index_base_PKT2_PKT3_PKS4_S4_S5_PS6_PS9_PS4_
		.amdhsa_group_segment_fixed_size 0
		.amdhsa_private_segment_fixed_size 0
		.amdhsa_kernarg_size 72
		.amdhsa_user_sgpr_count 2
		.amdhsa_user_sgpr_dispatch_ptr 0
		.amdhsa_user_sgpr_queue_ptr 0
		.amdhsa_user_sgpr_kernarg_segment_ptr 1
		.amdhsa_user_sgpr_dispatch_id 0
		.amdhsa_user_sgpr_kernarg_preload_length 0
		.amdhsa_user_sgpr_kernarg_preload_offset 0
		.amdhsa_user_sgpr_private_segment_size 0
		.amdhsa_wavefront_size32 1
		.amdhsa_uses_dynamic_stack 0
		.amdhsa_enable_private_segment 0
		.amdhsa_system_sgpr_workgroup_id_x 1
		.amdhsa_system_sgpr_workgroup_id_y 0
		.amdhsa_system_sgpr_workgroup_id_z 0
		.amdhsa_system_sgpr_workgroup_info 0
		.amdhsa_system_vgpr_workitem_id 0
		.amdhsa_next_free_vgpr 45
		.amdhsa_next_free_sgpr 87
		.amdhsa_named_barrier_count 0
		.amdhsa_reserve_vcc 1
		.amdhsa_float_round_mode_32 0
		.amdhsa_float_round_mode_16_64 0
		.amdhsa_float_denorm_mode_32 3
		.amdhsa_float_denorm_mode_16_64 3
		.amdhsa_fp16_overflow 0
		.amdhsa_memory_ordered 1
		.amdhsa_forward_progress 1
		.amdhsa_inst_pref_size 68
		.amdhsa_round_robin_scheduling 0
		.amdhsa_exception_fp_ieee_invalid_op 0
		.amdhsa_exception_fp_denorm_src 0
		.amdhsa_exception_fp_ieee_div_zero 0
		.amdhsa_exception_fp_ieee_overflow 0
		.amdhsa_exception_fp_ieee_underflow 0
		.amdhsa_exception_fp_ieee_inexact 0
		.amdhsa_exception_int_div_zero 0
	.end_amdhsa_kernel
	.section	.text._ZN9rocsparseL35bsr2csr_block_per_row_33_256_kernelILj1024ELj256ELj32E21rocsparse_complex_numIfEiiEEv20rocsparse_direction_T4_S4_21rocsparse_index_base_PKT2_PKT3_PKS4_S4_S5_PS6_PS9_PS4_,"axG",@progbits,_ZN9rocsparseL35bsr2csr_block_per_row_33_256_kernelILj1024ELj256ELj32E21rocsparse_complex_numIfEiiEEv20rocsparse_direction_T4_S4_21rocsparse_index_base_PKT2_PKT3_PKS4_S4_S5_PS6_PS9_PS4_,comdat
.Lfunc_end168:
	.size	_ZN9rocsparseL35bsr2csr_block_per_row_33_256_kernelILj1024ELj256ELj32E21rocsparse_complex_numIfEiiEEv20rocsparse_direction_T4_S4_21rocsparse_index_base_PKT2_PKT3_PKS4_S4_S5_PS6_PS9_PS4_, .Lfunc_end168-_ZN9rocsparseL35bsr2csr_block_per_row_33_256_kernelILj1024ELj256ELj32E21rocsparse_complex_numIfEiiEEv20rocsparse_direction_T4_S4_21rocsparse_index_base_PKT2_PKT3_PKS4_S4_S5_PS6_PS9_PS4_
                                        ; -- End function
	.set _ZN9rocsparseL35bsr2csr_block_per_row_33_256_kernelILj1024ELj256ELj32E21rocsparse_complex_numIfEiiEEv20rocsparse_direction_T4_S4_21rocsparse_index_base_PKT2_PKT3_PKS4_S4_S5_PS6_PS9_PS4_.num_vgpr, 45
	.set _ZN9rocsparseL35bsr2csr_block_per_row_33_256_kernelILj1024ELj256ELj32E21rocsparse_complex_numIfEiiEEv20rocsparse_direction_T4_S4_21rocsparse_index_base_PKT2_PKT3_PKS4_S4_S5_PS6_PS9_PS4_.num_agpr, 0
	.set _ZN9rocsparseL35bsr2csr_block_per_row_33_256_kernelILj1024ELj256ELj32E21rocsparse_complex_numIfEiiEEv20rocsparse_direction_T4_S4_21rocsparse_index_base_PKT2_PKT3_PKS4_S4_S5_PS6_PS9_PS4_.numbered_sgpr, 87
	.set _ZN9rocsparseL35bsr2csr_block_per_row_33_256_kernelILj1024ELj256ELj32E21rocsparse_complex_numIfEiiEEv20rocsparse_direction_T4_S4_21rocsparse_index_base_PKT2_PKT3_PKS4_S4_S5_PS6_PS9_PS4_.num_named_barrier, 0
	.set _ZN9rocsparseL35bsr2csr_block_per_row_33_256_kernelILj1024ELj256ELj32E21rocsparse_complex_numIfEiiEEv20rocsparse_direction_T4_S4_21rocsparse_index_base_PKT2_PKT3_PKS4_S4_S5_PS6_PS9_PS4_.private_seg_size, 0
	.set _ZN9rocsparseL35bsr2csr_block_per_row_33_256_kernelILj1024ELj256ELj32E21rocsparse_complex_numIfEiiEEv20rocsparse_direction_T4_S4_21rocsparse_index_base_PKT2_PKT3_PKS4_S4_S5_PS6_PS9_PS4_.uses_vcc, 1
	.set _ZN9rocsparseL35bsr2csr_block_per_row_33_256_kernelILj1024ELj256ELj32E21rocsparse_complex_numIfEiiEEv20rocsparse_direction_T4_S4_21rocsparse_index_base_PKT2_PKT3_PKS4_S4_S5_PS6_PS9_PS4_.uses_flat_scratch, 0
	.set _ZN9rocsparseL35bsr2csr_block_per_row_33_256_kernelILj1024ELj256ELj32E21rocsparse_complex_numIfEiiEEv20rocsparse_direction_T4_S4_21rocsparse_index_base_PKT2_PKT3_PKS4_S4_S5_PS6_PS9_PS4_.has_dyn_sized_stack, 0
	.set _ZN9rocsparseL35bsr2csr_block_per_row_33_256_kernelILj1024ELj256ELj32E21rocsparse_complex_numIfEiiEEv20rocsparse_direction_T4_S4_21rocsparse_index_base_PKT2_PKT3_PKS4_S4_S5_PS6_PS9_PS4_.has_recursion, 0
	.set _ZN9rocsparseL35bsr2csr_block_per_row_33_256_kernelILj1024ELj256ELj32E21rocsparse_complex_numIfEiiEEv20rocsparse_direction_T4_S4_21rocsparse_index_base_PKT2_PKT3_PKS4_S4_S5_PS6_PS9_PS4_.has_indirect_call, 0
	.section	.AMDGPU.csdata,"",@progbits
; Kernel info:
; codeLenInByte = 8628
; TotalNumSgprs: 89
; NumVgprs: 45
; ScratchSize: 0
; MemoryBound: 0
; FloatMode: 240
; IeeeMode: 1
; LDSByteSize: 0 bytes/workgroup (compile time only)
; SGPRBlocks: 0
; VGPRBlocks: 2
; NumSGPRsForWavesPerEU: 89
; NumVGPRsForWavesPerEU: 45
; NamedBarCnt: 0
; Occupancy: 16
; WaveLimiterHint : 1
; COMPUTE_PGM_RSRC2:SCRATCH_EN: 0
; COMPUTE_PGM_RSRC2:USER_SGPR: 2
; COMPUTE_PGM_RSRC2:TRAP_HANDLER: 0
; COMPUTE_PGM_RSRC2:TGID_X_EN: 1
; COMPUTE_PGM_RSRC2:TGID_Y_EN: 0
; COMPUTE_PGM_RSRC2:TGID_Z_EN: 0
; COMPUTE_PGM_RSRC2:TIDIG_COMP_CNT: 0
	.section	.text._ZN9rocsparseL35bsr2csr_block_dim_equals_one_kernelILj1024E21rocsparse_complex_numIfEliEEvT2_S3_21rocsparse_index_base_PKT0_PKT1_PKS3_S4_PS5_PS8_PS3_,"axG",@progbits,_ZN9rocsparseL35bsr2csr_block_dim_equals_one_kernelILj1024E21rocsparse_complex_numIfEliEEvT2_S3_21rocsparse_index_base_PKT0_PKT1_PKS3_S4_PS5_PS8_PS3_,comdat
	.globl	_ZN9rocsparseL35bsr2csr_block_dim_equals_one_kernelILj1024E21rocsparse_complex_numIfEliEEvT2_S3_21rocsparse_index_base_PKT0_PKT1_PKS3_S4_PS5_PS8_PS3_ ; -- Begin function _ZN9rocsparseL35bsr2csr_block_dim_equals_one_kernelILj1024E21rocsparse_complex_numIfEliEEvT2_S3_21rocsparse_index_base_PKT0_PKT1_PKS3_S4_PS5_PS8_PS3_
	.p2align	8
	.type	_ZN9rocsparseL35bsr2csr_block_dim_equals_one_kernelILj1024E21rocsparse_complex_numIfEliEEvT2_S3_21rocsparse_index_base_PKT0_PKT1_PKS3_S4_PS5_PS8_PS3_,@function
_ZN9rocsparseL35bsr2csr_block_dim_equals_one_kernelILj1024E21rocsparse_complex_numIfEliEEvT2_S3_21rocsparse_index_base_PKT0_PKT1_PKS3_S4_PS5_PS8_PS3_: ; @_ZN9rocsparseL35bsr2csr_block_dim_equals_one_kernelILj1024E21rocsparse_complex_numIfEliEEvT2_S3_21rocsparse_index_base_PKT0_PKT1_PKS3_S4_PS5_PS8_PS3_
; %bb.0:
	s_bfe_u32 s3, ttmp6, 0x4000c
	s_clause 0x1
	s_load_b32 s2, s[0:1], 0x0
	s_load_b64 s[4:5], s[0:1], 0x18
	s_add_co_i32 s3, s3, 1
	s_and_b32 s6, ttmp6, 15
	s_mul_i32 s3, ttmp9, s3
	s_getreg_b32 s7, hwreg(HW_REG_IB_STS2, 6, 4)
	s_add_co_i32 s6, s6, s3
	s_cmp_eq_u32 s7, 0
	s_cselect_b32 s3, ttmp9, s6
	s_delay_alu instid0(SALU_CYCLE_1) | instskip(SKIP_2) | instid1(VALU_DEP_1)
	s_lshl_b32 s18, s3, 10
	s_mov_b32 s3, exec_lo
	v_or_b32_e32 v2, s18, v0
	v_ashrrev_i32_e32 v3, 31, v2
	s_wait_kmcnt 0x0
	v_cmpx_le_i32_e64 s2, v2
	s_xor_b32 s3, exec_lo, s3
	s_delay_alu instid0(SALU_CYCLE_1)
	s_or_saveexec_b32 s3, s3
	s_clause 0x1
	s_load_b32 s6, s[0:1], 0x8
	s_load_b32 s8, s[0:1], 0x28
	s_xor_b32 exec_lo, exec_lo, s3
	s_cbranch_execz .LBB169_6
; %bb.1:
	s_load_b64 s[10:11], s[0:1], 0x38
	s_mov_b32 s7, 0
                                        ; implicit-def: $sgpr12_sgpr13
	s_mov_b32 s9, exec_lo
	v_cmpx_ne_u32_e32 0, v2
	s_xor_b32 s14, exec_lo, s9
	s_cbranch_execz .LBB169_3
; %bb.2:
	s_mov_b32 s9, s7
	s_wait_kmcnt 0x0
	s_sub_nc_u64 s[12:13], s[8:9], s[6:7]
.LBB169_3:
	s_or_saveexec_b32 s14, s14
	v_mov_b64_e32 v[4:5], s[12:13]
	s_xor_b32 exec_lo, exec_lo, s14
	s_cbranch_execz .LBB169_5
; %bb.4:
	s_load_b64 s[12:13], s[4:5], 0x0
	s_mov_b32 s9, 0
	v_mov_b32_e32 v1, 0
	s_mov_b32 s7, s9
	s_wait_kmcnt 0x0
	s_sub_nc_u64 s[16:17], s[8:9], s[6:7]
	s_delay_alu instid0(SALU_CYCLE_1) | instskip(SKIP_1) | instid1(SALU_CYCLE_1)
	v_mov_b64_e32 v[4:5], s[16:17]
	s_add_nc_u64 s[12:13], s[16:17], s[12:13]
	v_mov_b64_e32 v[6:7], s[12:13]
	global_store_b64 v1, v[6:7], s[10:11]
.LBB169_5:
	s_wait_xcnt 0x0
	s_or_b32 exec_lo, exec_lo, s14
	global_load_b64 v[6:7], v2, s[4:5] offset:8 scale_offset
	s_wait_loadcnt 0x0
	v_add_nc_u64_e32 v[4:5], v[4:5], v[6:7]
	s_wait_kmcnt 0x0
	global_store_b64 v2, v[4:5], s[10:11] offset:8 scale_offset
.LBB169_6:
	s_wait_xcnt 0x0
	s_or_b32 exec_lo, exec_lo, s3
	s_ashr_i32 s3, s2, 31
	s_clause 0x3
	s_load_b64 s[10:11], s[0:1], 0x40
	s_load_b64 s[12:13], s[0:1], 0x10
	;; [unrolled: 1-line block ×4, first 2 shown]
	s_lshl_b64 s[2:3], s[2:3], 3
	s_delay_alu instid0(SALU_CYCLE_1)
	s_add_nc_u64 s[2:3], s[4:5], s[2:3]
	s_clause 0x1
	s_load_b64 s[20:21], s[2:3], 0x0
	s_load_b64 s[22:23], s[4:5], 0x0
	s_wait_xcnt 0x0
	s_mov_b32 s4, exec_lo
	s_wait_kmcnt 0x0
	s_sub_nc_u64 s[2:3], s[20:21], s[22:23]
	s_delay_alu instid0(SALU_CYCLE_1)
	v_cmpx_gt_i64_e64 s[2:3], v[2:3]
	s_cbranch_execz .LBB169_9
; %bb.7:
	s_load_b32 s0, s[0:1], 0x48
	s_wait_xcnt 0x0
	s_sub_co_i32 s1, s8, s6
	s_mov_b32 s4, 0
	s_wait_kmcnt 0x0
	s_lshl_b32 s0, s0, 10
	s_delay_alu instid0(SALU_CYCLE_1)
	v_add3_u32 v0, s0, s18, v0
.LBB169_8:                              ; =>This Inner Loop Header: Depth=1
	v_lshlrev_b64_e32 v[4:5], 2, v[2:3]
	v_lshlrev_b64_e32 v[2:3], 3, v[2:3]
	s_delay_alu instid0(VALU_DEP_3) | instskip(NEXT) | instid1(VALU_DEP_1)
	v_ashrrev_i32_e32 v1, 31, v0
	v_cmp_le_i64_e32 vcc_lo, s[2:3], v[0:1]
	s_delay_alu instid0(VALU_DEP_4) | instskip(NEXT) | instid1(VALU_DEP_4)
	v_add_nc_u64_e32 v[6:7], s[14:15], v[4:5]
	v_add_nc_u64_e32 v[8:9], s[12:13], v[2:3]
	;; [unrolled: 1-line block ×3, first 2 shown]
	global_load_b32 v12, v[6:7], off
	global_load_b64 v[10:11], v[8:9], off
	s_wait_xcnt 0x1
	v_add_nc_u64_e32 v[6:7], s[16:17], v[2:3]
	v_mov_b64_e32 v[2:3], v[0:1]
	v_add_nc_u32_e32 v0, s0, v0
	s_or_b32 s4, vcc_lo, s4
	s_wait_loadcnt 0x1
	v_add_nc_u32_e32 v1, s1, v12
	s_wait_loadcnt 0x0
	global_store_b64 v[6:7], v[10:11], off
	global_store_b32 v[4:5], v1, off
	s_wait_xcnt 0x0
	s_and_not1_b32 exec_lo, exec_lo, s4
	s_cbranch_execnz .LBB169_8
.LBB169_9:
	s_endpgm
	.section	.rodata,"a",@progbits
	.p2align	6, 0x0
	.amdhsa_kernel _ZN9rocsparseL35bsr2csr_block_dim_equals_one_kernelILj1024E21rocsparse_complex_numIfEliEEvT2_S3_21rocsparse_index_base_PKT0_PKT1_PKS3_S4_PS5_PS8_PS3_
		.amdhsa_group_segment_fixed_size 0
		.amdhsa_private_segment_fixed_size 0
		.amdhsa_kernarg_size 328
		.amdhsa_user_sgpr_count 2
		.amdhsa_user_sgpr_dispatch_ptr 0
		.amdhsa_user_sgpr_queue_ptr 0
		.amdhsa_user_sgpr_kernarg_segment_ptr 1
		.amdhsa_user_sgpr_dispatch_id 0
		.amdhsa_user_sgpr_kernarg_preload_length 0
		.amdhsa_user_sgpr_kernarg_preload_offset 0
		.amdhsa_user_sgpr_private_segment_size 0
		.amdhsa_wavefront_size32 1
		.amdhsa_uses_dynamic_stack 0
		.amdhsa_enable_private_segment 0
		.amdhsa_system_sgpr_workgroup_id_x 1
		.amdhsa_system_sgpr_workgroup_id_y 0
		.amdhsa_system_sgpr_workgroup_id_z 0
		.amdhsa_system_sgpr_workgroup_info 0
		.amdhsa_system_vgpr_workitem_id 0
		.amdhsa_next_free_vgpr 13
		.amdhsa_next_free_sgpr 24
		.amdhsa_named_barrier_count 0
		.amdhsa_reserve_vcc 1
		.amdhsa_float_round_mode_32 0
		.amdhsa_float_round_mode_16_64 0
		.amdhsa_float_denorm_mode_32 3
		.amdhsa_float_denorm_mode_16_64 3
		.amdhsa_fp16_overflow 0
		.amdhsa_memory_ordered 1
		.amdhsa_forward_progress 1
		.amdhsa_inst_pref_size 5
		.amdhsa_round_robin_scheduling 0
		.amdhsa_exception_fp_ieee_invalid_op 0
		.amdhsa_exception_fp_denorm_src 0
		.amdhsa_exception_fp_ieee_div_zero 0
		.amdhsa_exception_fp_ieee_overflow 0
		.amdhsa_exception_fp_ieee_underflow 0
		.amdhsa_exception_fp_ieee_inexact 0
		.amdhsa_exception_int_div_zero 0
	.end_amdhsa_kernel
	.section	.text._ZN9rocsparseL35bsr2csr_block_dim_equals_one_kernelILj1024E21rocsparse_complex_numIfEliEEvT2_S3_21rocsparse_index_base_PKT0_PKT1_PKS3_S4_PS5_PS8_PS3_,"axG",@progbits,_ZN9rocsparseL35bsr2csr_block_dim_equals_one_kernelILj1024E21rocsparse_complex_numIfEliEEvT2_S3_21rocsparse_index_base_PKT0_PKT1_PKS3_S4_PS5_PS8_PS3_,comdat
.Lfunc_end169:
	.size	_ZN9rocsparseL35bsr2csr_block_dim_equals_one_kernelILj1024E21rocsparse_complex_numIfEliEEvT2_S3_21rocsparse_index_base_PKT0_PKT1_PKS3_S4_PS5_PS8_PS3_, .Lfunc_end169-_ZN9rocsparseL35bsr2csr_block_dim_equals_one_kernelILj1024E21rocsparse_complex_numIfEliEEvT2_S3_21rocsparse_index_base_PKT0_PKT1_PKS3_S4_PS5_PS8_PS3_
                                        ; -- End function
	.set _ZN9rocsparseL35bsr2csr_block_dim_equals_one_kernelILj1024E21rocsparse_complex_numIfEliEEvT2_S3_21rocsparse_index_base_PKT0_PKT1_PKS3_S4_PS5_PS8_PS3_.num_vgpr, 13
	.set _ZN9rocsparseL35bsr2csr_block_dim_equals_one_kernelILj1024E21rocsparse_complex_numIfEliEEvT2_S3_21rocsparse_index_base_PKT0_PKT1_PKS3_S4_PS5_PS8_PS3_.num_agpr, 0
	.set _ZN9rocsparseL35bsr2csr_block_dim_equals_one_kernelILj1024E21rocsparse_complex_numIfEliEEvT2_S3_21rocsparse_index_base_PKT0_PKT1_PKS3_S4_PS5_PS8_PS3_.numbered_sgpr, 24
	.set _ZN9rocsparseL35bsr2csr_block_dim_equals_one_kernelILj1024E21rocsparse_complex_numIfEliEEvT2_S3_21rocsparse_index_base_PKT0_PKT1_PKS3_S4_PS5_PS8_PS3_.num_named_barrier, 0
	.set _ZN9rocsparseL35bsr2csr_block_dim_equals_one_kernelILj1024E21rocsparse_complex_numIfEliEEvT2_S3_21rocsparse_index_base_PKT0_PKT1_PKS3_S4_PS5_PS8_PS3_.private_seg_size, 0
	.set _ZN9rocsparseL35bsr2csr_block_dim_equals_one_kernelILj1024E21rocsparse_complex_numIfEliEEvT2_S3_21rocsparse_index_base_PKT0_PKT1_PKS3_S4_PS5_PS8_PS3_.uses_vcc, 1
	.set _ZN9rocsparseL35bsr2csr_block_dim_equals_one_kernelILj1024E21rocsparse_complex_numIfEliEEvT2_S3_21rocsparse_index_base_PKT0_PKT1_PKS3_S4_PS5_PS8_PS3_.uses_flat_scratch, 0
	.set _ZN9rocsparseL35bsr2csr_block_dim_equals_one_kernelILj1024E21rocsparse_complex_numIfEliEEvT2_S3_21rocsparse_index_base_PKT0_PKT1_PKS3_S4_PS5_PS8_PS3_.has_dyn_sized_stack, 0
	.set _ZN9rocsparseL35bsr2csr_block_dim_equals_one_kernelILj1024E21rocsparse_complex_numIfEliEEvT2_S3_21rocsparse_index_base_PKT0_PKT1_PKS3_S4_PS5_PS8_PS3_.has_recursion, 0
	.set _ZN9rocsparseL35bsr2csr_block_dim_equals_one_kernelILj1024E21rocsparse_complex_numIfEliEEvT2_S3_21rocsparse_index_base_PKT0_PKT1_PKS3_S4_PS5_PS8_PS3_.has_indirect_call, 0
	.section	.AMDGPU.csdata,"",@progbits
; Kernel info:
; codeLenInByte = 568
; TotalNumSgprs: 26
; NumVgprs: 13
; ScratchSize: 0
; MemoryBound: 0
; FloatMode: 240
; IeeeMode: 1
; LDSByteSize: 0 bytes/workgroup (compile time only)
; SGPRBlocks: 0
; VGPRBlocks: 0
; NumSGPRsForWavesPerEU: 26
; NumVGPRsForWavesPerEU: 13
; NamedBarCnt: 0
; Occupancy: 16
; WaveLimiterHint : 0
; COMPUTE_PGM_RSRC2:SCRATCH_EN: 0
; COMPUTE_PGM_RSRC2:USER_SGPR: 2
; COMPUTE_PGM_RSRC2:TRAP_HANDLER: 0
; COMPUTE_PGM_RSRC2:TGID_X_EN: 1
; COMPUTE_PGM_RSRC2:TGID_Y_EN: 0
; COMPUTE_PGM_RSRC2:TGID_Z_EN: 0
; COMPUTE_PGM_RSRC2:TIDIG_COMP_CNT: 0
	.section	.text._ZN9rocsparseL32bsr2csr_block_per_row_2_7_kernelILj256ELj2E21rocsparse_complex_numIfEliEEv20rocsparse_direction_T3_S4_21rocsparse_index_base_PKT1_PKT2_PKS4_S4_S5_PS6_PS9_PS4_,"axG",@progbits,_ZN9rocsparseL32bsr2csr_block_per_row_2_7_kernelILj256ELj2E21rocsparse_complex_numIfEliEEv20rocsparse_direction_T3_S4_21rocsparse_index_base_PKT1_PKT2_PKS4_S4_S5_PS6_PS9_PS4_,comdat
	.globl	_ZN9rocsparseL32bsr2csr_block_per_row_2_7_kernelILj256ELj2E21rocsparse_complex_numIfEliEEv20rocsparse_direction_T3_S4_21rocsparse_index_base_PKT1_PKT2_PKS4_S4_S5_PS6_PS9_PS4_ ; -- Begin function _ZN9rocsparseL32bsr2csr_block_per_row_2_7_kernelILj256ELj2E21rocsparse_complex_numIfEliEEv20rocsparse_direction_T3_S4_21rocsparse_index_base_PKT1_PKT2_PKS4_S4_S5_PS6_PS9_PS4_
	.p2align	8
	.type	_ZN9rocsparseL32bsr2csr_block_per_row_2_7_kernelILj256ELj2E21rocsparse_complex_numIfEliEEv20rocsparse_direction_T3_S4_21rocsparse_index_base_PKT1_PKT2_PKS4_S4_S5_PS6_PS9_PS4_,@function
_ZN9rocsparseL32bsr2csr_block_per_row_2_7_kernelILj256ELj2E21rocsparse_complex_numIfEliEEv20rocsparse_direction_T3_S4_21rocsparse_index_base_PKT1_PKT2_PKS4_S4_S5_PS6_PS9_PS4_: ; @_ZN9rocsparseL32bsr2csr_block_per_row_2_7_kernelILj256ELj2E21rocsparse_complex_numIfEliEEv20rocsparse_direction_T3_S4_21rocsparse_index_base_PKT1_PKT2_PKS4_S4_S5_PS6_PS9_PS4_
; %bb.0:
	s_load_b64 s[4:5], s[0:1], 0x18
	s_bfe_u32 s2, ttmp6, 0x4000c
	s_and_b32 s3, ttmp6, 15
	s_add_co_i32 s2, s2, 1
	s_getreg_b32 s6, hwreg(HW_REG_IB_STS2, 6, 4)
	s_mul_i32 s2, ttmp9, s2
	s_delay_alu instid0(SALU_CYCLE_1)
	s_add_co_i32 s3, s3, s2
	s_cmp_eq_u32 s6, 0
	s_clause 0x1
	s_load_b32 s2, s[0:1], 0x2c
	s_load_b64 s[12:13], s[0:1], 0x38
	s_cselect_b32 s10, ttmp9, s3
	s_delay_alu instid0(SALU_CYCLE_1)
	s_ashr_i32 s11, s10, 31
	v_or_b32_e32 v1, s10, v0
	s_lshl_b64 s[6:7], s[10:11], 3
	s_wait_kmcnt 0x0
	s_add_nc_u64 s[8:9], s[4:5], s[6:7]
	s_load_b128 s[4:7], s[8:9], 0x0
	s_wait_xcnt 0x0
	s_mov_b32 s9, 0
	s_mov_b32 s8, exec_lo
	s_mov_b32 s3, s9
	v_cmpx_eq_u32_e32 0, v1
	s_cbranch_execz .LBB170_2
; %bb.1:
	v_mov_b64_e32 v[2:3], s[2:3]
	v_mov_b32_e32 v1, 0
	global_store_b64 v1, v[2:3], s[12:13]
.LBB170_2:
	s_wait_xcnt 0x0
	s_or_b32 exec_lo, exec_lo, s8
	s_load_b32 s8, s[0:1], 0xc
	v_dual_mov_b32 v3, 0 :: v_dual_bitop2_b32 v2, 1, v0 bitop3:0x40
	s_delay_alu instid0(VALU_DEP_1) | instskip(SKIP_3) | instid1(VALU_DEP_1)
	v_dual_mov_b32 v7, v3 :: v_dual_lshrrev_b32 v6, 1, v0
	s_wait_kmcnt 0x0
	s_sub_nc_u64 s[14:15], s[4:5], s[8:9]
	s_sub_nc_u64 s[6:7], s[6:7], s[8:9]
	v_add_nc_u64_e32 v[0:1], s[14:15], v[6:7]
	s_sub_nc_u64 s[16:17], s[6:7], s[14:15]
	s_lshl_b64 s[14:15], s[14:15], 2
	s_lshl_b64 s[16:17], s[16:17], 1
	v_lshl_or_b32 v7, s10, 1, v2
	v_mul_u64_e32 v[4:5], s[16:17], v[2:3]
	s_add_nc_u64 s[16:17], s[16:17], s[2:3]
	s_mov_b32 s3, exec_lo
	s_add_nc_u64 s[10:11], s[16:17], s[14:15]
	v_add_nc_u32_e32 v7, 1, v7
	s_delay_alu instid0(VALU_DEP_2)
	v_add_nc_u64_e32 v[8:9], s[10:11], v[4:5]
	global_store_b64 v7, v[8:9], s[12:13] scale_offset
	s_wait_xcnt 0x0
	v_cmpx_gt_i64_e64 s[6:7], v[0:1]
	s_cbranch_execz .LBB170_5
; %bb.3:
	s_clause 0x3
	s_load_b64 s[10:11], s[0:1], 0x20
	s_load_b64 s[12:13], s[0:1], 0x30
	s_load_b32 s3, s[0:1], 0x0
	s_load_b64 s[14:15], s[0:1], 0x40
	v_lshl_add_u64 v[4:5], s[4:5], 2, v[4:5]
	v_dual_mov_b32 v7, v3 :: v_dual_lshlrev_b32 v6, 1, v6
	s_wait_xcnt 0x0
	s_load_b64 s[0:1], s[0:1], 0x10
	v_lshlrev_b64_e32 v[8:9], 5, v[0:1]
	s_delay_alu instid0(VALU_DEP_2)
	v_add_nc_u64_e32 v[4:5], v[4:5], v[6:7]
	s_wait_kmcnt 0x0
	v_lshl_add_u64 v[6:7], v[0:1], 2, s[10:11]
	s_cmp_eq_u32 s3, 0
	s_cselect_b32 vcc_lo, -1, 0
	s_lshl_b64 s[4:5], s[8:9], 2
	s_delay_alu instid0(VALU_DEP_2) | instid1(SALU_CYCLE_1)
	v_sub_nc_u64_e64 v[4:5], v[4:5], s[4:5]
	v_add_nc_u64_e32 v[8:9], s[0:1], v[8:9]
	s_mov_b32 s1, 0
	s_delay_alu instid0(VALU_DEP_2) | instskip(SKIP_3) | instid1(VALU_DEP_4)
	v_lshl_add_u64 v[10:11], v[4:5], 3, s[12:13]
	v_lshl_add_u64 v[12:13], v[4:5], 2, s[14:15]
	v_dual_mov_b32 v5, v3 :: v_dual_lshlrev_b32 v4, 3, v2
	v_lshlrev_b32_e32 v2, 4, v2
	v_add_nc_u64_e32 v[10:11], 8, v[10:11]
	s_delay_alu instid0(VALU_DEP_4)
	v_add_nc_u64_e32 v[12:13], 4, v[12:13]
.LBB170_4:                              ; =>This Inner Loop Header: Depth=1
	s_delay_alu instid0(VALU_DEP_3)
	v_add_nc_u64_e32 v[14:15], v[8:9], v[2:3]
	v_add_nc_u64_e32 v[16:17], v[8:9], v[4:5]
	global_load_b32 v24, v[6:7], off
	v_add_nc_u64_e32 v[0:1], 0x80, v[0:1]
	s_wait_xcnt 0x0
	v_add_nc_u64_e32 v[6:7], 0x200, v[6:7]
	v_add_nc_u64_e32 v[8:9], 0x1000, v[8:9]
	;; [unrolled: 1-line block ×4, first 2 shown]
	v_dual_cndmask_b32 v23, v17, v15 :: v_dual_cndmask_b32 v22, v16, v14
	v_cmp_le_i64_e64 s0, s[6:7], v[0:1]
	s_delay_alu instid0(VALU_DEP_3)
	v_dual_cndmask_b32 v19, v21, v19 :: v_dual_cndmask_b32 v18, v20, v18
	global_load_b64 v[14:15], v[22:23], off
	global_load_b64 v[16:17], v[18:19], off
	s_or_b32 s1, s0, s1
	s_wait_loadcnt 0x2
	s_wait_xcnt 0x0
	v_subrev_nc_u32_e32 v18, s8, v24
	s_delay_alu instid0(VALU_DEP_1) | instskip(NEXT) | instid1(VALU_DEP_1)
	v_lshl_add_u32 v18, v18, 1, s2
	v_add_nc_u32_e32 v19, 1, v18
	global_store_b64 v[12:13], v[18:19], off offset:-4
	s_wait_xcnt 0x0
	v_add_nc_u64_e32 v[12:13], 0x400, v[12:13]
	s_wait_loadcnt 0x0
	global_store_b128 v[10:11], v[14:17], off offset:-8
	s_wait_xcnt 0x0
	v_add_nc_u64_e32 v[10:11], 0x800, v[10:11]
	s_and_not1_b32 exec_lo, exec_lo, s1
	s_cbranch_execnz .LBB170_4
.LBB170_5:
	s_endpgm
	.section	.rodata,"a",@progbits
	.p2align	6, 0x0
	.amdhsa_kernel _ZN9rocsparseL32bsr2csr_block_per_row_2_7_kernelILj256ELj2E21rocsparse_complex_numIfEliEEv20rocsparse_direction_T3_S4_21rocsparse_index_base_PKT1_PKT2_PKS4_S4_S5_PS6_PS9_PS4_
		.amdhsa_group_segment_fixed_size 0
		.amdhsa_private_segment_fixed_size 0
		.amdhsa_kernarg_size 72
		.amdhsa_user_sgpr_count 2
		.amdhsa_user_sgpr_dispatch_ptr 0
		.amdhsa_user_sgpr_queue_ptr 0
		.amdhsa_user_sgpr_kernarg_segment_ptr 1
		.amdhsa_user_sgpr_dispatch_id 0
		.amdhsa_user_sgpr_kernarg_preload_length 0
		.amdhsa_user_sgpr_kernarg_preload_offset 0
		.amdhsa_user_sgpr_private_segment_size 0
		.amdhsa_wavefront_size32 1
		.amdhsa_uses_dynamic_stack 0
		.amdhsa_enable_private_segment 0
		.amdhsa_system_sgpr_workgroup_id_x 1
		.amdhsa_system_sgpr_workgroup_id_y 0
		.amdhsa_system_sgpr_workgroup_id_z 0
		.amdhsa_system_sgpr_workgroup_info 0
		.amdhsa_system_vgpr_workitem_id 0
		.amdhsa_next_free_vgpr 25
		.amdhsa_next_free_sgpr 18
		.amdhsa_named_barrier_count 0
		.amdhsa_reserve_vcc 1
		.amdhsa_float_round_mode_32 0
		.amdhsa_float_round_mode_16_64 0
		.amdhsa_float_denorm_mode_32 3
		.amdhsa_float_denorm_mode_16_64 3
		.amdhsa_fp16_overflow 0
		.amdhsa_memory_ordered 1
		.amdhsa_forward_progress 1
		.amdhsa_inst_pref_size 6
		.amdhsa_round_robin_scheduling 0
		.amdhsa_exception_fp_ieee_invalid_op 0
		.amdhsa_exception_fp_denorm_src 0
		.amdhsa_exception_fp_ieee_div_zero 0
		.amdhsa_exception_fp_ieee_overflow 0
		.amdhsa_exception_fp_ieee_underflow 0
		.amdhsa_exception_fp_ieee_inexact 0
		.amdhsa_exception_int_div_zero 0
	.end_amdhsa_kernel
	.section	.text._ZN9rocsparseL32bsr2csr_block_per_row_2_7_kernelILj256ELj2E21rocsparse_complex_numIfEliEEv20rocsparse_direction_T3_S4_21rocsparse_index_base_PKT1_PKT2_PKS4_S4_S5_PS6_PS9_PS4_,"axG",@progbits,_ZN9rocsparseL32bsr2csr_block_per_row_2_7_kernelILj256ELj2E21rocsparse_complex_numIfEliEEv20rocsparse_direction_T3_S4_21rocsparse_index_base_PKT1_PKT2_PKS4_S4_S5_PS6_PS9_PS4_,comdat
.Lfunc_end170:
	.size	_ZN9rocsparseL32bsr2csr_block_per_row_2_7_kernelILj256ELj2E21rocsparse_complex_numIfEliEEv20rocsparse_direction_T3_S4_21rocsparse_index_base_PKT1_PKT2_PKS4_S4_S5_PS6_PS9_PS4_, .Lfunc_end170-_ZN9rocsparseL32bsr2csr_block_per_row_2_7_kernelILj256ELj2E21rocsparse_complex_numIfEliEEv20rocsparse_direction_T3_S4_21rocsparse_index_base_PKT1_PKT2_PKS4_S4_S5_PS6_PS9_PS4_
                                        ; -- End function
	.set _ZN9rocsparseL32bsr2csr_block_per_row_2_7_kernelILj256ELj2E21rocsparse_complex_numIfEliEEv20rocsparse_direction_T3_S4_21rocsparse_index_base_PKT1_PKT2_PKS4_S4_S5_PS6_PS9_PS4_.num_vgpr, 25
	.set _ZN9rocsparseL32bsr2csr_block_per_row_2_7_kernelILj256ELj2E21rocsparse_complex_numIfEliEEv20rocsparse_direction_T3_S4_21rocsparse_index_base_PKT1_PKT2_PKS4_S4_S5_PS6_PS9_PS4_.num_agpr, 0
	.set _ZN9rocsparseL32bsr2csr_block_per_row_2_7_kernelILj256ELj2E21rocsparse_complex_numIfEliEEv20rocsparse_direction_T3_S4_21rocsparse_index_base_PKT1_PKT2_PKS4_S4_S5_PS6_PS9_PS4_.numbered_sgpr, 18
	.set _ZN9rocsparseL32bsr2csr_block_per_row_2_7_kernelILj256ELj2E21rocsparse_complex_numIfEliEEv20rocsparse_direction_T3_S4_21rocsparse_index_base_PKT1_PKT2_PKS4_S4_S5_PS6_PS9_PS4_.num_named_barrier, 0
	.set _ZN9rocsparseL32bsr2csr_block_per_row_2_7_kernelILj256ELj2E21rocsparse_complex_numIfEliEEv20rocsparse_direction_T3_S4_21rocsparse_index_base_PKT1_PKT2_PKS4_S4_S5_PS6_PS9_PS4_.private_seg_size, 0
	.set _ZN9rocsparseL32bsr2csr_block_per_row_2_7_kernelILj256ELj2E21rocsparse_complex_numIfEliEEv20rocsparse_direction_T3_S4_21rocsparse_index_base_PKT1_PKT2_PKS4_S4_S5_PS6_PS9_PS4_.uses_vcc, 1
	.set _ZN9rocsparseL32bsr2csr_block_per_row_2_7_kernelILj256ELj2E21rocsparse_complex_numIfEliEEv20rocsparse_direction_T3_S4_21rocsparse_index_base_PKT1_PKT2_PKS4_S4_S5_PS6_PS9_PS4_.uses_flat_scratch, 0
	.set _ZN9rocsparseL32bsr2csr_block_per_row_2_7_kernelILj256ELj2E21rocsparse_complex_numIfEliEEv20rocsparse_direction_T3_S4_21rocsparse_index_base_PKT1_PKT2_PKS4_S4_S5_PS6_PS9_PS4_.has_dyn_sized_stack, 0
	.set _ZN9rocsparseL32bsr2csr_block_per_row_2_7_kernelILj256ELj2E21rocsparse_complex_numIfEliEEv20rocsparse_direction_T3_S4_21rocsparse_index_base_PKT1_PKT2_PKS4_S4_S5_PS6_PS9_PS4_.has_recursion, 0
	.set _ZN9rocsparseL32bsr2csr_block_per_row_2_7_kernelILj256ELj2E21rocsparse_complex_numIfEliEEv20rocsparse_direction_T3_S4_21rocsparse_index_base_PKT1_PKT2_PKS4_S4_S5_PS6_PS9_PS4_.has_indirect_call, 0
	.section	.AMDGPU.csdata,"",@progbits
; Kernel info:
; codeLenInByte = 648
; TotalNumSgprs: 20
; NumVgprs: 25
; ScratchSize: 0
; MemoryBound: 0
; FloatMode: 240
; IeeeMode: 1
; LDSByteSize: 0 bytes/workgroup (compile time only)
; SGPRBlocks: 0
; VGPRBlocks: 1
; NumSGPRsForWavesPerEU: 20
; NumVGPRsForWavesPerEU: 25
; NamedBarCnt: 0
; Occupancy: 16
; WaveLimiterHint : 0
; COMPUTE_PGM_RSRC2:SCRATCH_EN: 0
; COMPUTE_PGM_RSRC2:USER_SGPR: 2
; COMPUTE_PGM_RSRC2:TRAP_HANDLER: 0
; COMPUTE_PGM_RSRC2:TGID_X_EN: 1
; COMPUTE_PGM_RSRC2:TGID_Y_EN: 0
; COMPUTE_PGM_RSRC2:TGID_Z_EN: 0
; COMPUTE_PGM_RSRC2:TIDIG_COMP_CNT: 0
	.section	.text._ZN9rocsparseL32bsr2csr_block_per_row_2_7_kernelILj256ELj3E21rocsparse_complex_numIfEliEEv20rocsparse_direction_T3_S4_21rocsparse_index_base_PKT1_PKT2_PKS4_S4_S5_PS6_PS9_PS4_,"axG",@progbits,_ZN9rocsparseL32bsr2csr_block_per_row_2_7_kernelILj256ELj3E21rocsparse_complex_numIfEliEEv20rocsparse_direction_T3_S4_21rocsparse_index_base_PKT1_PKT2_PKS4_S4_S5_PS6_PS9_PS4_,comdat
	.globl	_ZN9rocsparseL32bsr2csr_block_per_row_2_7_kernelILj256ELj3E21rocsparse_complex_numIfEliEEv20rocsparse_direction_T3_S4_21rocsparse_index_base_PKT1_PKT2_PKS4_S4_S5_PS6_PS9_PS4_ ; -- Begin function _ZN9rocsparseL32bsr2csr_block_per_row_2_7_kernelILj256ELj3E21rocsparse_complex_numIfEliEEv20rocsparse_direction_T3_S4_21rocsparse_index_base_PKT1_PKT2_PKS4_S4_S5_PS6_PS9_PS4_
	.p2align	8
	.type	_ZN9rocsparseL32bsr2csr_block_per_row_2_7_kernelILj256ELj3E21rocsparse_complex_numIfEliEEv20rocsparse_direction_T3_S4_21rocsparse_index_base_PKT1_PKT2_PKS4_S4_S5_PS6_PS9_PS4_,@function
_ZN9rocsparseL32bsr2csr_block_per_row_2_7_kernelILj256ELj3E21rocsparse_complex_numIfEliEEv20rocsparse_direction_T3_S4_21rocsparse_index_base_PKT1_PKT2_PKS4_S4_S5_PS6_PS9_PS4_: ; @_ZN9rocsparseL32bsr2csr_block_per_row_2_7_kernelILj256ELj3E21rocsparse_complex_numIfEliEEv20rocsparse_direction_T3_S4_21rocsparse_index_base_PKT1_PKT2_PKS4_S4_S5_PS6_PS9_PS4_
; %bb.0:
	s_clause 0x1
	s_load_b32 s2, s[0:1], 0x2c
	s_load_b64 s[10:11], s[0:1], 0x38
	s_bfe_u32 s3, ttmp6, 0x4000c
	s_and_b32 s4, ttmp6, 15
	s_add_co_i32 s3, s3, 1
	s_getreg_b32 s5, hwreg(HW_REG_IB_STS2, 6, 4)
	s_mul_i32 s3, ttmp9, s3
	s_delay_alu instid0(SALU_CYCLE_1) | instskip(SKIP_3) | instid1(SALU_CYCLE_1)
	s_add_co_i32 s4, s4, s3
	s_cmp_eq_u32 s5, 0
	s_mov_b32 s3, exec_lo
	s_cselect_b32 s12, ttmp9, s4
	v_or_b32_e32 v1, s12, v0
	s_delay_alu instid0(VALU_DEP_1)
	v_cmpx_eq_u32_e32 0, v1
	s_cbranch_execz .LBB171_2
; %bb.1:
	s_wait_kmcnt 0x0
	v_dual_mov_b32 v2, s2 :: v_dual_mov_b32 v3, 0
	global_store_b64 v3, v[2:3], s[10:11]
.LBB171_2:
	s_wait_xcnt 0x0
	s_or_b32 exec_lo, exec_lo, s3
	v_and_b32_e32 v2, 3, v0
	s_mov_b32 s3, exec_lo
	s_delay_alu instid0(VALU_DEP_1)
	v_cmpx_ne_u32_e32 3, v2
	s_cbranch_execz .LBB171_6
; %bb.3:
	s_clause 0x1
	s_load_b64 s[4:5], s[0:1], 0x18
	s_load_b32 s8, s[0:1], 0xc
	s_ashr_i32 s13, s12, 31
	s_mov_b32 s9, 0
	s_lshl_b64 s[6:7], s[12:13], 3
	v_dual_mov_b32 v3, 0 :: v_dual_lshrrev_b32 v4, 2, v0
	s_mov_b32 s3, s9
	s_delay_alu instid0(VALU_DEP_1)
	v_mov_b32_e32 v5, v3
	s_wait_kmcnt 0x0
	s_add_nc_u64 s[14:15], s[4:5], s[6:7]
	s_load_b128 s[4:7], s[14:15], 0x0
	s_wait_kmcnt 0x0
	s_sub_nc_u64 s[14:15], s[4:5], s[8:9]
	s_sub_nc_u64 s[6:7], s[6:7], s[8:9]
	v_add_nc_u64_e32 v[0:1], s[14:15], v[4:5]
	s_sub_nc_u64 s[16:17], s[6:7], s[14:15]
	s_mul_u64 s[18:19], s[14:15], 9
	s_mul_u64 s[16:17], s[16:17], 3
	s_delay_alu instid0(SALU_CYCLE_1)
	v_mul_u64_e32 v[6:7], s[16:17], v[2:3]
	s_add_nc_u64 s[14:15], s[16:17], s[2:3]
	s_mul_i32 s3, s12, 3
	s_add_nc_u64 s[14:15], s[14:15], s[18:19]
	v_cmp_gt_i64_e32 vcc_lo, s[6:7], v[0:1]
	v_add3_u32 v5, v2, s3, 1
	s_delay_alu instid0(VALU_DEP_3)
	v_add_nc_u64_e32 v[8:9], s[14:15], v[6:7]
	global_store_b64 v5, v[8:9], s[10:11] scale_offset
	s_wait_xcnt 0x0
	s_and_b32 exec_lo, exec_lo, vcc_lo
	s_cbranch_execz .LBB171_6
; %bb.4:
	v_mad_nc_u64_u32 v[6:7], s4, 9, v[6:7]
	s_load_b64 s[10:11], s[0:1], 0x10
	v_mul_u32_u24_e32 v12, 3, v2
	v_dual_mov_b32 v13, v3 :: v_dual_lshlrev_b32 v2, 3, v2
	s_delay_alu instid0(VALU_DEP_2) | instskip(NEXT) | instid1(VALU_DEP_4)
	v_lshlrev_b32_e32 v12, 3, v12
	v_mad_u32 v7, s5, 9, v7
	s_clause 0x3
	s_load_b64 s[4:5], s[0:1], 0x30
	s_load_b64 s[12:13], s[0:1], 0x40
	;; [unrolled: 1-line block ×3, first 2 shown]
	s_load_b32 s3, s[0:1], 0x0
	s_wait_xcnt 0x0
	s_mul_u64 s[0:1], s[8:9], 9
	s_delay_alu instid0(VALU_DEP_1) | instskip(SKIP_3) | instid1(VALU_DEP_2)
	v_mad_nc_u64_u32 v[6:7], v4, 3, v[6:7]
	s_wait_kmcnt 0x0
	v_mad_nc_u64_u32 v[4:5], 0x48, v0, s[10:11]
	s_cmp_eq_u32 s3, 0
	v_sub_nc_u64_e64 v[6:7], v[6:7], s[0:1]
	s_delay_alu instid0(VALU_DEP_2) | instskip(SKIP_1) | instid1(VALU_DEP_2)
	v_mad_u32 v5, 0x48, v1, v5
	s_cselect_b32 vcc_lo, -1, 0
	v_lshl_add_u64 v[8:9], v[6:7], 3, s[4:5]
	v_lshl_add_u64 v[10:11], v[6:7], 2, s[12:13]
	;; [unrolled: 1-line block ×3, first 2 shown]
	s_delay_alu instid0(VALU_DEP_3) | instskip(NEXT) | instid1(VALU_DEP_3)
	v_add_nc_u64_e32 v[8:9], 8, v[8:9]
	v_add_nc_u64_e32 v[10:11], 4, v[10:11]
.LBB171_5:                              ; =>This Inner Loop Header: Depth=1
	global_load_b32 v26, v[6:7], off
	v_add_nc_u64_e32 v[14:15], v[4:5], v[2:3]
	v_add_nc_u64_e32 v[16:17], v[4:5], v[12:13]
	v_add_nc_u64_e32 v[0:1], 64, v[0:1]
	s_wait_xcnt 0x0
	v_add_nc_u64_e32 v[6:7], 0x100, v[6:7]
	v_add_nc_u64_e32 v[4:5], 0x1200, v[4:5]
	;; [unrolled: 1-line block ×4, first 2 shown]
	v_dual_cndmask_b32 v19, v15, v17 :: v_dual_cndmask_b32 v18, v14, v16
	v_add_nc_u64_e32 v[16:17], 16, v[16:17]
	v_add_nc_u64_e32 v[24:25], 48, v[14:15]
	v_cmp_le_i64_e64 s0, s[6:7], v[0:1]
	global_load_b64 v[14:15], v[18:19], off
	s_wait_xcnt 0x0
	v_dual_cndmask_b32 v19, v23, v21 :: v_dual_cndmask_b32 v18, v22, v20
	v_dual_cndmask_b32 v21, v25, v17 :: v_dual_cndmask_b32 v20, v24, v16
	global_load_b64 v[16:17], v[18:19], off
	global_load_b64 v[22:23], v[20:21], off
	s_or_b32 s9, s0, s9
	s_wait_loadcnt 0x1
	global_store_b128 v[8:9], v[14:17], off offset:-8
	s_wait_loadcnt 0x0
	global_store_b64 v[8:9], v[22:23], off offset:8
	s_wait_xcnt 0x3
	v_subrev_nc_u32_e32 v18, s8, v26
	s_wait_xcnt 0x0
	v_add_nc_u64_e32 v[8:9], 0x600, v[8:9]
	s_delay_alu instid0(VALU_DEP_2) | instskip(NEXT) | instid1(VALU_DEP_1)
	v_mad_u32 v18, v18, 3, s2
	v_dual_add_nc_u32 v20, 2, v18 :: v_dual_add_nc_u32 v19, 1, v18
	global_store_b96 v[10:11], v[18:20], off offset:-4
	s_wait_xcnt 0x0
	v_add_nc_u64_e32 v[10:11], 0x300, v[10:11]
	s_and_not1_b32 exec_lo, exec_lo, s9
	s_cbranch_execnz .LBB171_5
.LBB171_6:
	s_endpgm
	.section	.rodata,"a",@progbits
	.p2align	6, 0x0
	.amdhsa_kernel _ZN9rocsparseL32bsr2csr_block_per_row_2_7_kernelILj256ELj3E21rocsparse_complex_numIfEliEEv20rocsparse_direction_T3_S4_21rocsparse_index_base_PKT1_PKT2_PKS4_S4_S5_PS6_PS9_PS4_
		.amdhsa_group_segment_fixed_size 0
		.amdhsa_private_segment_fixed_size 0
		.amdhsa_kernarg_size 72
		.amdhsa_user_sgpr_count 2
		.amdhsa_user_sgpr_dispatch_ptr 0
		.amdhsa_user_sgpr_queue_ptr 0
		.amdhsa_user_sgpr_kernarg_segment_ptr 1
		.amdhsa_user_sgpr_dispatch_id 0
		.amdhsa_user_sgpr_kernarg_preload_length 0
		.amdhsa_user_sgpr_kernarg_preload_offset 0
		.amdhsa_user_sgpr_private_segment_size 0
		.amdhsa_wavefront_size32 1
		.amdhsa_uses_dynamic_stack 0
		.amdhsa_enable_private_segment 0
		.amdhsa_system_sgpr_workgroup_id_x 1
		.amdhsa_system_sgpr_workgroup_id_y 0
		.amdhsa_system_sgpr_workgroup_id_z 0
		.amdhsa_system_sgpr_workgroup_info 0
		.amdhsa_system_vgpr_workitem_id 0
		.amdhsa_next_free_vgpr 27
		.amdhsa_next_free_sgpr 20
		.amdhsa_named_barrier_count 0
		.amdhsa_reserve_vcc 1
		.amdhsa_float_round_mode_32 0
		.amdhsa_float_round_mode_16_64 0
		.amdhsa_float_denorm_mode_32 3
		.amdhsa_float_denorm_mode_16_64 3
		.amdhsa_fp16_overflow 0
		.amdhsa_memory_ordered 1
		.amdhsa_forward_progress 1
		.amdhsa_inst_pref_size 6
		.amdhsa_round_robin_scheduling 0
		.amdhsa_exception_fp_ieee_invalid_op 0
		.amdhsa_exception_fp_denorm_src 0
		.amdhsa_exception_fp_ieee_div_zero 0
		.amdhsa_exception_fp_ieee_overflow 0
		.amdhsa_exception_fp_ieee_underflow 0
		.amdhsa_exception_fp_ieee_inexact 0
		.amdhsa_exception_int_div_zero 0
	.end_amdhsa_kernel
	.section	.text._ZN9rocsparseL32bsr2csr_block_per_row_2_7_kernelILj256ELj3E21rocsparse_complex_numIfEliEEv20rocsparse_direction_T3_S4_21rocsparse_index_base_PKT1_PKT2_PKS4_S4_S5_PS6_PS9_PS4_,"axG",@progbits,_ZN9rocsparseL32bsr2csr_block_per_row_2_7_kernelILj256ELj3E21rocsparse_complex_numIfEliEEv20rocsparse_direction_T3_S4_21rocsparse_index_base_PKT1_PKT2_PKS4_S4_S5_PS6_PS9_PS4_,comdat
.Lfunc_end171:
	.size	_ZN9rocsparseL32bsr2csr_block_per_row_2_7_kernelILj256ELj3E21rocsparse_complex_numIfEliEEv20rocsparse_direction_T3_S4_21rocsparse_index_base_PKT1_PKT2_PKS4_S4_S5_PS6_PS9_PS4_, .Lfunc_end171-_ZN9rocsparseL32bsr2csr_block_per_row_2_7_kernelILj256ELj3E21rocsparse_complex_numIfEliEEv20rocsparse_direction_T3_S4_21rocsparse_index_base_PKT1_PKT2_PKS4_S4_S5_PS6_PS9_PS4_
                                        ; -- End function
	.set _ZN9rocsparseL32bsr2csr_block_per_row_2_7_kernelILj256ELj3E21rocsparse_complex_numIfEliEEv20rocsparse_direction_T3_S4_21rocsparse_index_base_PKT1_PKT2_PKS4_S4_S5_PS6_PS9_PS4_.num_vgpr, 27
	.set _ZN9rocsparseL32bsr2csr_block_per_row_2_7_kernelILj256ELj3E21rocsparse_complex_numIfEliEEv20rocsparse_direction_T3_S4_21rocsparse_index_base_PKT1_PKT2_PKS4_S4_S5_PS6_PS9_PS4_.num_agpr, 0
	.set _ZN9rocsparseL32bsr2csr_block_per_row_2_7_kernelILj256ELj3E21rocsparse_complex_numIfEliEEv20rocsparse_direction_T3_S4_21rocsparse_index_base_PKT1_PKT2_PKS4_S4_S5_PS6_PS9_PS4_.numbered_sgpr, 20
	.set _ZN9rocsparseL32bsr2csr_block_per_row_2_7_kernelILj256ELj3E21rocsparse_complex_numIfEliEEv20rocsparse_direction_T3_S4_21rocsparse_index_base_PKT1_PKT2_PKS4_S4_S5_PS6_PS9_PS4_.num_named_barrier, 0
	.set _ZN9rocsparseL32bsr2csr_block_per_row_2_7_kernelILj256ELj3E21rocsparse_complex_numIfEliEEv20rocsparse_direction_T3_S4_21rocsparse_index_base_PKT1_PKT2_PKS4_S4_S5_PS6_PS9_PS4_.private_seg_size, 0
	.set _ZN9rocsparseL32bsr2csr_block_per_row_2_7_kernelILj256ELj3E21rocsparse_complex_numIfEliEEv20rocsparse_direction_T3_S4_21rocsparse_index_base_PKT1_PKT2_PKS4_S4_S5_PS6_PS9_PS4_.uses_vcc, 1
	.set _ZN9rocsparseL32bsr2csr_block_per_row_2_7_kernelILj256ELj3E21rocsparse_complex_numIfEliEEv20rocsparse_direction_T3_S4_21rocsparse_index_base_PKT1_PKT2_PKS4_S4_S5_PS6_PS9_PS4_.uses_flat_scratch, 0
	.set _ZN9rocsparseL32bsr2csr_block_per_row_2_7_kernelILj256ELj3E21rocsparse_complex_numIfEliEEv20rocsparse_direction_T3_S4_21rocsparse_index_base_PKT1_PKT2_PKS4_S4_S5_PS6_PS9_PS4_.has_dyn_sized_stack, 0
	.set _ZN9rocsparseL32bsr2csr_block_per_row_2_7_kernelILj256ELj3E21rocsparse_complex_numIfEliEEv20rocsparse_direction_T3_S4_21rocsparse_index_base_PKT1_PKT2_PKS4_S4_S5_PS6_PS9_PS4_.has_recursion, 0
	.set _ZN9rocsparseL32bsr2csr_block_per_row_2_7_kernelILj256ELj3E21rocsparse_complex_numIfEliEEv20rocsparse_direction_T3_S4_21rocsparse_index_base_PKT1_PKT2_PKS4_S4_S5_PS6_PS9_PS4_.has_indirect_call, 0
	.section	.AMDGPU.csdata,"",@progbits
; Kernel info:
; codeLenInByte = 724
; TotalNumSgprs: 22
; NumVgprs: 27
; ScratchSize: 0
; MemoryBound: 0
; FloatMode: 240
; IeeeMode: 1
; LDSByteSize: 0 bytes/workgroup (compile time only)
; SGPRBlocks: 0
; VGPRBlocks: 1
; NumSGPRsForWavesPerEU: 22
; NumVGPRsForWavesPerEU: 27
; NamedBarCnt: 0
; Occupancy: 16
; WaveLimiterHint : 0
; COMPUTE_PGM_RSRC2:SCRATCH_EN: 0
; COMPUTE_PGM_RSRC2:USER_SGPR: 2
; COMPUTE_PGM_RSRC2:TRAP_HANDLER: 0
; COMPUTE_PGM_RSRC2:TGID_X_EN: 1
; COMPUTE_PGM_RSRC2:TGID_Y_EN: 0
; COMPUTE_PGM_RSRC2:TGID_Z_EN: 0
; COMPUTE_PGM_RSRC2:TIDIG_COMP_CNT: 0
	.section	.text._ZN9rocsparseL32bsr2csr_block_per_row_2_7_kernelILj256ELj4E21rocsparse_complex_numIfEliEEv20rocsparse_direction_T3_S4_21rocsparse_index_base_PKT1_PKT2_PKS4_S4_S5_PS6_PS9_PS4_,"axG",@progbits,_ZN9rocsparseL32bsr2csr_block_per_row_2_7_kernelILj256ELj4E21rocsparse_complex_numIfEliEEv20rocsparse_direction_T3_S4_21rocsparse_index_base_PKT1_PKT2_PKS4_S4_S5_PS6_PS9_PS4_,comdat
	.globl	_ZN9rocsparseL32bsr2csr_block_per_row_2_7_kernelILj256ELj4E21rocsparse_complex_numIfEliEEv20rocsparse_direction_T3_S4_21rocsparse_index_base_PKT1_PKT2_PKS4_S4_S5_PS6_PS9_PS4_ ; -- Begin function _ZN9rocsparseL32bsr2csr_block_per_row_2_7_kernelILj256ELj4E21rocsparse_complex_numIfEliEEv20rocsparse_direction_T3_S4_21rocsparse_index_base_PKT1_PKT2_PKS4_S4_S5_PS6_PS9_PS4_
	.p2align	8
	.type	_ZN9rocsparseL32bsr2csr_block_per_row_2_7_kernelILj256ELj4E21rocsparse_complex_numIfEliEEv20rocsparse_direction_T3_S4_21rocsparse_index_base_PKT1_PKT2_PKS4_S4_S5_PS6_PS9_PS4_,@function
_ZN9rocsparseL32bsr2csr_block_per_row_2_7_kernelILj256ELj4E21rocsparse_complex_numIfEliEEv20rocsparse_direction_T3_S4_21rocsparse_index_base_PKT1_PKT2_PKS4_S4_S5_PS6_PS9_PS4_: ; @_ZN9rocsparseL32bsr2csr_block_per_row_2_7_kernelILj256ELj4E21rocsparse_complex_numIfEliEEv20rocsparse_direction_T3_S4_21rocsparse_index_base_PKT1_PKT2_PKS4_S4_S5_PS6_PS9_PS4_
; %bb.0:
	s_load_b64 s[4:5], s[0:1], 0x18
	s_bfe_u32 s2, ttmp6, 0x4000c
	s_and_b32 s3, ttmp6, 15
	s_add_co_i32 s2, s2, 1
	s_getreg_b32 s6, hwreg(HW_REG_IB_STS2, 6, 4)
	s_mul_i32 s2, ttmp9, s2
	s_delay_alu instid0(SALU_CYCLE_1)
	s_add_co_i32 s3, s3, s2
	s_cmp_eq_u32 s6, 0
	s_clause 0x1
	s_load_b32 s2, s[0:1], 0x2c
	s_load_b64 s[12:13], s[0:1], 0x38
	s_cselect_b32 s10, ttmp9, s3
	s_delay_alu instid0(SALU_CYCLE_1)
	s_ashr_i32 s11, s10, 31
	v_or_b32_e32 v1, s10, v0
	s_lshl_b64 s[6:7], s[10:11], 3
	s_wait_kmcnt 0x0
	s_add_nc_u64 s[8:9], s[4:5], s[6:7]
	s_load_b128 s[4:7], s[8:9], 0x0
	s_wait_xcnt 0x0
	s_mov_b32 s9, 0
	s_mov_b32 s8, exec_lo
	s_mov_b32 s3, s9
	v_cmpx_eq_u32_e32 0, v1
	s_cbranch_execz .LBB172_2
; %bb.1:
	v_mov_b64_e32 v[2:3], s[2:3]
	v_mov_b32_e32 v1, 0
	global_store_b64 v1, v[2:3], s[12:13]
.LBB172_2:
	s_wait_xcnt 0x0
	s_or_b32 exec_lo, exec_lo, s8
	s_load_b32 s8, s[0:1], 0xc
	v_dual_mov_b32 v3, 0 :: v_dual_bitop2_b32 v2, 3, v0 bitop3:0x40
	s_delay_alu instid0(VALU_DEP_1) | instskip(SKIP_3) | instid1(VALU_DEP_1)
	v_dual_mov_b32 v7, v3 :: v_dual_lshrrev_b32 v6, 2, v0
	s_wait_kmcnt 0x0
	s_sub_nc_u64 s[14:15], s[4:5], s[8:9]
	s_sub_nc_u64 s[6:7], s[6:7], s[8:9]
	v_add_nc_u64_e32 v[0:1], s[14:15], v[6:7]
	s_sub_nc_u64 s[16:17], s[6:7], s[14:15]
	s_lshl_b64 s[14:15], s[14:15], 4
	s_lshl_b64 s[16:17], s[16:17], 2
	v_lshl_or_b32 v7, s10, 2, v2
	v_mul_u64_e32 v[4:5], s[16:17], v[2:3]
	s_add_nc_u64 s[16:17], s[16:17], s[2:3]
	s_mov_b32 s3, exec_lo
	s_add_nc_u64 s[10:11], s[16:17], s[14:15]
	v_add_nc_u32_e32 v7, 1, v7
	s_delay_alu instid0(VALU_DEP_2)
	v_add_nc_u64_e32 v[8:9], s[10:11], v[4:5]
	global_store_b64 v7, v[8:9], s[12:13] scale_offset
	s_wait_xcnt 0x0
	v_cmpx_gt_i64_e64 s[6:7], v[0:1]
	s_cbranch_execz .LBB172_5
; %bb.3:
	s_clause 0x2
	s_load_b64 s[10:11], s[0:1], 0x20
	s_load_b64 s[12:13], s[0:1], 0x30
	s_load_b32 s3, s[0:1], 0x0
	v_lshl_add_u64 v[4:5], s[4:5], 4, v[4:5]
	v_dual_mov_b32 v7, v3 :: v_dual_lshlrev_b32 v6, 2, v6
	s_load_b64 s[4:5], s[0:1], 0x10
	v_lshlrev_b64_e32 v[8:9], 7, v[0:1]
	s_wait_xcnt 0x0
	s_load_b64 s[0:1], s[0:1], 0x40
	v_add_nc_u64_e32 v[4:5], v[4:5], v[6:7]
	v_dual_lshlrev_b32 v6, 3, v2 :: v_dual_lshlrev_b32 v2, 5, v2
	s_wait_kmcnt 0x0
	s_cmp_eq_u32 s3, 0
	s_cselect_b32 vcc_lo, -1, 0
	s_lshl_b64 s[14:15], s[8:9], 4
	v_add_nc_u64_e32 v[8:9], s[4:5], v[8:9]
	v_sub_nc_u64_e64 v[12:13], v[4:5], s[14:15]
	v_lshl_add_u64 v[4:5], v[0:1], 2, s[10:11]
	s_delay_alu instid0(VALU_DEP_2) | instskip(SKIP_2) | instid1(VALU_DEP_2)
	v_lshl_add_u64 v[10:11], v[12:13], 3, s[12:13]
	v_lshl_add_u64 v[12:13], v[12:13], 2, s[0:1]
	s_mov_b32 s1, 0
	v_add_nc_u64_e32 v[10:11], 16, v[10:11]
.LBB172_4:                              ; =>This Inner Loop Header: Depth=1
	v_add_nc_u64_e32 v[14:15], v[8:9], v[2:3]
	v_add_nc_u64_e32 v[16:17], v[8:9], v[6:7]
	global_load_b32 v34, v[4:5], off
	v_add_nc_u64_e32 v[0:1], 64, v[0:1]
	s_wait_xcnt 0x0
	v_add_nc_u64_e32 v[4:5], 0x100, v[4:5]
	v_add_nc_u64_e32 v[8:9], 0x2000, v[8:9]
	;; [unrolled: 1-line block ×8, first 2 shown]
	v_dual_cndmask_b32 v31, v17, v15 :: v_dual_cndmask_b32 v30, v16, v14
	v_dual_cndmask_b32 v33, v21, v19 :: v_dual_cndmask_b32 v32, v20, v18
	;; [unrolled: 1-line block ×3, first 2 shown]
	s_delay_alu instid0(VALU_DEP_4)
	v_dual_cndmask_b32 v25, v29, v27 :: v_dual_cndmask_b32 v24, v28, v26
	global_load_b64 v[14:15], v[30:31], off
	global_load_b64 v[16:17], v[32:33], off
	;; [unrolled: 1-line block ×4, first 2 shown]
	v_cmp_le_i64_e64 s0, s[6:7], v[0:1]
	s_or_b32 s1, s0, s1
	s_wait_loadcnt 0x4
	s_wait_xcnt 0x1
	v_subrev_nc_u32_e32 v22, s8, v34
	s_delay_alu instid0(VALU_DEP_1) | instskip(SKIP_1) | instid1(VALU_DEP_1)
	v_lshl_add_u32 v22, v22, 2, s2
	s_wait_xcnt 0x0
	v_dual_add_nc_u32 v24, 2, v22 :: v_dual_add_nc_u32 v23, 1, v22
	v_add_nc_u32_e32 v25, 3, v22
	global_store_b128 v[12:13], v[22:25], off
	s_wait_xcnt 0x0
	v_add_nc_u64_e32 v[12:13], 0x400, v[12:13]
	s_wait_loadcnt 0x2
	global_store_b128 v[10:11], v[14:17], off offset:-16
	s_wait_loadcnt 0x0
	global_store_b128 v[10:11], v[18:21], off
	s_wait_xcnt 0x0
	v_add_nc_u64_e32 v[10:11], 0x800, v[10:11]
	s_and_not1_b32 exec_lo, exec_lo, s1
	s_cbranch_execnz .LBB172_4
.LBB172_5:
	s_endpgm
	.section	.rodata,"a",@progbits
	.p2align	6, 0x0
	.amdhsa_kernel _ZN9rocsparseL32bsr2csr_block_per_row_2_7_kernelILj256ELj4E21rocsparse_complex_numIfEliEEv20rocsparse_direction_T3_S4_21rocsparse_index_base_PKT1_PKT2_PKS4_S4_S5_PS6_PS9_PS4_
		.amdhsa_group_segment_fixed_size 0
		.amdhsa_private_segment_fixed_size 0
		.amdhsa_kernarg_size 72
		.amdhsa_user_sgpr_count 2
		.amdhsa_user_sgpr_dispatch_ptr 0
		.amdhsa_user_sgpr_queue_ptr 0
		.amdhsa_user_sgpr_kernarg_segment_ptr 1
		.amdhsa_user_sgpr_dispatch_id 0
		.amdhsa_user_sgpr_kernarg_preload_length 0
		.amdhsa_user_sgpr_kernarg_preload_offset 0
		.amdhsa_user_sgpr_private_segment_size 0
		.amdhsa_wavefront_size32 1
		.amdhsa_uses_dynamic_stack 0
		.amdhsa_enable_private_segment 0
		.amdhsa_system_sgpr_workgroup_id_x 1
		.amdhsa_system_sgpr_workgroup_id_y 0
		.amdhsa_system_sgpr_workgroup_id_z 0
		.amdhsa_system_sgpr_workgroup_info 0
		.amdhsa_system_vgpr_workitem_id 0
		.amdhsa_next_free_vgpr 35
		.amdhsa_next_free_sgpr 18
		.amdhsa_named_barrier_count 0
		.amdhsa_reserve_vcc 1
		.amdhsa_float_round_mode_32 0
		.amdhsa_float_round_mode_16_64 0
		.amdhsa_float_denorm_mode_32 3
		.amdhsa_float_denorm_mode_16_64 3
		.amdhsa_fp16_overflow 0
		.amdhsa_memory_ordered 1
		.amdhsa_forward_progress 1
		.amdhsa_inst_pref_size 6
		.amdhsa_round_robin_scheduling 0
		.amdhsa_exception_fp_ieee_invalid_op 0
		.amdhsa_exception_fp_denorm_src 0
		.amdhsa_exception_fp_ieee_div_zero 0
		.amdhsa_exception_fp_ieee_overflow 0
		.amdhsa_exception_fp_ieee_underflow 0
		.amdhsa_exception_fp_ieee_inexact 0
		.amdhsa_exception_int_div_zero 0
	.end_amdhsa_kernel
	.section	.text._ZN9rocsparseL32bsr2csr_block_per_row_2_7_kernelILj256ELj4E21rocsparse_complex_numIfEliEEv20rocsparse_direction_T3_S4_21rocsparse_index_base_PKT1_PKT2_PKS4_S4_S5_PS6_PS9_PS4_,"axG",@progbits,_ZN9rocsparseL32bsr2csr_block_per_row_2_7_kernelILj256ELj4E21rocsparse_complex_numIfEliEEv20rocsparse_direction_T3_S4_21rocsparse_index_base_PKT1_PKT2_PKS4_S4_S5_PS6_PS9_PS4_,comdat
.Lfunc_end172:
	.size	_ZN9rocsparseL32bsr2csr_block_per_row_2_7_kernelILj256ELj4E21rocsparse_complex_numIfEliEEv20rocsparse_direction_T3_S4_21rocsparse_index_base_PKT1_PKT2_PKS4_S4_S5_PS6_PS9_PS4_, .Lfunc_end172-_ZN9rocsparseL32bsr2csr_block_per_row_2_7_kernelILj256ELj4E21rocsparse_complex_numIfEliEEv20rocsparse_direction_T3_S4_21rocsparse_index_base_PKT1_PKT2_PKS4_S4_S5_PS6_PS9_PS4_
                                        ; -- End function
	.set _ZN9rocsparseL32bsr2csr_block_per_row_2_7_kernelILj256ELj4E21rocsparse_complex_numIfEliEEv20rocsparse_direction_T3_S4_21rocsparse_index_base_PKT1_PKT2_PKS4_S4_S5_PS6_PS9_PS4_.num_vgpr, 35
	.set _ZN9rocsparseL32bsr2csr_block_per_row_2_7_kernelILj256ELj4E21rocsparse_complex_numIfEliEEv20rocsparse_direction_T3_S4_21rocsparse_index_base_PKT1_PKT2_PKS4_S4_S5_PS6_PS9_PS4_.num_agpr, 0
	.set _ZN9rocsparseL32bsr2csr_block_per_row_2_7_kernelILj256ELj4E21rocsparse_complex_numIfEliEEv20rocsparse_direction_T3_S4_21rocsparse_index_base_PKT1_PKT2_PKS4_S4_S5_PS6_PS9_PS4_.numbered_sgpr, 18
	.set _ZN9rocsparseL32bsr2csr_block_per_row_2_7_kernelILj256ELj4E21rocsparse_complex_numIfEliEEv20rocsparse_direction_T3_S4_21rocsparse_index_base_PKT1_PKT2_PKS4_S4_S5_PS6_PS9_PS4_.num_named_barrier, 0
	.set _ZN9rocsparseL32bsr2csr_block_per_row_2_7_kernelILj256ELj4E21rocsparse_complex_numIfEliEEv20rocsparse_direction_T3_S4_21rocsparse_index_base_PKT1_PKT2_PKS4_S4_S5_PS6_PS9_PS4_.private_seg_size, 0
	.set _ZN9rocsparseL32bsr2csr_block_per_row_2_7_kernelILj256ELj4E21rocsparse_complex_numIfEliEEv20rocsparse_direction_T3_S4_21rocsparse_index_base_PKT1_PKT2_PKS4_S4_S5_PS6_PS9_PS4_.uses_vcc, 1
	.set _ZN9rocsparseL32bsr2csr_block_per_row_2_7_kernelILj256ELj4E21rocsparse_complex_numIfEliEEv20rocsparse_direction_T3_S4_21rocsparse_index_base_PKT1_PKT2_PKS4_S4_S5_PS6_PS9_PS4_.uses_flat_scratch, 0
	.set _ZN9rocsparseL32bsr2csr_block_per_row_2_7_kernelILj256ELj4E21rocsparse_complex_numIfEliEEv20rocsparse_direction_T3_S4_21rocsparse_index_base_PKT1_PKT2_PKS4_S4_S5_PS6_PS9_PS4_.has_dyn_sized_stack, 0
	.set _ZN9rocsparseL32bsr2csr_block_per_row_2_7_kernelILj256ELj4E21rocsparse_complex_numIfEliEEv20rocsparse_direction_T3_S4_21rocsparse_index_base_PKT1_PKT2_PKS4_S4_S5_PS6_PS9_PS4_.has_recursion, 0
	.set _ZN9rocsparseL32bsr2csr_block_per_row_2_7_kernelILj256ELj4E21rocsparse_complex_numIfEliEEv20rocsparse_direction_T3_S4_21rocsparse_index_base_PKT1_PKT2_PKS4_S4_S5_PS6_PS9_PS4_.has_indirect_call, 0
	.section	.AMDGPU.csdata,"",@progbits
; Kernel info:
; codeLenInByte = 716
; TotalNumSgprs: 20
; NumVgprs: 35
; ScratchSize: 0
; MemoryBound: 0
; FloatMode: 240
; IeeeMode: 1
; LDSByteSize: 0 bytes/workgroup (compile time only)
; SGPRBlocks: 0
; VGPRBlocks: 2
; NumSGPRsForWavesPerEU: 20
; NumVGPRsForWavesPerEU: 35
; NamedBarCnt: 0
; Occupancy: 16
; WaveLimiterHint : 0
; COMPUTE_PGM_RSRC2:SCRATCH_EN: 0
; COMPUTE_PGM_RSRC2:USER_SGPR: 2
; COMPUTE_PGM_RSRC2:TRAP_HANDLER: 0
; COMPUTE_PGM_RSRC2:TGID_X_EN: 1
; COMPUTE_PGM_RSRC2:TGID_Y_EN: 0
; COMPUTE_PGM_RSRC2:TGID_Z_EN: 0
; COMPUTE_PGM_RSRC2:TIDIG_COMP_CNT: 0
	.section	.text._ZN9rocsparseL32bsr2csr_block_per_row_2_7_kernelILj256ELj5E21rocsparse_complex_numIfEliEEv20rocsparse_direction_T3_S4_21rocsparse_index_base_PKT1_PKT2_PKS4_S4_S5_PS6_PS9_PS4_,"axG",@progbits,_ZN9rocsparseL32bsr2csr_block_per_row_2_7_kernelILj256ELj5E21rocsparse_complex_numIfEliEEv20rocsparse_direction_T3_S4_21rocsparse_index_base_PKT1_PKT2_PKS4_S4_S5_PS6_PS9_PS4_,comdat
	.globl	_ZN9rocsparseL32bsr2csr_block_per_row_2_7_kernelILj256ELj5E21rocsparse_complex_numIfEliEEv20rocsparse_direction_T3_S4_21rocsparse_index_base_PKT1_PKT2_PKS4_S4_S5_PS6_PS9_PS4_ ; -- Begin function _ZN9rocsparseL32bsr2csr_block_per_row_2_7_kernelILj256ELj5E21rocsparse_complex_numIfEliEEv20rocsparse_direction_T3_S4_21rocsparse_index_base_PKT1_PKT2_PKS4_S4_S5_PS6_PS9_PS4_
	.p2align	8
	.type	_ZN9rocsparseL32bsr2csr_block_per_row_2_7_kernelILj256ELj5E21rocsparse_complex_numIfEliEEv20rocsparse_direction_T3_S4_21rocsparse_index_base_PKT1_PKT2_PKS4_S4_S5_PS6_PS9_PS4_,@function
_ZN9rocsparseL32bsr2csr_block_per_row_2_7_kernelILj256ELj5E21rocsparse_complex_numIfEliEEv20rocsparse_direction_T3_S4_21rocsparse_index_base_PKT1_PKT2_PKS4_S4_S5_PS6_PS9_PS4_: ; @_ZN9rocsparseL32bsr2csr_block_per_row_2_7_kernelILj256ELj5E21rocsparse_complex_numIfEliEEv20rocsparse_direction_T3_S4_21rocsparse_index_base_PKT1_PKT2_PKS4_S4_S5_PS6_PS9_PS4_
; %bb.0:
	s_clause 0x1
	s_load_b32 s2, s[0:1], 0x2c
	s_load_b64 s[10:11], s[0:1], 0x38
	s_bfe_u32 s3, ttmp6, 0x4000c
	s_and_b32 s4, ttmp6, 15
	s_add_co_i32 s3, s3, 1
	s_getreg_b32 s5, hwreg(HW_REG_IB_STS2, 6, 4)
	s_mul_i32 s3, ttmp9, s3
	s_delay_alu instid0(SALU_CYCLE_1) | instskip(SKIP_3) | instid1(SALU_CYCLE_1)
	s_add_co_i32 s4, s4, s3
	s_cmp_eq_u32 s5, 0
	s_mov_b32 s3, exec_lo
	s_cselect_b32 s12, ttmp9, s4
	v_or_b32_e32 v1, s12, v0
	s_delay_alu instid0(VALU_DEP_1)
	v_cmpx_eq_u32_e32 0, v1
	s_cbranch_execz .LBB173_2
; %bb.1:
	s_wait_kmcnt 0x0
	v_dual_mov_b32 v2, s2 :: v_dual_mov_b32 v3, 0
	global_store_b64 v3, v[2:3], s[10:11]
.LBB173_2:
	s_wait_xcnt 0x0
	s_or_b32 exec_lo, exec_lo, s3
	v_and_b32_e32 v2, 7, v0
	s_mov_b32 s3, exec_lo
	s_delay_alu instid0(VALU_DEP_1)
	v_cmpx_gt_u32_e32 5, v2
	s_cbranch_execz .LBB173_6
; %bb.3:
	s_clause 0x1
	s_load_b64 s[4:5], s[0:1], 0x18
	s_load_b32 s8, s[0:1], 0xc
	s_ashr_i32 s13, s12, 31
	s_mov_b32 s9, 0
	s_lshl_b64 s[6:7], s[12:13], 3
	v_dual_mov_b32 v3, 0 :: v_dual_lshrrev_b32 v4, 3, v0
	s_mov_b32 s3, s9
	s_delay_alu instid0(VALU_DEP_1)
	v_mov_b32_e32 v5, v3
	s_wait_kmcnt 0x0
	s_add_nc_u64 s[14:15], s[4:5], s[6:7]
	s_load_b128 s[4:7], s[14:15], 0x0
	s_wait_kmcnt 0x0
	s_sub_nc_u64 s[14:15], s[4:5], s[8:9]
	s_sub_nc_u64 s[6:7], s[6:7], s[8:9]
	v_add_nc_u64_e32 v[0:1], s[14:15], v[4:5]
	s_sub_nc_u64 s[16:17], s[6:7], s[14:15]
	s_mul_u64 s[18:19], s[14:15], 25
	s_mul_u64 s[16:17], s[16:17], 5
	s_delay_alu instid0(SALU_CYCLE_1)
	v_mul_u64_e32 v[6:7], s[16:17], v[2:3]
	s_add_nc_u64 s[14:15], s[16:17], s[2:3]
	s_mul_i32 s3, s12, 5
	s_add_nc_u64 s[14:15], s[14:15], s[18:19]
	v_cmp_gt_i64_e32 vcc_lo, s[6:7], v[0:1]
	v_add3_u32 v5, v2, s3, 1
	s_delay_alu instid0(VALU_DEP_3)
	v_add_nc_u64_e32 v[8:9], s[14:15], v[6:7]
	global_store_b64 v5, v[8:9], s[10:11] scale_offset
	s_wait_xcnt 0x0
	s_and_b32 exec_lo, exec_lo, vcc_lo
	s_cbranch_execz .LBB173_6
; %bb.4:
	v_mad_nc_u64_u32 v[6:7], s4, 25, v[6:7]
	s_load_b64 s[10:11], s[0:1], 0x10
	v_mul_u32_u24_e32 v12, 5, v2
	v_dual_mov_b32 v13, v3 :: v_dual_lshlrev_b32 v2, 3, v2
	s_delay_alu instid0(VALU_DEP_2) | instskip(NEXT) | instid1(VALU_DEP_4)
	v_lshlrev_b32_e32 v12, 3, v12
	v_mad_u32 v7, s5, 25, v7
	s_clause 0x3
	s_load_b64 s[4:5], s[0:1], 0x30
	s_load_b64 s[12:13], s[0:1], 0x40
	;; [unrolled: 1-line block ×3, first 2 shown]
	s_load_b32 s3, s[0:1], 0x0
	s_wait_xcnt 0x0
	s_mul_u64 s[0:1], s[8:9], 25
	s_delay_alu instid0(VALU_DEP_1) | instskip(SKIP_3) | instid1(VALU_DEP_2)
	v_mad_nc_u64_u32 v[6:7], v4, 5, v[6:7]
	s_wait_kmcnt 0x0
	v_mad_nc_u64_u32 v[4:5], 0xc8, v0, s[10:11]
	s_cmp_eq_u32 s3, 0
	v_sub_nc_u64_e64 v[6:7], v[6:7], s[0:1]
	s_delay_alu instid0(VALU_DEP_2) | instskip(SKIP_1) | instid1(VALU_DEP_2)
	v_mad_u32 v5, 0xc8, v1, v5
	s_cselect_b32 vcc_lo, -1, 0
	v_lshl_add_u64 v[8:9], v[6:7], 3, s[4:5]
	v_lshl_add_u64 v[10:11], v[6:7], 2, s[12:13]
	;; [unrolled: 1-line block ×3, first 2 shown]
	s_delay_alu instid0(VALU_DEP_3) | instskip(NEXT) | instid1(VALU_DEP_3)
	v_add_nc_u64_e32 v[8:9], 16, v[8:9]
	v_add_nc_u64_e32 v[10:11], 12, v[10:11]
.LBB173_5:                              ; =>This Inner Loop Header: Depth=1
	global_load_b32 v34, v[6:7], off
	v_add_nc_u64_e32 v[14:15], v[4:5], v[2:3]
	v_add_nc_u64_e32 v[16:17], v[4:5], v[12:13]
	;; [unrolled: 1-line block ×3, first 2 shown]
	s_wait_xcnt 0x0
	v_add_nc_u64_e32 v[6:7], 0x80, v[6:7]
	v_add_nc_u64_e32 v[4:5], 0x1900, v[4:5]
	;; [unrolled: 1-line block ×8, first 2 shown]
	v_dual_cndmask_b32 v19, v15, v17 :: v_dual_cndmask_b32 v18, v14, v16
	v_add_nc_u64_e32 v[16:17], 32, v[16:17]
	v_add_nc_u64_e32 v[32:33], 0xa0, v[14:15]
	v_dual_cndmask_b32 v23, v23, v21 :: v_dual_cndmask_b32 v22, v22, v20
	v_dual_cndmask_b32 v25, v27, v25 :: v_dual_cndmask_b32 v24, v26, v24
	;; [unrolled: 1-line block ×3, first 2 shown]
	s_delay_alu instid0(VALU_DEP_4)
	v_dual_cndmask_b32 v29, v33, v17 :: v_dual_cndmask_b32 v28, v32, v16
	global_load_b64 v[14:15], v[18:19], off
	global_load_b64 v[16:17], v[22:23], off
	;; [unrolled: 1-line block ×5, first 2 shown]
	v_cmp_le_i64_e64 s0, s[6:7], v[0:1]
	s_wait_loadcnt 0x3
	global_store_b128 v[8:9], v[14:17], off offset:-16
	s_wait_loadcnt 0x1
	global_store_b128 v[8:9], v[18:21], off
	s_wait_loadcnt 0x0
	global_store_b64 v[8:9], v[30:31], off offset:16
	s_wait_xcnt 0x6
	v_subrev_nc_u32_e32 v22, s8, v34
	s_wait_xcnt 0x0
	v_add_nc_u64_e32 v[8:9], 0x500, v[8:9]
	s_or_b32 s9, s0, s9
	s_delay_alu instid0(VALU_DEP_2) | instskip(NEXT) | instid1(VALU_DEP_1)
	v_mad_u32 v22, v22, 5, s2
	v_dual_add_nc_u32 v24, 2, v22 :: v_dual_add_nc_u32 v23, 1, v22
	v_dual_add_nc_u32 v27, 4, v22 :: v_dual_add_nc_u32 v26, 3, v22
	s_clause 0x1
	global_store_b96 v[10:11], v[22:24], off offset:-12
	global_store_b64 v[10:11], v[26:27], off
	s_wait_xcnt 0x0
	v_add_nc_u64_e32 v[10:11], 0x280, v[10:11]
	s_and_not1_b32 exec_lo, exec_lo, s9
	s_cbranch_execnz .LBB173_5
.LBB173_6:
	s_endpgm
	.section	.rodata,"a",@progbits
	.p2align	6, 0x0
	.amdhsa_kernel _ZN9rocsparseL32bsr2csr_block_per_row_2_7_kernelILj256ELj5E21rocsparse_complex_numIfEliEEv20rocsparse_direction_T3_S4_21rocsparse_index_base_PKT1_PKT2_PKS4_S4_S5_PS6_PS9_PS4_
		.amdhsa_group_segment_fixed_size 0
		.amdhsa_private_segment_fixed_size 0
		.amdhsa_kernarg_size 72
		.amdhsa_user_sgpr_count 2
		.amdhsa_user_sgpr_dispatch_ptr 0
		.amdhsa_user_sgpr_queue_ptr 0
		.amdhsa_user_sgpr_kernarg_segment_ptr 1
		.amdhsa_user_sgpr_dispatch_id 0
		.amdhsa_user_sgpr_kernarg_preload_length 0
		.amdhsa_user_sgpr_kernarg_preload_offset 0
		.amdhsa_user_sgpr_private_segment_size 0
		.amdhsa_wavefront_size32 1
		.amdhsa_uses_dynamic_stack 0
		.amdhsa_enable_private_segment 0
		.amdhsa_system_sgpr_workgroup_id_x 1
		.amdhsa_system_sgpr_workgroup_id_y 0
		.amdhsa_system_sgpr_workgroup_id_z 0
		.amdhsa_system_sgpr_workgroup_info 0
		.amdhsa_system_vgpr_workitem_id 0
		.amdhsa_next_free_vgpr 35
		.amdhsa_next_free_sgpr 20
		.amdhsa_named_barrier_count 0
		.amdhsa_reserve_vcc 1
		.amdhsa_float_round_mode_32 0
		.amdhsa_float_round_mode_16_64 0
		.amdhsa_float_denorm_mode_32 3
		.amdhsa_float_denorm_mode_16_64 3
		.amdhsa_fp16_overflow 0
		.amdhsa_memory_ordered 1
		.amdhsa_forward_progress 1
		.amdhsa_inst_pref_size 7
		.amdhsa_round_robin_scheduling 0
		.amdhsa_exception_fp_ieee_invalid_op 0
		.amdhsa_exception_fp_denorm_src 0
		.amdhsa_exception_fp_ieee_div_zero 0
		.amdhsa_exception_fp_ieee_overflow 0
		.amdhsa_exception_fp_ieee_underflow 0
		.amdhsa_exception_fp_ieee_inexact 0
		.amdhsa_exception_int_div_zero 0
	.end_amdhsa_kernel
	.section	.text._ZN9rocsparseL32bsr2csr_block_per_row_2_7_kernelILj256ELj5E21rocsparse_complex_numIfEliEEv20rocsparse_direction_T3_S4_21rocsparse_index_base_PKT1_PKT2_PKS4_S4_S5_PS6_PS9_PS4_,"axG",@progbits,_ZN9rocsparseL32bsr2csr_block_per_row_2_7_kernelILj256ELj5E21rocsparse_complex_numIfEliEEv20rocsparse_direction_T3_S4_21rocsparse_index_base_PKT1_PKT2_PKS4_S4_S5_PS6_PS9_PS4_,comdat
.Lfunc_end173:
	.size	_ZN9rocsparseL32bsr2csr_block_per_row_2_7_kernelILj256ELj5E21rocsparse_complex_numIfEliEEv20rocsparse_direction_T3_S4_21rocsparse_index_base_PKT1_PKT2_PKS4_S4_S5_PS6_PS9_PS4_, .Lfunc_end173-_ZN9rocsparseL32bsr2csr_block_per_row_2_7_kernelILj256ELj5E21rocsparse_complex_numIfEliEEv20rocsparse_direction_T3_S4_21rocsparse_index_base_PKT1_PKT2_PKS4_S4_S5_PS6_PS9_PS4_
                                        ; -- End function
	.set _ZN9rocsparseL32bsr2csr_block_per_row_2_7_kernelILj256ELj5E21rocsparse_complex_numIfEliEEv20rocsparse_direction_T3_S4_21rocsparse_index_base_PKT1_PKT2_PKS4_S4_S5_PS6_PS9_PS4_.num_vgpr, 35
	.set _ZN9rocsparseL32bsr2csr_block_per_row_2_7_kernelILj256ELj5E21rocsparse_complex_numIfEliEEv20rocsparse_direction_T3_S4_21rocsparse_index_base_PKT1_PKT2_PKS4_S4_S5_PS6_PS9_PS4_.num_agpr, 0
	.set _ZN9rocsparseL32bsr2csr_block_per_row_2_7_kernelILj256ELj5E21rocsparse_complex_numIfEliEEv20rocsparse_direction_T3_S4_21rocsparse_index_base_PKT1_PKT2_PKS4_S4_S5_PS6_PS9_PS4_.numbered_sgpr, 20
	.set _ZN9rocsparseL32bsr2csr_block_per_row_2_7_kernelILj256ELj5E21rocsparse_complex_numIfEliEEv20rocsparse_direction_T3_S4_21rocsparse_index_base_PKT1_PKT2_PKS4_S4_S5_PS6_PS9_PS4_.num_named_barrier, 0
	.set _ZN9rocsparseL32bsr2csr_block_per_row_2_7_kernelILj256ELj5E21rocsparse_complex_numIfEliEEv20rocsparse_direction_T3_S4_21rocsparse_index_base_PKT1_PKT2_PKS4_S4_S5_PS6_PS9_PS4_.private_seg_size, 0
	.set _ZN9rocsparseL32bsr2csr_block_per_row_2_7_kernelILj256ELj5E21rocsparse_complex_numIfEliEEv20rocsparse_direction_T3_S4_21rocsparse_index_base_PKT1_PKT2_PKS4_S4_S5_PS6_PS9_PS4_.uses_vcc, 1
	.set _ZN9rocsparseL32bsr2csr_block_per_row_2_7_kernelILj256ELj5E21rocsparse_complex_numIfEliEEv20rocsparse_direction_T3_S4_21rocsparse_index_base_PKT1_PKT2_PKS4_S4_S5_PS6_PS9_PS4_.uses_flat_scratch, 0
	.set _ZN9rocsparseL32bsr2csr_block_per_row_2_7_kernelILj256ELj5E21rocsparse_complex_numIfEliEEv20rocsparse_direction_T3_S4_21rocsparse_index_base_PKT1_PKT2_PKS4_S4_S5_PS6_PS9_PS4_.has_dyn_sized_stack, 0
	.set _ZN9rocsparseL32bsr2csr_block_per_row_2_7_kernelILj256ELj5E21rocsparse_complex_numIfEliEEv20rocsparse_direction_T3_S4_21rocsparse_index_base_PKT1_PKT2_PKS4_S4_S5_PS6_PS9_PS4_.has_recursion, 0
	.set _ZN9rocsparseL32bsr2csr_block_per_row_2_7_kernelILj256ELj5E21rocsparse_complex_numIfEliEEv20rocsparse_direction_T3_S4_21rocsparse_index_base_PKT1_PKT2_PKS4_S4_S5_PS6_PS9_PS4_.has_indirect_call, 0
	.section	.AMDGPU.csdata,"",@progbits
; Kernel info:
; codeLenInByte = 836
; TotalNumSgprs: 22
; NumVgprs: 35
; ScratchSize: 0
; MemoryBound: 0
; FloatMode: 240
; IeeeMode: 1
; LDSByteSize: 0 bytes/workgroup (compile time only)
; SGPRBlocks: 0
; VGPRBlocks: 2
; NumSGPRsForWavesPerEU: 22
; NumVGPRsForWavesPerEU: 35
; NamedBarCnt: 0
; Occupancy: 16
; WaveLimiterHint : 0
; COMPUTE_PGM_RSRC2:SCRATCH_EN: 0
; COMPUTE_PGM_RSRC2:USER_SGPR: 2
; COMPUTE_PGM_RSRC2:TRAP_HANDLER: 0
; COMPUTE_PGM_RSRC2:TGID_X_EN: 1
; COMPUTE_PGM_RSRC2:TGID_Y_EN: 0
; COMPUTE_PGM_RSRC2:TGID_Z_EN: 0
; COMPUTE_PGM_RSRC2:TIDIG_COMP_CNT: 0
	.section	.text._ZN9rocsparseL32bsr2csr_block_per_row_2_7_kernelILj256ELj6E21rocsparse_complex_numIfEliEEv20rocsparse_direction_T3_S4_21rocsparse_index_base_PKT1_PKT2_PKS4_S4_S5_PS6_PS9_PS4_,"axG",@progbits,_ZN9rocsparseL32bsr2csr_block_per_row_2_7_kernelILj256ELj6E21rocsparse_complex_numIfEliEEv20rocsparse_direction_T3_S4_21rocsparse_index_base_PKT1_PKT2_PKS4_S4_S5_PS6_PS9_PS4_,comdat
	.globl	_ZN9rocsparseL32bsr2csr_block_per_row_2_7_kernelILj256ELj6E21rocsparse_complex_numIfEliEEv20rocsparse_direction_T3_S4_21rocsparse_index_base_PKT1_PKT2_PKS4_S4_S5_PS6_PS9_PS4_ ; -- Begin function _ZN9rocsparseL32bsr2csr_block_per_row_2_7_kernelILj256ELj6E21rocsparse_complex_numIfEliEEv20rocsparse_direction_T3_S4_21rocsparse_index_base_PKT1_PKT2_PKS4_S4_S5_PS6_PS9_PS4_
	.p2align	8
	.type	_ZN9rocsparseL32bsr2csr_block_per_row_2_7_kernelILj256ELj6E21rocsparse_complex_numIfEliEEv20rocsparse_direction_T3_S4_21rocsparse_index_base_PKT1_PKT2_PKS4_S4_S5_PS6_PS9_PS4_,@function
_ZN9rocsparseL32bsr2csr_block_per_row_2_7_kernelILj256ELj6E21rocsparse_complex_numIfEliEEv20rocsparse_direction_T3_S4_21rocsparse_index_base_PKT1_PKT2_PKS4_S4_S5_PS6_PS9_PS4_: ; @_ZN9rocsparseL32bsr2csr_block_per_row_2_7_kernelILj256ELj6E21rocsparse_complex_numIfEliEEv20rocsparse_direction_T3_S4_21rocsparse_index_base_PKT1_PKT2_PKS4_S4_S5_PS6_PS9_PS4_
; %bb.0:
	s_clause 0x1
	s_load_b32 s2, s[0:1], 0x2c
	s_load_b64 s[10:11], s[0:1], 0x38
	s_bfe_u32 s3, ttmp6, 0x4000c
	s_and_b32 s4, ttmp6, 15
	s_add_co_i32 s3, s3, 1
	s_getreg_b32 s5, hwreg(HW_REG_IB_STS2, 6, 4)
	s_mul_i32 s3, ttmp9, s3
	s_delay_alu instid0(SALU_CYCLE_1) | instskip(SKIP_3) | instid1(SALU_CYCLE_1)
	s_add_co_i32 s4, s4, s3
	s_cmp_eq_u32 s5, 0
	s_mov_b32 s3, exec_lo
	s_cselect_b32 s12, ttmp9, s4
	v_or_b32_e32 v1, s12, v0
	s_delay_alu instid0(VALU_DEP_1)
	v_cmpx_eq_u32_e32 0, v1
	s_cbranch_execz .LBB174_2
; %bb.1:
	s_wait_kmcnt 0x0
	v_dual_mov_b32 v2, s2 :: v_dual_mov_b32 v3, 0
	global_store_b64 v3, v[2:3], s[10:11]
.LBB174_2:
	s_wait_xcnt 0x0
	s_or_b32 exec_lo, exec_lo, s3
	v_and_b32_e32 v2, 7, v0
	s_mov_b32 s3, exec_lo
	s_delay_alu instid0(VALU_DEP_1)
	v_cmpx_gt_u32_e32 6, v2
	s_cbranch_execz .LBB174_6
; %bb.3:
	s_clause 0x1
	s_load_b64 s[4:5], s[0:1], 0x18
	s_load_b32 s8, s[0:1], 0xc
	s_ashr_i32 s13, s12, 31
	s_mov_b32 s9, 0
	s_lshl_b64 s[6:7], s[12:13], 3
	v_dual_mov_b32 v3, 0 :: v_dual_lshrrev_b32 v4, 3, v0
	s_mov_b32 s3, s9
	s_delay_alu instid0(VALU_DEP_1)
	v_mov_b32_e32 v5, v3
	s_wait_kmcnt 0x0
	s_add_nc_u64 s[14:15], s[4:5], s[6:7]
	s_load_b128 s[4:7], s[14:15], 0x0
	s_wait_kmcnt 0x0
	s_sub_nc_u64 s[14:15], s[4:5], s[8:9]
	s_sub_nc_u64 s[6:7], s[6:7], s[8:9]
	v_add_nc_u64_e32 v[0:1], s[14:15], v[4:5]
	s_sub_nc_u64 s[16:17], s[6:7], s[14:15]
	s_mul_u64 s[18:19], s[14:15], 36
	s_mul_u64 s[16:17], s[16:17], 6
	s_delay_alu instid0(SALU_CYCLE_1)
	v_mul_u64_e32 v[6:7], s[16:17], v[2:3]
	s_add_nc_u64 s[14:15], s[16:17], s[2:3]
	s_mul_i32 s3, s12, 6
	s_add_nc_u64 s[14:15], s[14:15], s[18:19]
	v_cmp_gt_i64_e32 vcc_lo, s[6:7], v[0:1]
	v_add3_u32 v5, v2, s3, 1
	s_delay_alu instid0(VALU_DEP_3)
	v_add_nc_u64_e32 v[8:9], s[14:15], v[6:7]
	global_store_b64 v5, v[8:9], s[10:11] scale_offset
	s_wait_xcnt 0x0
	s_and_b32 exec_lo, exec_lo, vcc_lo
	s_cbranch_execz .LBB174_6
; %bb.4:
	v_mad_nc_u64_u32 v[6:7], s4, 36, v[6:7]
	s_load_b64 s[10:11], s[0:1], 0x10
	v_mul_u32_u24_e32 v12, 6, v2
	v_dual_mov_b32 v13, v3 :: v_dual_lshlrev_b32 v2, 3, v2
	s_delay_alu instid0(VALU_DEP_2) | instskip(NEXT) | instid1(VALU_DEP_4)
	v_lshlrev_b32_e32 v12, 3, v12
	v_mad_u32 v7, s5, 36, v7
	s_clause 0x3
	s_load_b64 s[4:5], s[0:1], 0x30
	s_load_b64 s[12:13], s[0:1], 0x40
	;; [unrolled: 1-line block ×3, first 2 shown]
	s_load_b32 s3, s[0:1], 0x0
	s_wait_xcnt 0x0
	s_mul_u64 s[0:1], s[8:9], 36
	s_delay_alu instid0(VALU_DEP_1) | instskip(SKIP_3) | instid1(VALU_DEP_2)
	v_mad_nc_u64_u32 v[6:7], v4, 6, v[6:7]
	s_wait_kmcnt 0x0
	v_mad_nc_u64_u32 v[4:5], 0x120, v0, s[10:11]
	s_cmp_eq_u32 s3, 0
	v_sub_nc_u64_e64 v[6:7], v[6:7], s[0:1]
	s_delay_alu instid0(VALU_DEP_2) | instskip(SKIP_1) | instid1(VALU_DEP_2)
	v_mad_u32 v5, 0x120, v1, v5
	s_cselect_b32 vcc_lo, -1, 0
	v_lshl_add_u64 v[8:9], v[6:7], 3, s[4:5]
	v_lshl_add_u64 v[10:11], v[6:7], 2, s[12:13]
	;; [unrolled: 1-line block ×3, first 2 shown]
	s_delay_alu instid0(VALU_DEP_3) | instskip(NEXT) | instid1(VALU_DEP_3)
	v_add_nc_u64_e32 v[8:9], 24, v[8:9]
	v_add_nc_u64_e32 v[10:11], 12, v[10:11]
.LBB174_5:                              ; =>This Inner Loop Header: Depth=1
	global_load_b32 v40, v[6:7], off
	v_add_nc_u64_e32 v[14:15], v[4:5], v[2:3]
	v_add_nc_u64_e32 v[16:17], v[4:5], v[12:13]
	;; [unrolled: 1-line block ×3, first 2 shown]
	s_wait_xcnt 0x0
	v_add_nc_u64_e32 v[6:7], 0x80, v[6:7]
	v_add_nc_u64_e32 v[4:5], 0x2400, v[4:5]
	;; [unrolled: 1-line block ×10, first 2 shown]
	v_dual_cndmask_b32 v19, v15, v17 :: v_dual_cndmask_b32 v18, v14, v16
	v_add_nc_u64_e32 v[16:17], 40, v[16:17]
	v_add_nc_u64_e32 v[36:37], 0xf0, v[14:15]
	v_dual_cndmask_b32 v39, v23, v21 :: v_dual_cndmask_b32 v38, v22, v20
	v_dual_cndmask_b32 v27, v27, v25 :: v_dual_cndmask_b32 v26, v26, v24
	;; [unrolled: 1-line block ×5, first 2 shown]
	global_load_b64 v[14:15], v[18:19], off
	global_load_b64 v[16:17], v[38:39], off
	;; [unrolled: 1-line block ×6, first 2 shown]
	v_cmp_le_i64_e64 s0, s[6:7], v[0:1]
	s_wait_loadcnt 0x4
	global_store_b128 v[8:9], v[14:17], off offset:-24
	s_wait_loadcnt 0x2
	global_store_b128 v[8:9], v[18:21], off offset:-8
	s_wait_loadcnt 0x0
	global_store_b128 v[8:9], v[22:25], off offset:8
	s_wait_xcnt 0x6
	v_subrev_nc_u32_e32 v26, s8, v40
	s_wait_xcnt 0x0
	v_add_nc_u64_e32 v[8:9], 0x600, v[8:9]
	s_or_b32 s9, s0, s9
	s_delay_alu instid0(VALU_DEP_2) | instskip(NEXT) | instid1(VALU_DEP_1)
	v_mad_u32 v26, v26, 6, s2
	v_dual_add_nc_u32 v28, 2, v26 :: v_dual_add_nc_u32 v27, 1, v26
	v_dual_add_nc_u32 v31, 4, v26 :: v_dual_add_nc_u32 v30, 3, v26
	v_add_nc_u32_e32 v32, 5, v26
	s_clause 0x1
	global_store_b96 v[10:11], v[26:28], off offset:-12
	global_store_b96 v[10:11], v[30:32], off
	s_wait_xcnt 0x0
	v_add_nc_u64_e32 v[10:11], 0x300, v[10:11]
	s_and_not1_b32 exec_lo, exec_lo, s9
	s_cbranch_execnz .LBB174_5
.LBB174_6:
	s_endpgm
	.section	.rodata,"a",@progbits
	.p2align	6, 0x0
	.amdhsa_kernel _ZN9rocsparseL32bsr2csr_block_per_row_2_7_kernelILj256ELj6E21rocsparse_complex_numIfEliEEv20rocsparse_direction_T3_S4_21rocsparse_index_base_PKT1_PKT2_PKS4_S4_S5_PS6_PS9_PS4_
		.amdhsa_group_segment_fixed_size 0
		.amdhsa_private_segment_fixed_size 0
		.amdhsa_kernarg_size 72
		.amdhsa_user_sgpr_count 2
		.amdhsa_user_sgpr_dispatch_ptr 0
		.amdhsa_user_sgpr_queue_ptr 0
		.amdhsa_user_sgpr_kernarg_segment_ptr 1
		.amdhsa_user_sgpr_dispatch_id 0
		.amdhsa_user_sgpr_kernarg_preload_length 0
		.amdhsa_user_sgpr_kernarg_preload_offset 0
		.amdhsa_user_sgpr_private_segment_size 0
		.amdhsa_wavefront_size32 1
		.amdhsa_uses_dynamic_stack 0
		.amdhsa_enable_private_segment 0
		.amdhsa_system_sgpr_workgroup_id_x 1
		.amdhsa_system_sgpr_workgroup_id_y 0
		.amdhsa_system_sgpr_workgroup_id_z 0
		.amdhsa_system_sgpr_workgroup_info 0
		.amdhsa_system_vgpr_workitem_id 0
		.amdhsa_next_free_vgpr 41
		.amdhsa_next_free_sgpr 20
		.amdhsa_named_barrier_count 0
		.amdhsa_reserve_vcc 1
		.amdhsa_float_round_mode_32 0
		.amdhsa_float_round_mode_16_64 0
		.amdhsa_float_denorm_mode_32 3
		.amdhsa_float_denorm_mode_16_64 3
		.amdhsa_fp16_overflow 0
		.amdhsa_memory_ordered 1
		.amdhsa_forward_progress 1
		.amdhsa_inst_pref_size 7
		.amdhsa_round_robin_scheduling 0
		.amdhsa_exception_fp_ieee_invalid_op 0
		.amdhsa_exception_fp_denorm_src 0
		.amdhsa_exception_fp_ieee_div_zero 0
		.amdhsa_exception_fp_ieee_overflow 0
		.amdhsa_exception_fp_ieee_underflow 0
		.amdhsa_exception_fp_ieee_inexact 0
		.amdhsa_exception_int_div_zero 0
	.end_amdhsa_kernel
	.section	.text._ZN9rocsparseL32bsr2csr_block_per_row_2_7_kernelILj256ELj6E21rocsparse_complex_numIfEliEEv20rocsparse_direction_T3_S4_21rocsparse_index_base_PKT1_PKT2_PKS4_S4_S5_PS6_PS9_PS4_,"axG",@progbits,_ZN9rocsparseL32bsr2csr_block_per_row_2_7_kernelILj256ELj6E21rocsparse_complex_numIfEliEEv20rocsparse_direction_T3_S4_21rocsparse_index_base_PKT1_PKT2_PKS4_S4_S5_PS6_PS9_PS4_,comdat
.Lfunc_end174:
	.size	_ZN9rocsparseL32bsr2csr_block_per_row_2_7_kernelILj256ELj6E21rocsparse_complex_numIfEliEEv20rocsparse_direction_T3_S4_21rocsparse_index_base_PKT1_PKT2_PKS4_S4_S5_PS6_PS9_PS4_, .Lfunc_end174-_ZN9rocsparseL32bsr2csr_block_per_row_2_7_kernelILj256ELj6E21rocsparse_complex_numIfEliEEv20rocsparse_direction_T3_S4_21rocsparse_index_base_PKT1_PKT2_PKS4_S4_S5_PS6_PS9_PS4_
                                        ; -- End function
	.set _ZN9rocsparseL32bsr2csr_block_per_row_2_7_kernelILj256ELj6E21rocsparse_complex_numIfEliEEv20rocsparse_direction_T3_S4_21rocsparse_index_base_PKT1_PKT2_PKS4_S4_S5_PS6_PS9_PS4_.num_vgpr, 41
	.set _ZN9rocsparseL32bsr2csr_block_per_row_2_7_kernelILj256ELj6E21rocsparse_complex_numIfEliEEv20rocsparse_direction_T3_S4_21rocsparse_index_base_PKT1_PKT2_PKS4_S4_S5_PS6_PS9_PS4_.num_agpr, 0
	.set _ZN9rocsparseL32bsr2csr_block_per_row_2_7_kernelILj256ELj6E21rocsparse_complex_numIfEliEEv20rocsparse_direction_T3_S4_21rocsparse_index_base_PKT1_PKT2_PKS4_S4_S5_PS6_PS9_PS4_.numbered_sgpr, 20
	.set _ZN9rocsparseL32bsr2csr_block_per_row_2_7_kernelILj256ELj6E21rocsparse_complex_numIfEliEEv20rocsparse_direction_T3_S4_21rocsparse_index_base_PKT1_PKT2_PKS4_S4_S5_PS6_PS9_PS4_.num_named_barrier, 0
	.set _ZN9rocsparseL32bsr2csr_block_per_row_2_7_kernelILj256ELj6E21rocsparse_complex_numIfEliEEv20rocsparse_direction_T3_S4_21rocsparse_index_base_PKT1_PKT2_PKS4_S4_S5_PS6_PS9_PS4_.private_seg_size, 0
	.set _ZN9rocsparseL32bsr2csr_block_per_row_2_7_kernelILj256ELj6E21rocsparse_complex_numIfEliEEv20rocsparse_direction_T3_S4_21rocsparse_index_base_PKT1_PKT2_PKS4_S4_S5_PS6_PS9_PS4_.uses_vcc, 1
	.set _ZN9rocsparseL32bsr2csr_block_per_row_2_7_kernelILj256ELj6E21rocsparse_complex_numIfEliEEv20rocsparse_direction_T3_S4_21rocsparse_index_base_PKT1_PKT2_PKS4_S4_S5_PS6_PS9_PS4_.uses_flat_scratch, 0
	.set _ZN9rocsparseL32bsr2csr_block_per_row_2_7_kernelILj256ELj6E21rocsparse_complex_numIfEliEEv20rocsparse_direction_T3_S4_21rocsparse_index_base_PKT1_PKT2_PKS4_S4_S5_PS6_PS9_PS4_.has_dyn_sized_stack, 0
	.set _ZN9rocsparseL32bsr2csr_block_per_row_2_7_kernelILj256ELj6E21rocsparse_complex_numIfEliEEv20rocsparse_direction_T3_S4_21rocsparse_index_base_PKT1_PKT2_PKS4_S4_S5_PS6_PS9_PS4_.has_recursion, 0
	.set _ZN9rocsparseL32bsr2csr_block_per_row_2_7_kernelILj256ELj6E21rocsparse_complex_numIfEliEEv20rocsparse_direction_T3_S4_21rocsparse_index_base_PKT1_PKT2_PKS4_S4_S5_PS6_PS9_PS4_.has_indirect_call, 0
	.section	.AMDGPU.csdata,"",@progbits
; Kernel info:
; codeLenInByte = 868
; TotalNumSgprs: 22
; NumVgprs: 41
; ScratchSize: 0
; MemoryBound: 0
; FloatMode: 240
; IeeeMode: 1
; LDSByteSize: 0 bytes/workgroup (compile time only)
; SGPRBlocks: 0
; VGPRBlocks: 2
; NumSGPRsForWavesPerEU: 22
; NumVGPRsForWavesPerEU: 41
; NamedBarCnt: 0
; Occupancy: 16
; WaveLimiterHint : 0
; COMPUTE_PGM_RSRC2:SCRATCH_EN: 0
; COMPUTE_PGM_RSRC2:USER_SGPR: 2
; COMPUTE_PGM_RSRC2:TRAP_HANDLER: 0
; COMPUTE_PGM_RSRC2:TGID_X_EN: 1
; COMPUTE_PGM_RSRC2:TGID_Y_EN: 0
; COMPUTE_PGM_RSRC2:TGID_Z_EN: 0
; COMPUTE_PGM_RSRC2:TIDIG_COMP_CNT: 0
	.section	.text._ZN9rocsparseL32bsr2csr_block_per_row_2_7_kernelILj256ELj7E21rocsparse_complex_numIfEliEEv20rocsparse_direction_T3_S4_21rocsparse_index_base_PKT1_PKT2_PKS4_S4_S5_PS6_PS9_PS4_,"axG",@progbits,_ZN9rocsparseL32bsr2csr_block_per_row_2_7_kernelILj256ELj7E21rocsparse_complex_numIfEliEEv20rocsparse_direction_T3_S4_21rocsparse_index_base_PKT1_PKT2_PKS4_S4_S5_PS6_PS9_PS4_,comdat
	.globl	_ZN9rocsparseL32bsr2csr_block_per_row_2_7_kernelILj256ELj7E21rocsparse_complex_numIfEliEEv20rocsparse_direction_T3_S4_21rocsparse_index_base_PKT1_PKT2_PKS4_S4_S5_PS6_PS9_PS4_ ; -- Begin function _ZN9rocsparseL32bsr2csr_block_per_row_2_7_kernelILj256ELj7E21rocsparse_complex_numIfEliEEv20rocsparse_direction_T3_S4_21rocsparse_index_base_PKT1_PKT2_PKS4_S4_S5_PS6_PS9_PS4_
	.p2align	8
	.type	_ZN9rocsparseL32bsr2csr_block_per_row_2_7_kernelILj256ELj7E21rocsparse_complex_numIfEliEEv20rocsparse_direction_T3_S4_21rocsparse_index_base_PKT1_PKT2_PKS4_S4_S5_PS6_PS9_PS4_,@function
_ZN9rocsparseL32bsr2csr_block_per_row_2_7_kernelILj256ELj7E21rocsparse_complex_numIfEliEEv20rocsparse_direction_T3_S4_21rocsparse_index_base_PKT1_PKT2_PKS4_S4_S5_PS6_PS9_PS4_: ; @_ZN9rocsparseL32bsr2csr_block_per_row_2_7_kernelILj256ELj7E21rocsparse_complex_numIfEliEEv20rocsparse_direction_T3_S4_21rocsparse_index_base_PKT1_PKT2_PKS4_S4_S5_PS6_PS9_PS4_
; %bb.0:
	s_clause 0x1
	s_load_b32 s2, s[0:1], 0x2c
	s_load_b64 s[10:11], s[0:1], 0x38
	s_bfe_u32 s3, ttmp6, 0x4000c
	s_and_b32 s4, ttmp6, 15
	s_add_co_i32 s3, s3, 1
	s_getreg_b32 s5, hwreg(HW_REG_IB_STS2, 6, 4)
	s_mul_i32 s3, ttmp9, s3
	s_delay_alu instid0(SALU_CYCLE_1) | instskip(SKIP_3) | instid1(SALU_CYCLE_1)
	s_add_co_i32 s4, s4, s3
	s_cmp_eq_u32 s5, 0
	s_mov_b32 s3, exec_lo
	s_cselect_b32 s12, ttmp9, s4
	v_or_b32_e32 v1, s12, v0
	s_delay_alu instid0(VALU_DEP_1)
	v_cmpx_eq_u32_e32 0, v1
	s_cbranch_execz .LBB175_2
; %bb.1:
	s_wait_kmcnt 0x0
	v_dual_mov_b32 v2, s2 :: v_dual_mov_b32 v3, 0
	global_store_b64 v3, v[2:3], s[10:11]
.LBB175_2:
	s_wait_xcnt 0x0
	s_or_b32 exec_lo, exec_lo, s3
	v_and_b32_e32 v2, 7, v0
	s_mov_b32 s3, exec_lo
	s_delay_alu instid0(VALU_DEP_1)
	v_cmpx_ne_u32_e32 7, v2
	s_cbranch_execz .LBB175_6
; %bb.3:
	s_clause 0x1
	s_load_b64 s[4:5], s[0:1], 0x18
	s_load_b32 s8, s[0:1], 0xc
	s_ashr_i32 s13, s12, 31
	s_mov_b32 s9, 0
	s_lshl_b64 s[6:7], s[12:13], 3
	v_dual_mov_b32 v3, 0 :: v_dual_lshrrev_b32 v4, 3, v0
	s_mov_b32 s3, s9
	s_delay_alu instid0(VALU_DEP_1)
	v_mov_b32_e32 v5, v3
	s_wait_kmcnt 0x0
	s_add_nc_u64 s[14:15], s[4:5], s[6:7]
	s_load_b128 s[4:7], s[14:15], 0x0
	s_wait_kmcnt 0x0
	s_sub_nc_u64 s[14:15], s[4:5], s[8:9]
	s_sub_nc_u64 s[6:7], s[6:7], s[8:9]
	v_add_nc_u64_e32 v[0:1], s[14:15], v[4:5]
	s_sub_nc_u64 s[16:17], s[6:7], s[14:15]
	s_mul_u64 s[18:19], s[14:15], 49
	s_mul_u64 s[16:17], s[16:17], 7
	s_delay_alu instid0(SALU_CYCLE_1)
	v_mul_u64_e32 v[6:7], s[16:17], v[2:3]
	s_add_nc_u64 s[14:15], s[16:17], s[2:3]
	s_mul_i32 s3, s12, 7
	s_add_nc_u64 s[14:15], s[14:15], s[18:19]
	v_cmp_gt_i64_e32 vcc_lo, s[6:7], v[0:1]
	v_add3_u32 v5, v2, s3, 1
	s_delay_alu instid0(VALU_DEP_3)
	v_add_nc_u64_e32 v[8:9], s[14:15], v[6:7]
	global_store_b64 v5, v[8:9], s[10:11] scale_offset
	s_wait_xcnt 0x0
	s_and_b32 exec_lo, exec_lo, vcc_lo
	s_cbranch_execz .LBB175_6
; %bb.4:
	v_mad_nc_u64_u32 v[6:7], s4, 49, v[6:7]
	s_load_b64 s[10:11], s[0:1], 0x10
	v_mul_u32_u24_e32 v12, 7, v2
	v_dual_mov_b32 v13, v3 :: v_dual_lshlrev_b32 v2, 3, v2
	s_delay_alu instid0(VALU_DEP_2) | instskip(NEXT) | instid1(VALU_DEP_4)
	v_lshlrev_b32_e32 v12, 3, v12
	v_mad_u32 v7, s5, 49, v7
	s_clause 0x3
	s_load_b64 s[4:5], s[0:1], 0x30
	s_load_b64 s[12:13], s[0:1], 0x40
	;; [unrolled: 1-line block ×3, first 2 shown]
	s_load_b32 s3, s[0:1], 0x0
	s_wait_xcnt 0x0
	s_mul_u64 s[0:1], s[8:9], 49
	s_delay_alu instid0(VALU_DEP_1) | instskip(SKIP_3) | instid1(VALU_DEP_2)
	v_mad_nc_u64_u32 v[6:7], v4, 7, v[6:7]
	s_wait_kmcnt 0x0
	v_mad_nc_u64_u32 v[4:5], 0x188, v0, s[10:11]
	s_cmp_eq_u32 s3, 0
	v_sub_nc_u64_e64 v[6:7], v[6:7], s[0:1]
	s_delay_alu instid0(VALU_DEP_2) | instskip(SKIP_1) | instid1(VALU_DEP_2)
	v_mad_u32 v5, 0x188, v1, v5
	s_cselect_b32 vcc_lo, -1, 0
	v_lshl_add_u64 v[8:9], v[6:7], 3, s[4:5]
	v_lshl_add_u64 v[10:11], v[6:7], 2, s[12:13]
	;; [unrolled: 1-line block ×3, first 2 shown]
	s_delay_alu instid0(VALU_DEP_3) | instskip(NEXT) | instid1(VALU_DEP_3)
	v_add_nc_u64_e32 v[8:9], 24, v[8:9]
	v_add_nc_u64_e32 v[10:11], 20, v[10:11]
.LBB175_5:                              ; =>This Inner Loop Header: Depth=1
	global_load_b32 v44, v[6:7], off
	v_add_nc_u64_e32 v[14:15], v[4:5], v[2:3]
	v_add_nc_u64_e32 v[16:17], v[4:5], v[12:13]
	;; [unrolled: 1-line block ×3, first 2 shown]
	s_wait_xcnt 0x0
	v_add_nc_u64_e32 v[6:7], 0x80, v[6:7]
	v_add_nc_u64_e32 v[4:5], 0x3100, v[4:5]
	;; [unrolled: 1-line block ×12, first 2 shown]
	v_dual_cndmask_b32 v19, v15, v17 :: v_dual_cndmask_b32 v18, v14, v16
	v_add_nc_u64_e32 v[16:17], 48, v[16:17]
	v_add_nc_u64_e32 v[40:41], 0x150, v[14:15]
	v_dual_cndmask_b32 v43, v23, v21 :: v_dual_cndmask_b32 v42, v22, v20
	v_dual_cndmask_b32 v27, v27, v25 :: v_dual_cndmask_b32 v26, v26, v24
	;; [unrolled: 1-line block ×5, first 2 shown]
	global_load_b64 v[14:15], v[18:19], off
	v_dual_cndmask_b32 v35, v41, v17 :: v_dual_cndmask_b32 v34, v40, v16
	global_load_b64 v[16:17], v[42:43], off
	global_load_b64 v[18:19], v[26:27], off
	;; [unrolled: 1-line block ×6, first 2 shown]
	v_cmp_le_i64_e64 s0, s[6:7], v[0:1]
	s_wait_loadcnt 0x5
	global_store_b128 v[8:9], v[14:17], off offset:-24
	s_wait_loadcnt 0x3
	global_store_b128 v[8:9], v[18:21], off offset:-8
	s_wait_loadcnt 0x1
	global_store_b128 v[8:9], v[22:25], off offset:8
	s_wait_loadcnt 0x0
	global_store_b64 v[8:9], v[36:37], off offset:24
	s_wait_xcnt 0x8
	v_subrev_nc_u32_e32 v26, s8, v44
	s_wait_xcnt 0x0
	v_add_nc_u64_e32 v[8:9], 0x700, v[8:9]
	s_or_b32 s9, s0, s9
	s_delay_alu instid0(VALU_DEP_2) | instskip(NEXT) | instid1(VALU_DEP_1)
	v_mad_u32 v30, v26, 7, s2
	v_dual_add_nc_u32 v32, 2, v30 :: v_dual_add_nc_u32 v31, 1, v30
	v_dual_add_nc_u32 v27, 4, v30 :: v_dual_add_nc_u32 v26, 3, v30
	;; [unrolled: 1-line block ×3, first 2 shown]
	s_clause 0x1
	global_store_b96 v[10:11], v[30:32], off offset:-20
	global_store_b128 v[10:11], v[26:29], off offset:-8
	s_wait_xcnt 0x0
	v_add_nc_u64_e32 v[10:11], 0x380, v[10:11]
	s_and_not1_b32 exec_lo, exec_lo, s9
	s_cbranch_execnz .LBB175_5
.LBB175_6:
	s_endpgm
	.section	.rodata,"a",@progbits
	.p2align	6, 0x0
	.amdhsa_kernel _ZN9rocsparseL32bsr2csr_block_per_row_2_7_kernelILj256ELj7E21rocsparse_complex_numIfEliEEv20rocsparse_direction_T3_S4_21rocsparse_index_base_PKT1_PKT2_PKS4_S4_S5_PS6_PS9_PS4_
		.amdhsa_group_segment_fixed_size 0
		.amdhsa_private_segment_fixed_size 0
		.amdhsa_kernarg_size 72
		.amdhsa_user_sgpr_count 2
		.amdhsa_user_sgpr_dispatch_ptr 0
		.amdhsa_user_sgpr_queue_ptr 0
		.amdhsa_user_sgpr_kernarg_segment_ptr 1
		.amdhsa_user_sgpr_dispatch_id 0
		.amdhsa_user_sgpr_kernarg_preload_length 0
		.amdhsa_user_sgpr_kernarg_preload_offset 0
		.amdhsa_user_sgpr_private_segment_size 0
		.amdhsa_wavefront_size32 1
		.amdhsa_uses_dynamic_stack 0
		.amdhsa_enable_private_segment 0
		.amdhsa_system_sgpr_workgroup_id_x 1
		.amdhsa_system_sgpr_workgroup_id_y 0
		.amdhsa_system_sgpr_workgroup_id_z 0
		.amdhsa_system_sgpr_workgroup_info 0
		.amdhsa_system_vgpr_workitem_id 0
		.amdhsa_next_free_vgpr 45
		.amdhsa_next_free_sgpr 20
		.amdhsa_named_barrier_count 0
		.amdhsa_reserve_vcc 1
		.amdhsa_float_round_mode_32 0
		.amdhsa_float_round_mode_16_64 0
		.amdhsa_float_denorm_mode_32 3
		.amdhsa_float_denorm_mode_16_64 3
		.amdhsa_fp16_overflow 0
		.amdhsa_memory_ordered 1
		.amdhsa_forward_progress 1
		.amdhsa_inst_pref_size 8
		.amdhsa_round_robin_scheduling 0
		.amdhsa_exception_fp_ieee_invalid_op 0
		.amdhsa_exception_fp_denorm_src 0
		.amdhsa_exception_fp_ieee_div_zero 0
		.amdhsa_exception_fp_ieee_overflow 0
		.amdhsa_exception_fp_ieee_underflow 0
		.amdhsa_exception_fp_ieee_inexact 0
		.amdhsa_exception_int_div_zero 0
	.end_amdhsa_kernel
	.section	.text._ZN9rocsparseL32bsr2csr_block_per_row_2_7_kernelILj256ELj7E21rocsparse_complex_numIfEliEEv20rocsparse_direction_T3_S4_21rocsparse_index_base_PKT1_PKT2_PKS4_S4_S5_PS6_PS9_PS4_,"axG",@progbits,_ZN9rocsparseL32bsr2csr_block_per_row_2_7_kernelILj256ELj7E21rocsparse_complex_numIfEliEEv20rocsparse_direction_T3_S4_21rocsparse_index_base_PKT1_PKT2_PKS4_S4_S5_PS6_PS9_PS4_,comdat
.Lfunc_end175:
	.size	_ZN9rocsparseL32bsr2csr_block_per_row_2_7_kernelILj256ELj7E21rocsparse_complex_numIfEliEEv20rocsparse_direction_T3_S4_21rocsparse_index_base_PKT1_PKT2_PKS4_S4_S5_PS6_PS9_PS4_, .Lfunc_end175-_ZN9rocsparseL32bsr2csr_block_per_row_2_7_kernelILj256ELj7E21rocsparse_complex_numIfEliEEv20rocsparse_direction_T3_S4_21rocsparse_index_base_PKT1_PKT2_PKS4_S4_S5_PS6_PS9_PS4_
                                        ; -- End function
	.set _ZN9rocsparseL32bsr2csr_block_per_row_2_7_kernelILj256ELj7E21rocsparse_complex_numIfEliEEv20rocsparse_direction_T3_S4_21rocsparse_index_base_PKT1_PKT2_PKS4_S4_S5_PS6_PS9_PS4_.num_vgpr, 45
	.set _ZN9rocsparseL32bsr2csr_block_per_row_2_7_kernelILj256ELj7E21rocsparse_complex_numIfEliEEv20rocsparse_direction_T3_S4_21rocsparse_index_base_PKT1_PKT2_PKS4_S4_S5_PS6_PS9_PS4_.num_agpr, 0
	.set _ZN9rocsparseL32bsr2csr_block_per_row_2_7_kernelILj256ELj7E21rocsparse_complex_numIfEliEEv20rocsparse_direction_T3_S4_21rocsparse_index_base_PKT1_PKT2_PKS4_S4_S5_PS6_PS9_PS4_.numbered_sgpr, 20
	.set _ZN9rocsparseL32bsr2csr_block_per_row_2_7_kernelILj256ELj7E21rocsparse_complex_numIfEliEEv20rocsparse_direction_T3_S4_21rocsparse_index_base_PKT1_PKT2_PKS4_S4_S5_PS6_PS9_PS4_.num_named_barrier, 0
	.set _ZN9rocsparseL32bsr2csr_block_per_row_2_7_kernelILj256ELj7E21rocsparse_complex_numIfEliEEv20rocsparse_direction_T3_S4_21rocsparse_index_base_PKT1_PKT2_PKS4_S4_S5_PS6_PS9_PS4_.private_seg_size, 0
	.set _ZN9rocsparseL32bsr2csr_block_per_row_2_7_kernelILj256ELj7E21rocsparse_complex_numIfEliEEv20rocsparse_direction_T3_S4_21rocsparse_index_base_PKT1_PKT2_PKS4_S4_S5_PS6_PS9_PS4_.uses_vcc, 1
	.set _ZN9rocsparseL32bsr2csr_block_per_row_2_7_kernelILj256ELj7E21rocsparse_complex_numIfEliEEv20rocsparse_direction_T3_S4_21rocsparse_index_base_PKT1_PKT2_PKS4_S4_S5_PS6_PS9_PS4_.uses_flat_scratch, 0
	.set _ZN9rocsparseL32bsr2csr_block_per_row_2_7_kernelILj256ELj7E21rocsparse_complex_numIfEliEEv20rocsparse_direction_T3_S4_21rocsparse_index_base_PKT1_PKT2_PKS4_S4_S5_PS6_PS9_PS4_.has_dyn_sized_stack, 0
	.set _ZN9rocsparseL32bsr2csr_block_per_row_2_7_kernelILj256ELj7E21rocsparse_complex_numIfEliEEv20rocsparse_direction_T3_S4_21rocsparse_index_base_PKT1_PKT2_PKS4_S4_S5_PS6_PS9_PS4_.has_recursion, 0
	.set _ZN9rocsparseL32bsr2csr_block_per_row_2_7_kernelILj256ELj7E21rocsparse_complex_numIfEliEEv20rocsparse_direction_T3_S4_21rocsparse_index_base_PKT1_PKT2_PKS4_S4_S5_PS6_PS9_PS4_.has_indirect_call, 0
	.section	.AMDGPU.csdata,"",@progbits
; Kernel info:
; codeLenInByte = 924
; TotalNumSgprs: 22
; NumVgprs: 45
; ScratchSize: 0
; MemoryBound: 0
; FloatMode: 240
; IeeeMode: 1
; LDSByteSize: 0 bytes/workgroup (compile time only)
; SGPRBlocks: 0
; VGPRBlocks: 2
; NumSGPRsForWavesPerEU: 22
; NumVGPRsForWavesPerEU: 45
; NamedBarCnt: 0
; Occupancy: 16
; WaveLimiterHint : 0
; COMPUTE_PGM_RSRC2:SCRATCH_EN: 0
; COMPUTE_PGM_RSRC2:USER_SGPR: 2
; COMPUTE_PGM_RSRC2:TRAP_HANDLER: 0
; COMPUTE_PGM_RSRC2:TGID_X_EN: 1
; COMPUTE_PGM_RSRC2:TGID_Y_EN: 0
; COMPUTE_PGM_RSRC2:TGID_Z_EN: 0
; COMPUTE_PGM_RSRC2:TIDIG_COMP_CNT: 0
	.section	.text._ZN9rocsparseL33bsr2csr_block_per_row_8_32_kernelILj1024ELj8E21rocsparse_complex_numIfEliEEv20rocsparse_direction_T3_S4_21rocsparse_index_base_PKT1_PKT2_PKS4_S4_S5_PS6_PS9_PS4_,"axG",@progbits,_ZN9rocsparseL33bsr2csr_block_per_row_8_32_kernelILj1024ELj8E21rocsparse_complex_numIfEliEEv20rocsparse_direction_T3_S4_21rocsparse_index_base_PKT1_PKT2_PKS4_S4_S5_PS6_PS9_PS4_,comdat
	.globl	_ZN9rocsparseL33bsr2csr_block_per_row_8_32_kernelILj1024ELj8E21rocsparse_complex_numIfEliEEv20rocsparse_direction_T3_S4_21rocsparse_index_base_PKT1_PKT2_PKS4_S4_S5_PS6_PS9_PS4_ ; -- Begin function _ZN9rocsparseL33bsr2csr_block_per_row_8_32_kernelILj1024ELj8E21rocsparse_complex_numIfEliEEv20rocsparse_direction_T3_S4_21rocsparse_index_base_PKT1_PKT2_PKS4_S4_S5_PS6_PS9_PS4_
	.p2align	8
	.type	_ZN9rocsparseL33bsr2csr_block_per_row_8_32_kernelILj1024ELj8E21rocsparse_complex_numIfEliEEv20rocsparse_direction_T3_S4_21rocsparse_index_base_PKT1_PKT2_PKS4_S4_S5_PS6_PS9_PS4_,@function
_ZN9rocsparseL33bsr2csr_block_per_row_8_32_kernelILj1024ELj8E21rocsparse_complex_numIfEliEEv20rocsparse_direction_T3_S4_21rocsparse_index_base_PKT1_PKT2_PKS4_S4_S5_PS6_PS9_PS4_: ; @_ZN9rocsparseL33bsr2csr_block_per_row_8_32_kernelILj1024ELj8E21rocsparse_complex_numIfEliEEv20rocsparse_direction_T3_S4_21rocsparse_index_base_PKT1_PKT2_PKS4_S4_S5_PS6_PS9_PS4_
; %bb.0:
	s_clause 0x1
	s_load_b64 s[2:3], s[0:1], 0x28
	s_load_b64 s[12:13], s[0:1], 0x38
	s_bfe_u32 s4, ttmp6, 0x4000c
	s_and_b32 s5, ttmp6, 15
	s_add_co_i32 s4, s4, 1
	s_getreg_b32 s6, hwreg(HW_REG_IB_STS2, 6, 4)
	s_mul_i32 s4, ttmp9, s4
	s_delay_alu instid0(SALU_CYCLE_1) | instskip(SKIP_3) | instid1(SALU_CYCLE_1)
	s_add_co_i32 s5, s5, s4
	s_cmp_eq_u32 s6, 0
	s_mov_b32 s4, exec_lo
	s_cselect_b32 s14, ttmp9, s5
	v_or_b32_e32 v1, s14, v0
	s_delay_alu instid0(VALU_DEP_1)
	v_cmpx_eq_u32_e32 0, v1
	s_cbranch_execz .LBB176_2
; %bb.1:
	s_wait_kmcnt 0x0
	v_dual_mov_b32 v2, s3 :: v_dual_mov_b32 v3, 0
	global_store_b64 v3, v[2:3], s[12:13]
.LBB176_2:
	s_wait_xcnt 0x0
	s_or_b32 exec_lo, exec_lo, s4
	v_and_b32_e32 v2, 7, v0
	v_bfe_u32 v3, v0, 3, 3
	s_mov_b32 s4, exec_lo
	s_delay_alu instid0(VALU_DEP_1) | instskip(SKIP_1) | instid1(VALU_DEP_1)
	v_max_i32_e32 v1, v3, v2
	s_wait_kmcnt 0x0
	v_cmpx_gt_i32_e64 s2, v1
	s_cbranch_execz .LBB176_6
; %bb.3:
	s_clause 0x1
	s_load_b64 s[6:7], s[0:1], 0x18
	s_load_b32 s4, s[0:1], 0xc
	s_ashr_i32 s15, s14, 31
	s_mov_b32 s10, s2
	s_lshl_b64 s[8:9], s[14:15], 3
	s_mov_b32 s20, s3
	v_dual_mov_b32 v5, 0 :: v_dual_lshrrev_b32 v4, 6, v0
	v_mad_u32 v8, s2, s14, v3
	s_wait_kmcnt 0x0
	s_add_nc_u64 s[6:7], s[6:7], s[8:9]
	s_load_b128 s[16:19], s[6:7], 0x0
	s_wait_xcnt 0x0
	s_mov_b32 s7, 0
	s_mul_i32 s6, s2, s2
	s_mov_b32 s5, s7
	s_mov_b32 s11, s7
	;; [unrolled: 1-line block ×3, first 2 shown]
	s_wait_kmcnt 0x0
	s_sub_nc_u64 s[22:23], s[16:17], s[4:5]
	s_sub_nc_u64 s[8:9], s[18:19], s[4:5]
	s_mul_u64 s[18:19], s[22:23], s[6:7]
	s_sub_nc_u64 s[16:17], s[8:9], s[22:23]
	v_add_nc_u64_e32 v[0:1], s[22:23], v[4:5]
	s_mul_u64 s[24:25], s[16:17], s[10:11]
	s_delay_alu instid0(SALU_CYCLE_1) | instskip(NEXT) | instid1(SALU_CYCLE_1)
	s_add_nc_u64 s[20:21], s[24:25], s[20:21]
	s_add_nc_u64 s[20:21], s[20:21], s[18:19]
	s_delay_alu instid0(SALU_CYCLE_1) | instskip(NEXT) | instid1(VALU_DEP_2)
	v_mad_nc_u64_u32 v[6:7], s24, v3, s[20:21]
	v_cmp_gt_i64_e32 vcc_lo, s[8:9], v[0:1]
	s_delay_alu instid0(VALU_DEP_2)
	v_mad_u32 v7, s25, v3, v7
	global_store_b64 v8, v[6:7], s[12:13] offset:8 scale_offset
	s_wait_xcnt 0x0
	s_and_b32 exec_lo, exec_lo, vcc_lo
	s_cbranch_execz .LBB176_6
; %bb.4:
	v_mad_nc_u64_u32 v[6:7], s16, v3, v[4:5]
	s_clause 0x3
	s_load_b64 s[12:13], s[0:1], 0x10
	s_load_b64 s[14:15], s[0:1], 0x20
	;; [unrolled: 1-line block ×3, first 2 shown]
	s_load_b32 s5, s[0:1], 0x0
	v_mul_u64_e32 v[8:9], s[6:7], v[0:1]
	v_mul_lo_u32 v10, s2, v2
	v_mul_lo_u32 v12, s2, v3
	v_dual_mov_b32 v11, v5 :: v_dual_lshlrev_b32 v14, 3, v3
	v_dual_mov_b32 v13, v5 :: v_dual_mov_b32 v15, v5
	s_wait_xcnt 0x0
	s_load_b64 s[0:1], s[0:1], 0x40
	v_dual_mov_b32 v17, v5 :: v_dual_lshlrev_b32 v16, 3, v2
	v_mad_u32 v4, s17, v3, v7
	v_mad_nc_u64_u32 v[6:7], v6, s10, s[18:19]
	s_wait_kmcnt 0x0
	v_lshl_add_u64 v[10:11], v[10:11], 3, s[12:13]
	v_lshl_add_u64 v[12:13], v[12:13], 3, s[12:13]
	s_cmp_eq_u32 s5, 0
	s_delay_alu instid0(VALU_DEP_2) | instskip(NEXT) | instid1(VALU_DEP_4)
	v_add_nc_u64_e32 v[10:11], v[10:11], v[14:15]
	v_mad_u32 v7, v4, s10, v7
	s_delay_alu instid0(VALU_DEP_3) | instskip(SKIP_4) | instid1(VALU_DEP_2)
	v_add_nc_u64_e32 v[12:13], v[12:13], v[16:17]
	s_cselect_b32 vcc_lo, -1, 0
	v_mov_b32_e32 v3, v5
	s_lshl_b64 s[12:13], s[10:11], 7
	s_lshl_b64 s[10:11], s[10:11], 6
	v_dual_cndmask_b32 v5, v11, v13 :: v_dual_cndmask_b32 v4, v10, v12
	v_add_nc_u32_e32 v10, s3, v2
	v_add_nc_u64_e32 v[6:7], v[6:7], v[2:3]
	s_delay_alu instid0(VALU_DEP_3) | instskip(SKIP_1) | instid1(VALU_DEP_3)
	v_lshl_add_u64 v[2:3], v[8:9], 3, v[4:5]
	v_lshl_add_u64 v[8:9], v[0:1], 2, s[14:15]
	;; [unrolled: 1-line block ×4, first 2 shown]
	s_lshl_b64 s[0:1], s[6:7], 7
.LBB176_5:                              ; =>This Inner Loop Header: Depth=1
	global_load_b32 v11, v[8:9], off
	global_load_b64 v[12:13], v[2:3], off
	v_add_nc_u64_e32 v[0:1], 16, v[0:1]
	s_wait_xcnt 0x0
	v_add_nc_u64_e32 v[2:3], s[0:1], v[2:3]
	v_add_nc_u64_e32 v[8:9], 64, v[8:9]
	s_delay_alu instid0(VALU_DEP_3)
	v_cmp_le_i64_e32 vcc_lo, s[8:9], v[0:1]
	s_or_b32 s7, vcc_lo, s7
	s_wait_loadcnt 0x1
	v_subrev_nc_u32_e32 v11, s4, v11
	s_wait_loadcnt 0x0
	global_store_b64 v[4:5], v[12:13], off
	s_wait_xcnt 0x0
	v_add_nc_u64_e32 v[4:5], s[12:13], v[4:5]
	v_mad_u32 v11, v11, s2, v10
	global_store_b32 v[6:7], v11, off
	s_wait_xcnt 0x0
	v_add_nc_u64_e32 v[6:7], s[10:11], v[6:7]
	s_and_not1_b32 exec_lo, exec_lo, s7
	s_cbranch_execnz .LBB176_5
.LBB176_6:
	s_endpgm
	.section	.rodata,"a",@progbits
	.p2align	6, 0x0
	.amdhsa_kernel _ZN9rocsparseL33bsr2csr_block_per_row_8_32_kernelILj1024ELj8E21rocsparse_complex_numIfEliEEv20rocsparse_direction_T3_S4_21rocsparse_index_base_PKT1_PKT2_PKS4_S4_S5_PS6_PS9_PS4_
		.amdhsa_group_segment_fixed_size 0
		.amdhsa_private_segment_fixed_size 0
		.amdhsa_kernarg_size 72
		.amdhsa_user_sgpr_count 2
		.amdhsa_user_sgpr_dispatch_ptr 0
		.amdhsa_user_sgpr_queue_ptr 0
		.amdhsa_user_sgpr_kernarg_segment_ptr 1
		.amdhsa_user_sgpr_dispatch_id 0
		.amdhsa_user_sgpr_kernarg_preload_length 0
		.amdhsa_user_sgpr_kernarg_preload_offset 0
		.amdhsa_user_sgpr_private_segment_size 0
		.amdhsa_wavefront_size32 1
		.amdhsa_uses_dynamic_stack 0
		.amdhsa_enable_private_segment 0
		.amdhsa_system_sgpr_workgroup_id_x 1
		.amdhsa_system_sgpr_workgroup_id_y 0
		.amdhsa_system_sgpr_workgroup_id_z 0
		.amdhsa_system_sgpr_workgroup_info 0
		.amdhsa_system_vgpr_workitem_id 0
		.amdhsa_next_free_vgpr 18
		.amdhsa_next_free_sgpr 26
		.amdhsa_named_barrier_count 0
		.amdhsa_reserve_vcc 1
		.amdhsa_float_round_mode_32 0
		.amdhsa_float_round_mode_16_64 0
		.amdhsa_float_denorm_mode_32 3
		.amdhsa_float_denorm_mode_16_64 3
		.amdhsa_fp16_overflow 0
		.amdhsa_memory_ordered 1
		.amdhsa_forward_progress 1
		.amdhsa_inst_pref_size 6
		.amdhsa_round_robin_scheduling 0
		.amdhsa_exception_fp_ieee_invalid_op 0
		.amdhsa_exception_fp_denorm_src 0
		.amdhsa_exception_fp_ieee_div_zero 0
		.amdhsa_exception_fp_ieee_overflow 0
		.amdhsa_exception_fp_ieee_underflow 0
		.amdhsa_exception_fp_ieee_inexact 0
		.amdhsa_exception_int_div_zero 0
	.end_amdhsa_kernel
	.section	.text._ZN9rocsparseL33bsr2csr_block_per_row_8_32_kernelILj1024ELj8E21rocsparse_complex_numIfEliEEv20rocsparse_direction_T3_S4_21rocsparse_index_base_PKT1_PKT2_PKS4_S4_S5_PS6_PS9_PS4_,"axG",@progbits,_ZN9rocsparseL33bsr2csr_block_per_row_8_32_kernelILj1024ELj8E21rocsparse_complex_numIfEliEEv20rocsparse_direction_T3_S4_21rocsparse_index_base_PKT1_PKT2_PKS4_S4_S5_PS6_PS9_PS4_,comdat
.Lfunc_end176:
	.size	_ZN9rocsparseL33bsr2csr_block_per_row_8_32_kernelILj1024ELj8E21rocsparse_complex_numIfEliEEv20rocsparse_direction_T3_S4_21rocsparse_index_base_PKT1_PKT2_PKS4_S4_S5_PS6_PS9_PS4_, .Lfunc_end176-_ZN9rocsparseL33bsr2csr_block_per_row_8_32_kernelILj1024ELj8E21rocsparse_complex_numIfEliEEv20rocsparse_direction_T3_S4_21rocsparse_index_base_PKT1_PKT2_PKS4_S4_S5_PS6_PS9_PS4_
                                        ; -- End function
	.set _ZN9rocsparseL33bsr2csr_block_per_row_8_32_kernelILj1024ELj8E21rocsparse_complex_numIfEliEEv20rocsparse_direction_T3_S4_21rocsparse_index_base_PKT1_PKT2_PKS4_S4_S5_PS6_PS9_PS4_.num_vgpr, 18
	.set _ZN9rocsparseL33bsr2csr_block_per_row_8_32_kernelILj1024ELj8E21rocsparse_complex_numIfEliEEv20rocsparse_direction_T3_S4_21rocsparse_index_base_PKT1_PKT2_PKS4_S4_S5_PS6_PS9_PS4_.num_agpr, 0
	.set _ZN9rocsparseL33bsr2csr_block_per_row_8_32_kernelILj1024ELj8E21rocsparse_complex_numIfEliEEv20rocsparse_direction_T3_S4_21rocsparse_index_base_PKT1_PKT2_PKS4_S4_S5_PS6_PS9_PS4_.numbered_sgpr, 26
	.set _ZN9rocsparseL33bsr2csr_block_per_row_8_32_kernelILj1024ELj8E21rocsparse_complex_numIfEliEEv20rocsparse_direction_T3_S4_21rocsparse_index_base_PKT1_PKT2_PKS4_S4_S5_PS6_PS9_PS4_.num_named_barrier, 0
	.set _ZN9rocsparseL33bsr2csr_block_per_row_8_32_kernelILj1024ELj8E21rocsparse_complex_numIfEliEEv20rocsparse_direction_T3_S4_21rocsparse_index_base_PKT1_PKT2_PKS4_S4_S5_PS6_PS9_PS4_.private_seg_size, 0
	.set _ZN9rocsparseL33bsr2csr_block_per_row_8_32_kernelILj1024ELj8E21rocsparse_complex_numIfEliEEv20rocsparse_direction_T3_S4_21rocsparse_index_base_PKT1_PKT2_PKS4_S4_S5_PS6_PS9_PS4_.uses_vcc, 1
	.set _ZN9rocsparseL33bsr2csr_block_per_row_8_32_kernelILj1024ELj8E21rocsparse_complex_numIfEliEEv20rocsparse_direction_T3_S4_21rocsparse_index_base_PKT1_PKT2_PKS4_S4_S5_PS6_PS9_PS4_.uses_flat_scratch, 0
	.set _ZN9rocsparseL33bsr2csr_block_per_row_8_32_kernelILj1024ELj8E21rocsparse_complex_numIfEliEEv20rocsparse_direction_T3_S4_21rocsparse_index_base_PKT1_PKT2_PKS4_S4_S5_PS6_PS9_PS4_.has_dyn_sized_stack, 0
	.set _ZN9rocsparseL33bsr2csr_block_per_row_8_32_kernelILj1024ELj8E21rocsparse_complex_numIfEliEEv20rocsparse_direction_T3_S4_21rocsparse_index_base_PKT1_PKT2_PKS4_S4_S5_PS6_PS9_PS4_.has_recursion, 0
	.set _ZN9rocsparseL33bsr2csr_block_per_row_8_32_kernelILj1024ELj8E21rocsparse_complex_numIfEliEEv20rocsparse_direction_T3_S4_21rocsparse_index_base_PKT1_PKT2_PKS4_S4_S5_PS6_PS9_PS4_.has_indirect_call, 0
	.section	.AMDGPU.csdata,"",@progbits
; Kernel info:
; codeLenInByte = 700
; TotalNumSgprs: 28
; NumVgprs: 18
; ScratchSize: 0
; MemoryBound: 0
; FloatMode: 240
; IeeeMode: 1
; LDSByteSize: 0 bytes/workgroup (compile time only)
; SGPRBlocks: 0
; VGPRBlocks: 1
; NumSGPRsForWavesPerEU: 28
; NumVGPRsForWavesPerEU: 18
; NamedBarCnt: 0
; Occupancy: 16
; WaveLimiterHint : 0
; COMPUTE_PGM_RSRC2:SCRATCH_EN: 0
; COMPUTE_PGM_RSRC2:USER_SGPR: 2
; COMPUTE_PGM_RSRC2:TRAP_HANDLER: 0
; COMPUTE_PGM_RSRC2:TGID_X_EN: 1
; COMPUTE_PGM_RSRC2:TGID_Y_EN: 0
; COMPUTE_PGM_RSRC2:TGID_Z_EN: 0
; COMPUTE_PGM_RSRC2:TIDIG_COMP_CNT: 0
	.section	.text._ZN9rocsparseL33bsr2csr_block_per_row_8_32_kernelILj1024ELj16E21rocsparse_complex_numIfEliEEv20rocsparse_direction_T3_S4_21rocsparse_index_base_PKT1_PKT2_PKS4_S4_S5_PS6_PS9_PS4_,"axG",@progbits,_ZN9rocsparseL33bsr2csr_block_per_row_8_32_kernelILj1024ELj16E21rocsparse_complex_numIfEliEEv20rocsparse_direction_T3_S4_21rocsparse_index_base_PKT1_PKT2_PKS4_S4_S5_PS6_PS9_PS4_,comdat
	.globl	_ZN9rocsparseL33bsr2csr_block_per_row_8_32_kernelILj1024ELj16E21rocsparse_complex_numIfEliEEv20rocsparse_direction_T3_S4_21rocsparse_index_base_PKT1_PKT2_PKS4_S4_S5_PS6_PS9_PS4_ ; -- Begin function _ZN9rocsparseL33bsr2csr_block_per_row_8_32_kernelILj1024ELj16E21rocsparse_complex_numIfEliEEv20rocsparse_direction_T3_S4_21rocsparse_index_base_PKT1_PKT2_PKS4_S4_S5_PS6_PS9_PS4_
	.p2align	8
	.type	_ZN9rocsparseL33bsr2csr_block_per_row_8_32_kernelILj1024ELj16E21rocsparse_complex_numIfEliEEv20rocsparse_direction_T3_S4_21rocsparse_index_base_PKT1_PKT2_PKS4_S4_S5_PS6_PS9_PS4_,@function
_ZN9rocsparseL33bsr2csr_block_per_row_8_32_kernelILj1024ELj16E21rocsparse_complex_numIfEliEEv20rocsparse_direction_T3_S4_21rocsparse_index_base_PKT1_PKT2_PKS4_S4_S5_PS6_PS9_PS4_: ; @_ZN9rocsparseL33bsr2csr_block_per_row_8_32_kernelILj1024ELj16E21rocsparse_complex_numIfEliEEv20rocsparse_direction_T3_S4_21rocsparse_index_base_PKT1_PKT2_PKS4_S4_S5_PS6_PS9_PS4_
; %bb.0:
	s_clause 0x1
	s_load_b64 s[2:3], s[0:1], 0x28
	s_load_b64 s[12:13], s[0:1], 0x38
	s_bfe_u32 s4, ttmp6, 0x4000c
	s_and_b32 s5, ttmp6, 15
	s_add_co_i32 s4, s4, 1
	s_getreg_b32 s6, hwreg(HW_REG_IB_STS2, 6, 4)
	s_mul_i32 s4, ttmp9, s4
	s_delay_alu instid0(SALU_CYCLE_1) | instskip(SKIP_3) | instid1(SALU_CYCLE_1)
	s_add_co_i32 s5, s5, s4
	s_cmp_eq_u32 s6, 0
	s_mov_b32 s4, exec_lo
	s_cselect_b32 s14, ttmp9, s5
	v_or_b32_e32 v1, s14, v0
	s_delay_alu instid0(VALU_DEP_1)
	v_cmpx_eq_u32_e32 0, v1
	s_cbranch_execz .LBB177_2
; %bb.1:
	s_wait_kmcnt 0x0
	v_dual_mov_b32 v2, s3 :: v_dual_mov_b32 v3, 0
	global_store_b64 v3, v[2:3], s[12:13]
.LBB177_2:
	s_wait_xcnt 0x0
	s_or_b32 exec_lo, exec_lo, s4
	v_and_b32_e32 v2, 15, v0
	v_bfe_u32 v3, v0, 4, 4
	s_mov_b32 s4, exec_lo
	s_delay_alu instid0(VALU_DEP_1) | instskip(SKIP_1) | instid1(VALU_DEP_1)
	v_max_i32_e32 v1, v3, v2
	s_wait_kmcnt 0x0
	v_cmpx_gt_i32_e64 s2, v1
	s_cbranch_execz .LBB177_6
; %bb.3:
	s_clause 0x1
	s_load_b64 s[6:7], s[0:1], 0x18
	s_load_b32 s4, s[0:1], 0xc
	s_ashr_i32 s15, s14, 31
	s_mov_b32 s10, s2
	s_lshl_b64 s[8:9], s[14:15], 3
	s_mov_b32 s20, s3
	v_dual_mov_b32 v5, 0 :: v_dual_lshrrev_b32 v4, 8, v0
	v_mad_u32 v8, s2, s14, v3
	s_wait_kmcnt 0x0
	s_add_nc_u64 s[6:7], s[6:7], s[8:9]
	s_load_b128 s[16:19], s[6:7], 0x0
	s_wait_xcnt 0x0
	s_mov_b32 s7, 0
	s_mul_i32 s6, s2, s2
	s_mov_b32 s5, s7
	s_mov_b32 s11, s7
	;; [unrolled: 1-line block ×3, first 2 shown]
	s_wait_kmcnt 0x0
	s_sub_nc_u64 s[22:23], s[16:17], s[4:5]
	s_sub_nc_u64 s[8:9], s[18:19], s[4:5]
	s_mul_u64 s[18:19], s[22:23], s[6:7]
	s_sub_nc_u64 s[16:17], s[8:9], s[22:23]
	v_add_nc_u64_e32 v[0:1], s[22:23], v[4:5]
	s_mul_u64 s[24:25], s[16:17], s[10:11]
	s_delay_alu instid0(SALU_CYCLE_1) | instskip(NEXT) | instid1(SALU_CYCLE_1)
	s_add_nc_u64 s[20:21], s[24:25], s[20:21]
	s_add_nc_u64 s[20:21], s[20:21], s[18:19]
	s_delay_alu instid0(SALU_CYCLE_1) | instskip(NEXT) | instid1(VALU_DEP_2)
	v_mad_nc_u64_u32 v[6:7], s24, v3, s[20:21]
	v_cmp_gt_i64_e32 vcc_lo, s[8:9], v[0:1]
	s_delay_alu instid0(VALU_DEP_2)
	v_mad_u32 v7, s25, v3, v7
	global_store_b64 v8, v[6:7], s[12:13] offset:8 scale_offset
	s_wait_xcnt 0x0
	s_and_b32 exec_lo, exec_lo, vcc_lo
	s_cbranch_execz .LBB177_6
; %bb.4:
	v_mad_nc_u64_u32 v[6:7], s16, v3, v[4:5]
	s_clause 0x3
	s_load_b64 s[12:13], s[0:1], 0x10
	s_load_b64 s[14:15], s[0:1], 0x20
	;; [unrolled: 1-line block ×3, first 2 shown]
	s_load_b32 s5, s[0:1], 0x0
	v_mul_u64_e32 v[8:9], s[6:7], v[0:1]
	v_mul_lo_u32 v10, s2, v2
	v_mul_lo_u32 v12, s2, v3
	v_dual_mov_b32 v11, v5 :: v_dual_lshlrev_b32 v14, 3, v3
	v_dual_mov_b32 v13, v5 :: v_dual_mov_b32 v15, v5
	s_wait_xcnt 0x0
	s_load_b64 s[0:1], s[0:1], 0x40
	v_dual_mov_b32 v17, v5 :: v_dual_lshlrev_b32 v16, 3, v2
	v_mad_u32 v4, s17, v3, v7
	v_mad_nc_u64_u32 v[6:7], v6, s10, s[18:19]
	s_wait_kmcnt 0x0
	v_lshl_add_u64 v[10:11], v[10:11], 3, s[12:13]
	v_lshl_add_u64 v[12:13], v[12:13], 3, s[12:13]
	s_cmp_eq_u32 s5, 0
	s_delay_alu instid0(VALU_DEP_2) | instskip(NEXT) | instid1(VALU_DEP_4)
	v_add_nc_u64_e32 v[10:11], v[10:11], v[14:15]
	v_mad_u32 v7, v4, s10, v7
	s_delay_alu instid0(VALU_DEP_3) | instskip(SKIP_4) | instid1(VALU_DEP_2)
	v_add_nc_u64_e32 v[12:13], v[12:13], v[16:17]
	s_cselect_b32 vcc_lo, -1, 0
	v_mov_b32_e32 v3, v5
	s_lshl_b64 s[12:13], s[10:11], 5
	s_lshl_b64 s[10:11], s[10:11], 4
	v_dual_cndmask_b32 v5, v11, v13 :: v_dual_cndmask_b32 v4, v10, v12
	v_add_nc_u32_e32 v10, s3, v2
	v_add_nc_u64_e32 v[6:7], v[6:7], v[2:3]
	s_delay_alu instid0(VALU_DEP_3) | instskip(SKIP_1) | instid1(VALU_DEP_3)
	v_lshl_add_u64 v[2:3], v[8:9], 3, v[4:5]
	v_lshl_add_u64 v[8:9], v[0:1], 2, s[14:15]
	;; [unrolled: 1-line block ×4, first 2 shown]
	s_lshl_b64 s[0:1], s[6:7], 5
.LBB177_5:                              ; =>This Inner Loop Header: Depth=1
	global_load_b32 v11, v[8:9], off
	global_load_b64 v[12:13], v[2:3], off
	v_add_nc_u64_e32 v[0:1], 4, v[0:1]
	s_wait_xcnt 0x0
	v_add_nc_u64_e32 v[2:3], s[0:1], v[2:3]
	v_add_nc_u64_e32 v[8:9], 16, v[8:9]
	s_delay_alu instid0(VALU_DEP_3)
	v_cmp_le_i64_e32 vcc_lo, s[8:9], v[0:1]
	s_or_b32 s7, vcc_lo, s7
	s_wait_loadcnt 0x1
	v_subrev_nc_u32_e32 v11, s4, v11
	s_wait_loadcnt 0x0
	global_store_b64 v[4:5], v[12:13], off
	s_wait_xcnt 0x0
	v_add_nc_u64_e32 v[4:5], s[12:13], v[4:5]
	v_mad_u32 v11, v11, s2, v10
	global_store_b32 v[6:7], v11, off
	s_wait_xcnt 0x0
	v_add_nc_u64_e32 v[6:7], s[10:11], v[6:7]
	s_and_not1_b32 exec_lo, exec_lo, s7
	s_cbranch_execnz .LBB177_5
.LBB177_6:
	s_endpgm
	.section	.rodata,"a",@progbits
	.p2align	6, 0x0
	.amdhsa_kernel _ZN9rocsparseL33bsr2csr_block_per_row_8_32_kernelILj1024ELj16E21rocsparse_complex_numIfEliEEv20rocsparse_direction_T3_S4_21rocsparse_index_base_PKT1_PKT2_PKS4_S4_S5_PS6_PS9_PS4_
		.amdhsa_group_segment_fixed_size 0
		.amdhsa_private_segment_fixed_size 0
		.amdhsa_kernarg_size 72
		.amdhsa_user_sgpr_count 2
		.amdhsa_user_sgpr_dispatch_ptr 0
		.amdhsa_user_sgpr_queue_ptr 0
		.amdhsa_user_sgpr_kernarg_segment_ptr 1
		.amdhsa_user_sgpr_dispatch_id 0
		.amdhsa_user_sgpr_kernarg_preload_length 0
		.amdhsa_user_sgpr_kernarg_preload_offset 0
		.amdhsa_user_sgpr_private_segment_size 0
		.amdhsa_wavefront_size32 1
		.amdhsa_uses_dynamic_stack 0
		.amdhsa_enable_private_segment 0
		.amdhsa_system_sgpr_workgroup_id_x 1
		.amdhsa_system_sgpr_workgroup_id_y 0
		.amdhsa_system_sgpr_workgroup_id_z 0
		.amdhsa_system_sgpr_workgroup_info 0
		.amdhsa_system_vgpr_workitem_id 0
		.amdhsa_next_free_vgpr 18
		.amdhsa_next_free_sgpr 26
		.amdhsa_named_barrier_count 0
		.amdhsa_reserve_vcc 1
		.amdhsa_float_round_mode_32 0
		.amdhsa_float_round_mode_16_64 0
		.amdhsa_float_denorm_mode_32 3
		.amdhsa_float_denorm_mode_16_64 3
		.amdhsa_fp16_overflow 0
		.amdhsa_memory_ordered 1
		.amdhsa_forward_progress 1
		.amdhsa_inst_pref_size 6
		.amdhsa_round_robin_scheduling 0
		.amdhsa_exception_fp_ieee_invalid_op 0
		.amdhsa_exception_fp_denorm_src 0
		.amdhsa_exception_fp_ieee_div_zero 0
		.amdhsa_exception_fp_ieee_overflow 0
		.amdhsa_exception_fp_ieee_underflow 0
		.amdhsa_exception_fp_ieee_inexact 0
		.amdhsa_exception_int_div_zero 0
	.end_amdhsa_kernel
	.section	.text._ZN9rocsparseL33bsr2csr_block_per_row_8_32_kernelILj1024ELj16E21rocsparse_complex_numIfEliEEv20rocsparse_direction_T3_S4_21rocsparse_index_base_PKT1_PKT2_PKS4_S4_S5_PS6_PS9_PS4_,"axG",@progbits,_ZN9rocsparseL33bsr2csr_block_per_row_8_32_kernelILj1024ELj16E21rocsparse_complex_numIfEliEEv20rocsparse_direction_T3_S4_21rocsparse_index_base_PKT1_PKT2_PKS4_S4_S5_PS6_PS9_PS4_,comdat
.Lfunc_end177:
	.size	_ZN9rocsparseL33bsr2csr_block_per_row_8_32_kernelILj1024ELj16E21rocsparse_complex_numIfEliEEv20rocsparse_direction_T3_S4_21rocsparse_index_base_PKT1_PKT2_PKS4_S4_S5_PS6_PS9_PS4_, .Lfunc_end177-_ZN9rocsparseL33bsr2csr_block_per_row_8_32_kernelILj1024ELj16E21rocsparse_complex_numIfEliEEv20rocsparse_direction_T3_S4_21rocsparse_index_base_PKT1_PKT2_PKS4_S4_S5_PS6_PS9_PS4_
                                        ; -- End function
	.set _ZN9rocsparseL33bsr2csr_block_per_row_8_32_kernelILj1024ELj16E21rocsparse_complex_numIfEliEEv20rocsparse_direction_T3_S4_21rocsparse_index_base_PKT1_PKT2_PKS4_S4_S5_PS6_PS9_PS4_.num_vgpr, 18
	.set _ZN9rocsparseL33bsr2csr_block_per_row_8_32_kernelILj1024ELj16E21rocsparse_complex_numIfEliEEv20rocsparse_direction_T3_S4_21rocsparse_index_base_PKT1_PKT2_PKS4_S4_S5_PS6_PS9_PS4_.num_agpr, 0
	.set _ZN9rocsparseL33bsr2csr_block_per_row_8_32_kernelILj1024ELj16E21rocsparse_complex_numIfEliEEv20rocsparse_direction_T3_S4_21rocsparse_index_base_PKT1_PKT2_PKS4_S4_S5_PS6_PS9_PS4_.numbered_sgpr, 26
	.set _ZN9rocsparseL33bsr2csr_block_per_row_8_32_kernelILj1024ELj16E21rocsparse_complex_numIfEliEEv20rocsparse_direction_T3_S4_21rocsparse_index_base_PKT1_PKT2_PKS4_S4_S5_PS6_PS9_PS4_.num_named_barrier, 0
	.set _ZN9rocsparseL33bsr2csr_block_per_row_8_32_kernelILj1024ELj16E21rocsparse_complex_numIfEliEEv20rocsparse_direction_T3_S4_21rocsparse_index_base_PKT1_PKT2_PKS4_S4_S5_PS6_PS9_PS4_.private_seg_size, 0
	.set _ZN9rocsparseL33bsr2csr_block_per_row_8_32_kernelILj1024ELj16E21rocsparse_complex_numIfEliEEv20rocsparse_direction_T3_S4_21rocsparse_index_base_PKT1_PKT2_PKS4_S4_S5_PS6_PS9_PS4_.uses_vcc, 1
	.set _ZN9rocsparseL33bsr2csr_block_per_row_8_32_kernelILj1024ELj16E21rocsparse_complex_numIfEliEEv20rocsparse_direction_T3_S4_21rocsparse_index_base_PKT1_PKT2_PKS4_S4_S5_PS6_PS9_PS4_.uses_flat_scratch, 0
	.set _ZN9rocsparseL33bsr2csr_block_per_row_8_32_kernelILj1024ELj16E21rocsparse_complex_numIfEliEEv20rocsparse_direction_T3_S4_21rocsparse_index_base_PKT1_PKT2_PKS4_S4_S5_PS6_PS9_PS4_.has_dyn_sized_stack, 0
	.set _ZN9rocsparseL33bsr2csr_block_per_row_8_32_kernelILj1024ELj16E21rocsparse_complex_numIfEliEEv20rocsparse_direction_T3_S4_21rocsparse_index_base_PKT1_PKT2_PKS4_S4_S5_PS6_PS9_PS4_.has_recursion, 0
	.set _ZN9rocsparseL33bsr2csr_block_per_row_8_32_kernelILj1024ELj16E21rocsparse_complex_numIfEliEEv20rocsparse_direction_T3_S4_21rocsparse_index_base_PKT1_PKT2_PKS4_S4_S5_PS6_PS9_PS4_.has_indirect_call, 0
	.section	.AMDGPU.csdata,"",@progbits
; Kernel info:
; codeLenInByte = 700
; TotalNumSgprs: 28
; NumVgprs: 18
; ScratchSize: 0
; MemoryBound: 0
; FloatMode: 240
; IeeeMode: 1
; LDSByteSize: 0 bytes/workgroup (compile time only)
; SGPRBlocks: 0
; VGPRBlocks: 1
; NumSGPRsForWavesPerEU: 28
; NumVGPRsForWavesPerEU: 18
; NamedBarCnt: 0
; Occupancy: 16
; WaveLimiterHint : 0
; COMPUTE_PGM_RSRC2:SCRATCH_EN: 0
; COMPUTE_PGM_RSRC2:USER_SGPR: 2
; COMPUTE_PGM_RSRC2:TRAP_HANDLER: 0
; COMPUTE_PGM_RSRC2:TGID_X_EN: 1
; COMPUTE_PGM_RSRC2:TGID_Y_EN: 0
; COMPUTE_PGM_RSRC2:TGID_Z_EN: 0
; COMPUTE_PGM_RSRC2:TIDIG_COMP_CNT: 0
	.section	.text._ZN9rocsparseL33bsr2csr_block_per_row_8_32_kernelILj1024ELj32E21rocsparse_complex_numIfEliEEv20rocsparse_direction_T3_S4_21rocsparse_index_base_PKT1_PKT2_PKS4_S4_S5_PS6_PS9_PS4_,"axG",@progbits,_ZN9rocsparseL33bsr2csr_block_per_row_8_32_kernelILj1024ELj32E21rocsparse_complex_numIfEliEEv20rocsparse_direction_T3_S4_21rocsparse_index_base_PKT1_PKT2_PKS4_S4_S5_PS6_PS9_PS4_,comdat
	.globl	_ZN9rocsparseL33bsr2csr_block_per_row_8_32_kernelILj1024ELj32E21rocsparse_complex_numIfEliEEv20rocsparse_direction_T3_S4_21rocsparse_index_base_PKT1_PKT2_PKS4_S4_S5_PS6_PS9_PS4_ ; -- Begin function _ZN9rocsparseL33bsr2csr_block_per_row_8_32_kernelILj1024ELj32E21rocsparse_complex_numIfEliEEv20rocsparse_direction_T3_S4_21rocsparse_index_base_PKT1_PKT2_PKS4_S4_S5_PS6_PS9_PS4_
	.p2align	8
	.type	_ZN9rocsparseL33bsr2csr_block_per_row_8_32_kernelILj1024ELj32E21rocsparse_complex_numIfEliEEv20rocsparse_direction_T3_S4_21rocsparse_index_base_PKT1_PKT2_PKS4_S4_S5_PS6_PS9_PS4_,@function
_ZN9rocsparseL33bsr2csr_block_per_row_8_32_kernelILj1024ELj32E21rocsparse_complex_numIfEliEEv20rocsparse_direction_T3_S4_21rocsparse_index_base_PKT1_PKT2_PKS4_S4_S5_PS6_PS9_PS4_: ; @_ZN9rocsparseL33bsr2csr_block_per_row_8_32_kernelILj1024ELj32E21rocsparse_complex_numIfEliEEv20rocsparse_direction_T3_S4_21rocsparse_index_base_PKT1_PKT2_PKS4_S4_S5_PS6_PS9_PS4_
; %bb.0:
	s_clause 0x1
	s_load_b64 s[2:3], s[0:1], 0x28
	s_load_b64 s[16:17], s[0:1], 0x38
	s_bfe_u32 s4, ttmp6, 0x4000c
	s_and_b32 s5, ttmp6, 15
	s_add_co_i32 s4, s4, 1
	s_getreg_b32 s6, hwreg(HW_REG_IB_STS2, 6, 4)
	s_mul_i32 s4, ttmp9, s4
	s_delay_alu instid0(SALU_CYCLE_1) | instskip(SKIP_3) | instid1(SALU_CYCLE_1)
	s_add_co_i32 s5, s5, s4
	s_cmp_eq_u32 s6, 0
	s_mov_b32 s4, exec_lo
	s_cselect_b32 s22, ttmp9, s5
	v_or_b32_e32 v1, s22, v0
	s_delay_alu instid0(VALU_DEP_1)
	v_cmpx_eq_u32_e32 0, v1
	s_cbranch_execz .LBB178_2
; %bb.1:
	s_wait_kmcnt 0x0
	v_dual_mov_b32 v2, s3 :: v_dual_mov_b32 v3, 0
	global_store_b64 v3, v[2:3], s[16:17]
.LBB178_2:
	s_wait_xcnt 0x0
	s_or_b32 exec_lo, exec_lo, s4
	v_dual_lshrrev_b32 v4, 5, v0 :: v_dual_bitop2_b32 v2, 31, v0 bitop3:0x40
	s_mov_b32 s4, exec_lo
	s_delay_alu instid0(VALU_DEP_1) | instskip(SKIP_1) | instid1(VALU_DEP_1)
	v_max_i32_e32 v0, v4, v2
	s_wait_kmcnt 0x0
	v_cmpx_gt_i32_e64 s2, v0
	s_cbranch_execz .LBB178_6
; %bb.3:
	s_clause 0x1
	s_load_b64 s[4:5], s[0:1], 0x18
	s_load_b32 s8, s[0:1], 0xc
	s_ashr_i32 s23, s22, 31
	s_mov_b32 s9, 0
	s_lshl_b64 s[6:7], s[22:23], 3
	s_mul_i32 s18, s2, s2
	s_mov_b32 s14, s2
	s_mov_b32 s19, s9
	;; [unrolled: 1-line block ×4, first 2 shown]
	v_mad_u32 v3, s2, s22, v4
	s_mov_b32 s27, s9
	s_wait_kmcnt 0x0
	s_add_nc_u64 s[10:11], s[4:5], s[6:7]
	s_load_b128 s[4:7], s[10:11], 0x0
	s_wait_kmcnt 0x0
	s_sub_nc_u64 s[10:11], s[4:5], s[8:9]
	s_sub_nc_u64 s[12:13], s[6:7], s[8:9]
	s_mul_u64 s[20:21], s[10:11], s[18:19]
	s_sub_nc_u64 s[24:25], s[12:13], s[10:11]
	v_cmp_ge_i64_e64 s6, s[4:5], s[6:7]
	s_mul_u64 s[24:25], s[24:25], s[14:15]
	s_delay_alu instid0(SALU_CYCLE_1) | instskip(SKIP_2) | instid1(VALU_DEP_1)
	v_mad_nc_u64_u32 v[0:1], s24, v4, s[20:21]
	s_add_nc_u64 s[22:23], s[24:25], s[26:27]
	s_and_b32 vcc_lo, exec_lo, s6
	v_mad_u32 v1, s25, v4, v1
	s_delay_alu instid0(VALU_DEP_1)
	v_add_nc_u64_e32 v[6:7], s[22:23], v[0:1]
	global_store_b64 v3, v[6:7], s[16:17] offset:8 scale_offset
	s_cbranch_vccnz .LBB178_6
; %bb.4:
	s_clause 0x4
	s_load_b64 s[6:7], s[0:1], 0x10
	s_load_b64 s[24:25], s[0:1], 0x40
	;; [unrolled: 1-line block ×4, first 2 shown]
	s_load_b32 s26, s[0:1], 0x0
	v_mul_lo_u32 v6, s2, v2
	v_mul_lo_u32 v8, s2, v4
	v_dual_mov_b32 v3, 0 :: v_dual_lshlrev_b32 v4, 3, v4
	s_delay_alu instid0(VALU_DEP_1) | instskip(SKIP_4) | instid1(VALU_DEP_3)
	v_dual_mov_b32 v5, v3 :: v_dual_lshlrev_b32 v10, 3, v2
	v_dual_mov_b32 v7, v3 :: v_dual_mov_b32 v9, v3
	v_mov_b32_e32 v11, v3
	v_add_nc_u64_e32 v[12:13], v[0:1], v[2:3]
	s_wait_kmcnt 0x0
	v_lshl_add_u64 v[6:7], v[6:7], 3, s[6:7]
	v_lshl_add_u64 v[8:9], v[8:9], 3, s[6:7]
	s_cmp_eq_u32 s26, 0
	s_delay_alu instid0(VALU_DEP_3)
	v_lshl_add_u64 v[0:1], v[12:13], 3, s[22:23]
	s_cselect_b32 vcc_lo, -1, 0
	v_add_nc_u64_e32 v[4:5], v[6:7], v[4:5]
	v_add_nc_u32_e32 v6, s3, v2
	v_add_nc_u64_e32 v[8:9], v[8:9], v[10:11]
	s_lshl_b64 s[0:1], s[18:19], 3
	s_lshl_b64 s[4:5], s[4:5], 2
	;; [unrolled: 1-line block ×4, first 2 shown]
	s_sub_nc_u64 s[18:19], s[4:5], s[18:19]
	s_lshl_b64 s[4:5], s[14:15], 2
	v_dual_cndmask_b32 v3, v5, v9 :: v_dual_cndmask_b32 v2, v4, v8
	v_lshl_add_u64 v[4:5], v[12:13], 2, s[24:25]
	s_add_nc_u64 s[14:15], s[16:17], s[18:19]
	s_delay_alu instid0(VALU_DEP_2)
	v_lshl_add_u64 v[2:3], s[20:21], 3, v[2:3]
.LBB178_5:                              ; =>This Inner Loop Header: Depth=1
	global_load_b64 v[8:9], v[2:3], off
	s_load_b32 s3, s[14:15], 0x0
	s_add_nc_u64 s[10:11], s[10:11], 1
	v_add_nc_u64_e32 v[2:3], s[0:1], v[2:3]
	s_wait_xcnt 0x0
	s_add_nc_u64 s[14:15], s[14:15], 4
	s_wait_kmcnt 0x0
	s_sub_co_i32 s3, s3, s8
	s_delay_alu instid0(SALU_CYCLE_1)
	v_mad_u32 v7, s3, s2, v6
	v_cmp_lt_i64_e64 s3, s[10:11], s[12:13]
	s_and_b32 vcc_lo, exec_lo, s3
	global_store_b32 v[4:5], v7, off
	s_wait_xcnt 0x0
	v_add_nc_u64_e32 v[4:5], s[4:5], v[4:5]
	s_wait_loadcnt 0x0
	global_store_b64 v[0:1], v[8:9], off
	s_wait_xcnt 0x0
	v_add_nc_u64_e32 v[0:1], s[6:7], v[0:1]
	s_cbranch_vccnz .LBB178_5
.LBB178_6:
	s_endpgm
	.section	.rodata,"a",@progbits
	.p2align	6, 0x0
	.amdhsa_kernel _ZN9rocsparseL33bsr2csr_block_per_row_8_32_kernelILj1024ELj32E21rocsparse_complex_numIfEliEEv20rocsparse_direction_T3_S4_21rocsparse_index_base_PKT1_PKT2_PKS4_S4_S5_PS6_PS9_PS4_
		.amdhsa_group_segment_fixed_size 0
		.amdhsa_private_segment_fixed_size 0
		.amdhsa_kernarg_size 72
		.amdhsa_user_sgpr_count 2
		.amdhsa_user_sgpr_dispatch_ptr 0
		.amdhsa_user_sgpr_queue_ptr 0
		.amdhsa_user_sgpr_kernarg_segment_ptr 1
		.amdhsa_user_sgpr_dispatch_id 0
		.amdhsa_user_sgpr_kernarg_preload_length 0
		.amdhsa_user_sgpr_kernarg_preload_offset 0
		.amdhsa_user_sgpr_private_segment_size 0
		.amdhsa_wavefront_size32 1
		.amdhsa_uses_dynamic_stack 0
		.amdhsa_enable_private_segment 0
		.amdhsa_system_sgpr_workgroup_id_x 1
		.amdhsa_system_sgpr_workgroup_id_y 0
		.amdhsa_system_sgpr_workgroup_id_z 0
		.amdhsa_system_sgpr_workgroup_info 0
		.amdhsa_system_vgpr_workitem_id 0
		.amdhsa_next_free_vgpr 14
		.amdhsa_next_free_sgpr 28
		.amdhsa_named_barrier_count 0
		.amdhsa_reserve_vcc 1
		.amdhsa_float_round_mode_32 0
		.amdhsa_float_round_mode_16_64 0
		.amdhsa_float_denorm_mode_32 3
		.amdhsa_float_denorm_mode_16_64 3
		.amdhsa_fp16_overflow 0
		.amdhsa_memory_ordered 1
		.amdhsa_forward_progress 1
		.amdhsa_inst_pref_size 6
		.amdhsa_round_robin_scheduling 0
		.amdhsa_exception_fp_ieee_invalid_op 0
		.amdhsa_exception_fp_denorm_src 0
		.amdhsa_exception_fp_ieee_div_zero 0
		.amdhsa_exception_fp_ieee_overflow 0
		.amdhsa_exception_fp_ieee_underflow 0
		.amdhsa_exception_fp_ieee_inexact 0
		.amdhsa_exception_int_div_zero 0
	.end_amdhsa_kernel
	.section	.text._ZN9rocsparseL33bsr2csr_block_per_row_8_32_kernelILj1024ELj32E21rocsparse_complex_numIfEliEEv20rocsparse_direction_T3_S4_21rocsparse_index_base_PKT1_PKT2_PKS4_S4_S5_PS6_PS9_PS4_,"axG",@progbits,_ZN9rocsparseL33bsr2csr_block_per_row_8_32_kernelILj1024ELj32E21rocsparse_complex_numIfEliEEv20rocsparse_direction_T3_S4_21rocsparse_index_base_PKT1_PKT2_PKS4_S4_S5_PS6_PS9_PS4_,comdat
.Lfunc_end178:
	.size	_ZN9rocsparseL33bsr2csr_block_per_row_8_32_kernelILj1024ELj32E21rocsparse_complex_numIfEliEEv20rocsparse_direction_T3_S4_21rocsparse_index_base_PKT1_PKT2_PKS4_S4_S5_PS6_PS9_PS4_, .Lfunc_end178-_ZN9rocsparseL33bsr2csr_block_per_row_8_32_kernelILj1024ELj32E21rocsparse_complex_numIfEliEEv20rocsparse_direction_T3_S4_21rocsparse_index_base_PKT1_PKT2_PKS4_S4_S5_PS6_PS9_PS4_
                                        ; -- End function
	.set _ZN9rocsparseL33bsr2csr_block_per_row_8_32_kernelILj1024ELj32E21rocsparse_complex_numIfEliEEv20rocsparse_direction_T3_S4_21rocsparse_index_base_PKT1_PKT2_PKS4_S4_S5_PS6_PS9_PS4_.num_vgpr, 14
	.set _ZN9rocsparseL33bsr2csr_block_per_row_8_32_kernelILj1024ELj32E21rocsparse_complex_numIfEliEEv20rocsparse_direction_T3_S4_21rocsparse_index_base_PKT1_PKT2_PKS4_S4_S5_PS6_PS9_PS4_.num_agpr, 0
	.set _ZN9rocsparseL33bsr2csr_block_per_row_8_32_kernelILj1024ELj32E21rocsparse_complex_numIfEliEEv20rocsparse_direction_T3_S4_21rocsparse_index_base_PKT1_PKT2_PKS4_S4_S5_PS6_PS9_PS4_.numbered_sgpr, 28
	.set _ZN9rocsparseL33bsr2csr_block_per_row_8_32_kernelILj1024ELj32E21rocsparse_complex_numIfEliEEv20rocsparse_direction_T3_S4_21rocsparse_index_base_PKT1_PKT2_PKS4_S4_S5_PS6_PS9_PS4_.num_named_barrier, 0
	.set _ZN9rocsparseL33bsr2csr_block_per_row_8_32_kernelILj1024ELj32E21rocsparse_complex_numIfEliEEv20rocsparse_direction_T3_S4_21rocsparse_index_base_PKT1_PKT2_PKS4_S4_S5_PS6_PS9_PS4_.private_seg_size, 0
	.set _ZN9rocsparseL33bsr2csr_block_per_row_8_32_kernelILj1024ELj32E21rocsparse_complex_numIfEliEEv20rocsparse_direction_T3_S4_21rocsparse_index_base_PKT1_PKT2_PKS4_S4_S5_PS6_PS9_PS4_.uses_vcc, 1
	.set _ZN9rocsparseL33bsr2csr_block_per_row_8_32_kernelILj1024ELj32E21rocsparse_complex_numIfEliEEv20rocsparse_direction_T3_S4_21rocsparse_index_base_PKT1_PKT2_PKS4_S4_S5_PS6_PS9_PS4_.uses_flat_scratch, 0
	.set _ZN9rocsparseL33bsr2csr_block_per_row_8_32_kernelILj1024ELj32E21rocsparse_complex_numIfEliEEv20rocsparse_direction_T3_S4_21rocsparse_index_base_PKT1_PKT2_PKS4_S4_S5_PS6_PS9_PS4_.has_dyn_sized_stack, 0
	.set _ZN9rocsparseL33bsr2csr_block_per_row_8_32_kernelILj1024ELj32E21rocsparse_complex_numIfEliEEv20rocsparse_direction_T3_S4_21rocsparse_index_base_PKT1_PKT2_PKS4_S4_S5_PS6_PS9_PS4_.has_recursion, 0
	.set _ZN9rocsparseL33bsr2csr_block_per_row_8_32_kernelILj1024ELj32E21rocsparse_complex_numIfEliEEv20rocsparse_direction_T3_S4_21rocsparse_index_base_PKT1_PKT2_PKS4_S4_S5_PS6_PS9_PS4_.has_indirect_call, 0
	.section	.AMDGPU.csdata,"",@progbits
; Kernel info:
; codeLenInByte = 644
; TotalNumSgprs: 30
; NumVgprs: 14
; ScratchSize: 0
; MemoryBound: 0
; FloatMode: 240
; IeeeMode: 1
; LDSByteSize: 0 bytes/workgroup (compile time only)
; SGPRBlocks: 0
; VGPRBlocks: 0
; NumSGPRsForWavesPerEU: 30
; NumVGPRsForWavesPerEU: 14
; NamedBarCnt: 0
; Occupancy: 16
; WaveLimiterHint : 0
; COMPUTE_PGM_RSRC2:SCRATCH_EN: 0
; COMPUTE_PGM_RSRC2:USER_SGPR: 2
; COMPUTE_PGM_RSRC2:TRAP_HANDLER: 0
; COMPUTE_PGM_RSRC2:TGID_X_EN: 1
; COMPUTE_PGM_RSRC2:TGID_Y_EN: 0
; COMPUTE_PGM_RSRC2:TGID_Z_EN: 0
; COMPUTE_PGM_RSRC2:TIDIG_COMP_CNT: 0
	.section	.text._ZN9rocsparseL35bsr2csr_block_per_row_33_256_kernelILj1024ELj64ELj32E21rocsparse_complex_numIfEliEEv20rocsparse_direction_T4_S4_21rocsparse_index_base_PKT2_PKT3_PKS4_S4_S5_PS6_PS9_PS4_,"axG",@progbits,_ZN9rocsparseL35bsr2csr_block_per_row_33_256_kernelILj1024ELj64ELj32E21rocsparse_complex_numIfEliEEv20rocsparse_direction_T4_S4_21rocsparse_index_base_PKT2_PKT3_PKS4_S4_S5_PS6_PS9_PS4_,comdat
	.globl	_ZN9rocsparseL35bsr2csr_block_per_row_33_256_kernelILj1024ELj64ELj32E21rocsparse_complex_numIfEliEEv20rocsparse_direction_T4_S4_21rocsparse_index_base_PKT2_PKT3_PKS4_S4_S5_PS6_PS9_PS4_ ; -- Begin function _ZN9rocsparseL35bsr2csr_block_per_row_33_256_kernelILj1024ELj64ELj32E21rocsparse_complex_numIfEliEEv20rocsparse_direction_T4_S4_21rocsparse_index_base_PKT2_PKT3_PKS4_S4_S5_PS6_PS9_PS4_
	.p2align	8
	.type	_ZN9rocsparseL35bsr2csr_block_per_row_33_256_kernelILj1024ELj64ELj32E21rocsparse_complex_numIfEliEEv20rocsparse_direction_T4_S4_21rocsparse_index_base_PKT2_PKT3_PKS4_S4_S5_PS6_PS9_PS4_,@function
_ZN9rocsparseL35bsr2csr_block_per_row_33_256_kernelILj1024ELj64ELj32E21rocsparse_complex_numIfEliEEv20rocsparse_direction_T4_S4_21rocsparse_index_base_PKT2_PKT3_PKS4_S4_S5_PS6_PS9_PS4_: ; @_ZN9rocsparseL35bsr2csr_block_per_row_33_256_kernelILj1024ELj64ELj32E21rocsparse_complex_numIfEliEEv20rocsparse_direction_T4_S4_21rocsparse_index_base_PKT2_PKT3_PKS4_S4_S5_PS6_PS9_PS4_
; %bb.0:
	s_load_b64 s[2:3], s[0:1], 0x18
	s_bfe_u32 s4, ttmp6, 0x4000c
	s_and_b32 s5, ttmp6, 15
	s_add_co_i32 s4, s4, 1
	s_getreg_b32 s6, hwreg(HW_REG_IB_STS2, 6, 4)
	s_mul_i32 s4, ttmp9, s4
	s_clause 0x1
	s_load_b64 s[8:9], s[0:1], 0x28
	s_load_b64 s[24:25], s[0:1], 0x38
	s_add_co_i32 s5, s5, s4
	s_cmp_eq_u32 s6, 0
	s_mov_b32 s11, 0
	s_cselect_b32 s26, ttmp9, s5
	s_mov_b32 s13, s11
	s_ashr_i32 s27, s26, 31
	v_or_b32_e32 v1, s26, v0
	s_lshl_b64 s[4:5], s[26:27], 3
	s_wait_kmcnt 0x0
	s_add_nc_u64 s[2:3], s[2:3], s[4:5]
	s_load_b128 s[4:7], s[2:3], 0x0
	s_wait_xcnt 0x0
	s_mov_b32 s2, exec_lo
	s_mov_b32 s12, s9
	v_cmpx_eq_u32_e32 0, v1
	s_cbranch_execz .LBB179_2
; %bb.1:
	v_mov_b64_e32 v[2:3], s[12:13]
	v_mov_b32_e32 v1, 0
	global_store_b64 v1, v[2:3], s[24:25]
.LBB179_2:
	s_wait_xcnt 0x0
	s_or_b32 exec_lo, exec_lo, s2
	s_load_b32 s10, s[0:1], 0xc
	v_lshrrev_b32_e32 v2, 5, v0
	s_mul_i32 s20, s8, s8
	s_mov_b32 s21, s11
	s_mov_b32 s9, s11
	s_mul_i32 s26, s8, s26
	v_cmp_gt_i32_e64 s2, s8, v2
	s_wait_kmcnt 0x0
	s_sub_nc_u64 s[14:15], s[4:5], s[10:11]
	s_sub_nc_u64 s[16:17], s[6:7], s[10:11]
	s_mul_u64 s[18:19], s[14:15], s[20:21]
	s_sub_nc_u64 s[22:23], s[16:17], s[14:15]
	s_add_nc_u64 s[30:31], s[18:19], s[12:13]
	s_mul_u64 s[28:29], s[22:23], s[8:9]
	s_delay_alu instid0(SALU_CYCLE_1)
	s_add_nc_u64 s[30:31], s[30:31], s[28:29]
	s_and_saveexec_b32 s3, s2
	s_cbranch_execz .LBB179_4
; %bb.3:
	v_mad_nc_u64_u32 v[4:5], s28, v2, s[30:31]
	v_add_nc_u32_e32 v1, s26, v2
	s_delay_alu instid0(VALU_DEP_2)
	v_mad_u32 v5, s29, v2, v5
	global_store_b64 v1, v[4:5], s[24:25] offset:8 scale_offset
.LBB179_4:
	s_wait_xcnt 0x0
	s_or_b32 exec_lo, exec_lo, s3
	v_or_b32_e32 v4, 32, v2
	s_delay_alu instid0(VALU_DEP_1)
	v_cmp_gt_i32_e64 s3, s8, v4
	s_and_saveexec_b32 s13, s3
	s_cbranch_execz .LBB179_6
; %bb.5:
	v_mad_nc_u64_u32 v[6:7], s28, v4, s[30:31]
	v_mov_b32_e32 v3, 0
	s_ashr_i32 s27, s26, 31
	s_delay_alu instid0(VALU_DEP_1) | instid1(SALU_CYCLE_1)
	v_add_nc_u64_e32 v[8:9], s[26:27], v[2:3]
	s_delay_alu instid0(VALU_DEP_3) | instskip(NEXT) | instid1(VALU_DEP_2)
	v_mad_u32 v7, s29, v4, v7
	v_lshl_add_u64 v[8:9], v[8:9], 3, s[24:25]
	global_store_b64 v[8:9], v[6:7], off offset:264
.LBB179_6:
	s_wait_xcnt 0x0
	s_or_b32 exec_lo, exec_lo, s13
	v_cmp_lt_i64_e64 s6, s[4:5], s[6:7]
	s_and_b32 vcc_lo, exec_lo, s6
	s_cbranch_vccz .LBB179_17
; %bb.7:
	v_dual_mov_b32 v3, 0 :: v_dual_bitop2_b32 v0, 31, v0 bitop3:0x40
	s_load_b64 s[28:29], s[0:1], 0x40
	v_mul_lo_u32 v8, v2, s8
	s_delay_alu instid0(VALU_DEP_2) | instskip(SKIP_3) | instid1(VALU_DEP_4)
	v_dual_mov_b32 v5, v3 :: v_dual_lshlrev_b32 v10, 3, v2
	v_mul_u64_e32 v[6:7], s[22:23], v[2:3]
	v_mul_lo_u32 v12, v0, s8
	v_dual_mov_b32 v9, v3 :: v_dual_mov_b32 v1, v3
	v_mul_u64_e32 v[4:5], s[22:23], v[4:5]
	s_clause 0x3
	s_load_b64 s[22:23], s[0:1], 0x10
	s_load_b64 s[6:7], s[0:1], 0x20
	;; [unrolled: 1-line block ×3, first 2 shown]
	s_load_b32 s13, s[0:1], 0x0
	v_dual_mov_b32 v13, v3 :: v_dual_lshlrev_b32 v16, 3, v0
	v_dual_mov_b32 v17, v3 :: v_dual_mov_b32 v11, v3
	v_dual_mov_b32 v21, v3 :: v_dual_bitop2_b32 v30, 32, v0 bitop3:0x54
	v_dual_mov_b32 v23, v3 :: v_dual_lshlrev_b32 v2, 2, v0
	v_cmp_gt_i32_e32 vcc_lo, s8, v0
	s_wait_xcnt 0x0
	s_delay_alu instid0(VALU_DEP_3) | instskip(NEXT) | instid1(VALU_DEP_3)
	v_cmp_gt_i32_e64 s1, s8, v30
	v_lshl_add_u64 v[2:3], s[18:19], 2, v[2:3]
	s_wait_kmcnt 0x0
	s_cmp_eq_u32 s13, 0
	s_cselect_b32 s0, -1, 0
	s_lshl_b32 s33, s8, 5
	s_and_b32 s13, s2, vcc_lo
	v_add_nc_u32_e32 v22, s33, v8
	v_add_nc_u32_e32 v20, s33, v12
	v_mul_u64_e32 v[14:15], s[8:9], v[6:7]
	v_lshl_add_u64 v[6:7], v[12:13], 3, v[10:11]
	s_and_b32 s24, s2, s1
	v_lshl_add_u64 v[12:13], v[22:23], 3, v[16:17]
	v_mul_u64_e32 v[18:19], s[8:9], v[4:5]
	v_lshl_add_u64 v[4:5], v[8:9], 3, v[16:17]
	v_lshl_add_u64 v[10:11], v[20:21], 3, v[10:11]
	s_and_b32 s25, s3, vcc_lo
	s_and_b32 s1, s3, s1
	s_lshl_b64 s[2:3], s[18:19], 3
	v_add_nc_u64_e32 v[4:5], s[22:23], v[4:5]
	v_add_nc_u64_e32 v[6:7], s[22:23], v[6:7]
	;; [unrolled: 1-line block ×3, first 2 shown]
	s_lshl_b64 s[4:5], s[4:5], 2
	s_lshl_b64 s[30:31], s[10:11], 2
	s_delay_alu instid0(SALU_CYCLE_1)
	s_sub_nc_u64 s[30:31], s[4:5], s[30:31]
	s_lshl_b64 s[4:5], s[20:21], 3
	s_add_nc_u64 s[6:7], s[6:7], s[30:31]
	s_lshl_b64 s[20:21], s[8:9], 3
	v_lshl_add_u64 v[20:21], v[14:15], 2, s[28:29]
	v_lshl_add_u64 v[16:17], v[14:15], 3, v[16:17]
	v_add_nc_u64_e32 v[24:25], s[18:19], v[18:19]
	v_lshl_add_u64 v[18:19], v[18:19], 2, s[28:29]
	s_delay_alu instid0(VALU_DEP_3) | instskip(SKIP_1) | instid1(VALU_DEP_3)
	v_add_nc_u64_e32 v[16:17], s[2:3], v[16:17]
	s_lshl_b64 s[18:19], s[8:9], 2
	v_add_nc_u64_e32 v[8:9], v[24:25], v[0:1]
	s_delay_alu instid0(VALU_DEP_1) | instskip(SKIP_3) | instid1(VALU_DEP_3)
	v_lshl_add_u64 v[22:23], v[8:9], 3, s[26:27]
	v_add_nc_u64_e32 v[8:9], s[22:23], v[12:13]
	v_add_nc_u64_e32 v[12:13], 0x80, v[20:21]
	s_add_nc_u64 s[22:23], s[26:27], 0x100
	v_add_nc_u64_e32 v[14:15], 0x100, v[22:23]
	s_branch .LBB179_9
.LBB179_8:                              ;   in Loop: Header=BB179_9 Depth=1
	s_wait_xcnt 0x0
	s_or_b32 exec_lo, exec_lo, s9
	s_add_nc_u64 s[14:15], s[14:15], 1
	v_add_nc_u64_e32 v[4:5], s[4:5], v[4:5]
	v_cmp_ge_i64_e64 s9, s[14:15], s[16:17]
	v_add_nc_u64_e32 v[8:9], s[4:5], v[8:9]
	v_add_nc_u64_e32 v[6:7], s[4:5], v[6:7]
	;; [unrolled: 1-line block ×5, first 2 shown]
	s_add_nc_u64 s[6:7], s[6:7], 4
	s_and_b32 vcc_lo, exec_lo, s9
	s_add_nc_u64 s[22:23], s[22:23], s[20:21]
	s_cbranch_vccnz .LBB179_17
.LBB179_9:                              ; =>This Inner Loop Header: Depth=1
	s_load_b32 s9, s[6:7], 0x0
	s_delay_alu instid0(VALU_DEP_2)
	v_add_nc_u64_e32 v[24:25], v[12:13], v[2:3]
	v_add_nc_u64_e32 v[26:27], s[22:23], v[16:17]
	;; [unrolled: 1-line block ×4, first 2 shown]
	s_wait_kmcnt 0x0
	s_sub_co_i32 s9, s9, s10
	s_delay_alu instid0(SALU_CYCLE_1) | instskip(NEXT) | instid1(SALU_CYCLE_1)
	s_mul_i32 s9, s9, s8
	s_add_co_i32 s9, s9, s12
	s_delay_alu instid0(SALU_CYCLE_1)
	v_add_nc_u32_e32 v1, s9, v0
	s_and_saveexec_b32 s11, s13
	s_cbranch_execz .LBB179_11
; %bb.10:                               ;   in Loop: Header=BB179_9 Depth=1
	v_dual_cndmask_b32 v23, v21, v29, s0 :: v_dual_cndmask_b32 v22, v20, v28, s0
	global_load_b64 v[22:23], v[22:23], off
	global_store_b32 v[24:25], v1, off offset:-128
	s_wait_loadcnt 0x0
	global_store_b64 v[26:27], v[22:23], off offset:-256
.LBB179_11:                             ;   in Loop: Header=BB179_9 Depth=1
	s_wait_xcnt 0x0
	s_or_b32 exec_lo, exec_lo, s11
	v_add_nc_u64_e32 v[22:23], s[2:3], v[10:11]
	v_add_nc_u32_e32 v31, s9, v30
	s_and_saveexec_b32 s9, s24
	s_cbranch_execz .LBB179_13
; %bb.12:                               ;   in Loop: Header=BB179_9 Depth=1
	v_add_nc_u64_e32 v[28:29], 0x100, v[28:29]
	s_delay_alu instid0(VALU_DEP_1)
	v_dual_cndmask_b32 v29, v23, v29, s0 :: v_dual_cndmask_b32 v28, v22, v28, s0
	global_load_b64 v[28:29], v[28:29], off
	global_store_b32 v[24:25], v31, off
	s_wait_loadcnt 0x0
	global_store_b64 v[26:27], v[28:29], off
.LBB179_13:                             ;   in Loop: Header=BB179_9 Depth=1
	s_wait_xcnt 0x0
	s_or_b32 exec_lo, exec_lo, s9
	v_add_nc_u64_e32 v[24:25], v[18:19], v[2:3]
	v_add_nc_u64_e32 v[26:27], s[2:3], v[8:9]
	s_and_saveexec_b32 s9, s25
	s_cbranch_execz .LBB179_15
; %bb.14:                               ;   in Loop: Header=BB179_9 Depth=1
	v_add_nc_u64_e32 v[20:21], 0x100, v[20:21]
	s_delay_alu instid0(VALU_DEP_1)
	v_dual_cndmask_b32 v21, v21, v27, s0 :: v_dual_cndmask_b32 v20, v20, v26, s0
	global_load_b64 v[20:21], v[20:21], off
	global_store_b32 v[24:25], v1, off
	s_wait_loadcnt 0x0
	global_store_b64 v[14:15], v[20:21], off offset:-256
.LBB179_15:                             ;   in Loop: Header=BB179_9 Depth=1
	s_wait_xcnt 0x0
	s_or_b32 exec_lo, exec_lo, s9
	s_and_saveexec_b32 s9, s1
	s_cbranch_execz .LBB179_8
; %bb.16:                               ;   in Loop: Header=BB179_9 Depth=1
	v_dual_cndmask_b32 v21, v23, v27, s0 :: v_dual_cndmask_b32 v20, v22, v26, s0
	global_load_b64 v[20:21], v[20:21], off offset:256
	global_store_b32 v[24:25], v31, off offset:128
	s_wait_loadcnt 0x0
	global_store_b64 v[14:15], v[20:21], off
	s_branch .LBB179_8
.LBB179_17:
	s_endpgm
	.section	.rodata,"a",@progbits
	.p2align	6, 0x0
	.amdhsa_kernel _ZN9rocsparseL35bsr2csr_block_per_row_33_256_kernelILj1024ELj64ELj32E21rocsparse_complex_numIfEliEEv20rocsparse_direction_T4_S4_21rocsparse_index_base_PKT2_PKT3_PKS4_S4_S5_PS6_PS9_PS4_
		.amdhsa_group_segment_fixed_size 0
		.amdhsa_private_segment_fixed_size 0
		.amdhsa_kernarg_size 72
		.amdhsa_user_sgpr_count 2
		.amdhsa_user_sgpr_dispatch_ptr 0
		.amdhsa_user_sgpr_queue_ptr 0
		.amdhsa_user_sgpr_kernarg_segment_ptr 1
		.amdhsa_user_sgpr_dispatch_id 0
		.amdhsa_user_sgpr_kernarg_preload_length 0
		.amdhsa_user_sgpr_kernarg_preload_offset 0
		.amdhsa_user_sgpr_private_segment_size 0
		.amdhsa_wavefront_size32 1
		.amdhsa_uses_dynamic_stack 0
		.amdhsa_enable_private_segment 0
		.amdhsa_system_sgpr_workgroup_id_x 1
		.amdhsa_system_sgpr_workgroup_id_y 0
		.amdhsa_system_sgpr_workgroup_id_z 0
		.amdhsa_system_sgpr_workgroup_info 0
		.amdhsa_system_vgpr_workitem_id 0
		.amdhsa_next_free_vgpr 32
		.amdhsa_next_free_sgpr 34
		.amdhsa_named_barrier_count 0
		.amdhsa_reserve_vcc 1
		.amdhsa_float_round_mode_32 0
		.amdhsa_float_round_mode_16_64 0
		.amdhsa_float_denorm_mode_32 3
		.amdhsa_float_denorm_mode_16_64 3
		.amdhsa_fp16_overflow 0
		.amdhsa_memory_ordered 1
		.amdhsa_forward_progress 1
		.amdhsa_inst_pref_size 10
		.amdhsa_round_robin_scheduling 0
		.amdhsa_exception_fp_ieee_invalid_op 0
		.amdhsa_exception_fp_denorm_src 0
		.amdhsa_exception_fp_ieee_div_zero 0
		.amdhsa_exception_fp_ieee_overflow 0
		.amdhsa_exception_fp_ieee_underflow 0
		.amdhsa_exception_fp_ieee_inexact 0
		.amdhsa_exception_int_div_zero 0
	.end_amdhsa_kernel
	.section	.text._ZN9rocsparseL35bsr2csr_block_per_row_33_256_kernelILj1024ELj64ELj32E21rocsparse_complex_numIfEliEEv20rocsparse_direction_T4_S4_21rocsparse_index_base_PKT2_PKT3_PKS4_S4_S5_PS6_PS9_PS4_,"axG",@progbits,_ZN9rocsparseL35bsr2csr_block_per_row_33_256_kernelILj1024ELj64ELj32E21rocsparse_complex_numIfEliEEv20rocsparse_direction_T4_S4_21rocsparse_index_base_PKT2_PKT3_PKS4_S4_S5_PS6_PS9_PS4_,comdat
.Lfunc_end179:
	.size	_ZN9rocsparseL35bsr2csr_block_per_row_33_256_kernelILj1024ELj64ELj32E21rocsparse_complex_numIfEliEEv20rocsparse_direction_T4_S4_21rocsparse_index_base_PKT2_PKT3_PKS4_S4_S5_PS6_PS9_PS4_, .Lfunc_end179-_ZN9rocsparseL35bsr2csr_block_per_row_33_256_kernelILj1024ELj64ELj32E21rocsparse_complex_numIfEliEEv20rocsparse_direction_T4_S4_21rocsparse_index_base_PKT2_PKT3_PKS4_S4_S5_PS6_PS9_PS4_
                                        ; -- End function
	.set _ZN9rocsparseL35bsr2csr_block_per_row_33_256_kernelILj1024ELj64ELj32E21rocsparse_complex_numIfEliEEv20rocsparse_direction_T4_S4_21rocsparse_index_base_PKT2_PKT3_PKS4_S4_S5_PS6_PS9_PS4_.num_vgpr, 32
	.set _ZN9rocsparseL35bsr2csr_block_per_row_33_256_kernelILj1024ELj64ELj32E21rocsparse_complex_numIfEliEEv20rocsparse_direction_T4_S4_21rocsparse_index_base_PKT2_PKT3_PKS4_S4_S5_PS6_PS9_PS4_.num_agpr, 0
	.set _ZN9rocsparseL35bsr2csr_block_per_row_33_256_kernelILj1024ELj64ELj32E21rocsparse_complex_numIfEliEEv20rocsparse_direction_T4_S4_21rocsparse_index_base_PKT2_PKT3_PKS4_S4_S5_PS6_PS9_PS4_.numbered_sgpr, 34
	.set _ZN9rocsparseL35bsr2csr_block_per_row_33_256_kernelILj1024ELj64ELj32E21rocsparse_complex_numIfEliEEv20rocsparse_direction_T4_S4_21rocsparse_index_base_PKT2_PKT3_PKS4_S4_S5_PS6_PS9_PS4_.num_named_barrier, 0
	.set _ZN9rocsparseL35bsr2csr_block_per_row_33_256_kernelILj1024ELj64ELj32E21rocsparse_complex_numIfEliEEv20rocsparse_direction_T4_S4_21rocsparse_index_base_PKT2_PKT3_PKS4_S4_S5_PS6_PS9_PS4_.private_seg_size, 0
	.set _ZN9rocsparseL35bsr2csr_block_per_row_33_256_kernelILj1024ELj64ELj32E21rocsparse_complex_numIfEliEEv20rocsparse_direction_T4_S4_21rocsparse_index_base_PKT2_PKT3_PKS4_S4_S5_PS6_PS9_PS4_.uses_vcc, 1
	.set _ZN9rocsparseL35bsr2csr_block_per_row_33_256_kernelILj1024ELj64ELj32E21rocsparse_complex_numIfEliEEv20rocsparse_direction_T4_S4_21rocsparse_index_base_PKT2_PKT3_PKS4_S4_S5_PS6_PS9_PS4_.uses_flat_scratch, 0
	.set _ZN9rocsparseL35bsr2csr_block_per_row_33_256_kernelILj1024ELj64ELj32E21rocsparse_complex_numIfEliEEv20rocsparse_direction_T4_S4_21rocsparse_index_base_PKT2_PKT3_PKS4_S4_S5_PS6_PS9_PS4_.has_dyn_sized_stack, 0
	.set _ZN9rocsparseL35bsr2csr_block_per_row_33_256_kernelILj1024ELj64ELj32E21rocsparse_complex_numIfEliEEv20rocsparse_direction_T4_S4_21rocsparse_index_base_PKT2_PKT3_PKS4_S4_S5_PS6_PS9_PS4_.has_recursion, 0
	.set _ZN9rocsparseL35bsr2csr_block_per_row_33_256_kernelILj1024ELj64ELj32E21rocsparse_complex_numIfEliEEv20rocsparse_direction_T4_S4_21rocsparse_index_base_PKT2_PKT3_PKS4_S4_S5_PS6_PS9_PS4_.has_indirect_call, 0
	.section	.AMDGPU.csdata,"",@progbits
; Kernel info:
; codeLenInByte = 1188
; TotalNumSgprs: 36
; NumVgprs: 32
; ScratchSize: 0
; MemoryBound: 0
; FloatMode: 240
; IeeeMode: 1
; LDSByteSize: 0 bytes/workgroup (compile time only)
; SGPRBlocks: 0
; VGPRBlocks: 1
; NumSGPRsForWavesPerEU: 36
; NumVGPRsForWavesPerEU: 32
; NamedBarCnt: 0
; Occupancy: 16
; WaveLimiterHint : 1
; COMPUTE_PGM_RSRC2:SCRATCH_EN: 0
; COMPUTE_PGM_RSRC2:USER_SGPR: 2
; COMPUTE_PGM_RSRC2:TRAP_HANDLER: 0
; COMPUTE_PGM_RSRC2:TGID_X_EN: 1
; COMPUTE_PGM_RSRC2:TGID_Y_EN: 0
; COMPUTE_PGM_RSRC2:TGID_Z_EN: 0
; COMPUTE_PGM_RSRC2:TIDIG_COMP_CNT: 0
	.section	.text._ZN9rocsparseL35bsr2csr_block_per_row_33_256_kernelILj1024ELj128ELj32E21rocsparse_complex_numIfEliEEv20rocsparse_direction_T4_S4_21rocsparse_index_base_PKT2_PKT3_PKS4_S4_S5_PS6_PS9_PS4_,"axG",@progbits,_ZN9rocsparseL35bsr2csr_block_per_row_33_256_kernelILj1024ELj128ELj32E21rocsparse_complex_numIfEliEEv20rocsparse_direction_T4_S4_21rocsparse_index_base_PKT2_PKT3_PKS4_S4_S5_PS6_PS9_PS4_,comdat
	.globl	_ZN9rocsparseL35bsr2csr_block_per_row_33_256_kernelILj1024ELj128ELj32E21rocsparse_complex_numIfEliEEv20rocsparse_direction_T4_S4_21rocsparse_index_base_PKT2_PKT3_PKS4_S4_S5_PS6_PS9_PS4_ ; -- Begin function _ZN9rocsparseL35bsr2csr_block_per_row_33_256_kernelILj1024ELj128ELj32E21rocsparse_complex_numIfEliEEv20rocsparse_direction_T4_S4_21rocsparse_index_base_PKT2_PKT3_PKS4_S4_S5_PS6_PS9_PS4_
	.p2align	8
	.type	_ZN9rocsparseL35bsr2csr_block_per_row_33_256_kernelILj1024ELj128ELj32E21rocsparse_complex_numIfEliEEv20rocsparse_direction_T4_S4_21rocsparse_index_base_PKT2_PKT3_PKS4_S4_S5_PS6_PS9_PS4_,@function
_ZN9rocsparseL35bsr2csr_block_per_row_33_256_kernelILj1024ELj128ELj32E21rocsparse_complex_numIfEliEEv20rocsparse_direction_T4_S4_21rocsparse_index_base_PKT2_PKT3_PKS4_S4_S5_PS6_PS9_PS4_: ; @_ZN9rocsparseL35bsr2csr_block_per_row_33_256_kernelILj1024ELj128ELj32E21rocsparse_complex_numIfEliEEv20rocsparse_direction_T4_S4_21rocsparse_index_base_PKT2_PKT3_PKS4_S4_S5_PS6_PS9_PS4_
; %bb.0:
	s_load_b64 s[2:3], s[0:1], 0x18
	s_bfe_u32 s4, ttmp6, 0x4000c
	s_and_b32 s5, ttmp6, 15
	s_add_co_i32 s4, s4, 1
	s_getreg_b32 s6, hwreg(HW_REG_IB_STS2, 6, 4)
	s_mul_i32 s4, ttmp9, s4
	s_mov_b32 s15, 0
	s_add_co_i32 s5, s5, s4
	s_cmp_eq_u32 s6, 0
	s_clause 0x1
	s_load_b64 s[12:13], s[0:1], 0x28
	s_load_b64 s[6:7], s[0:1], 0x38
	s_cselect_b32 s4, ttmp9, s5
	s_mov_b32 s17, s15
	s_ashr_i32 s5, s4, 31
	v_or_b32_e32 v1, s4, v0
	s_lshl_b64 s[8:9], s[4:5], 3
	s_wait_kmcnt 0x0
	s_add_nc_u64 s[2:3], s[2:3], s[8:9]
	s_load_b128 s[8:11], s[2:3], 0x0
	s_wait_xcnt 0x0
	s_mov_b32 s2, exec_lo
	s_mov_b32 s16, s13
	v_cmpx_eq_u32_e32 0, v1
	s_cbranch_execz .LBB180_2
; %bb.1:
	v_mov_b64_e32 v[2:3], s[16:17]
	v_mov_b32_e32 v1, 0
	global_store_b64 v1, v[2:3], s[6:7]
.LBB180_2:
	s_wait_xcnt 0x0
	s_or_b32 exec_lo, exec_lo, s2
	s_load_b32 s14, s[0:1], 0xc
	v_lshrrev_b32_e32 v4, 5, v0
	s_mul_i32 s24, s12, s12
	s_mov_b32 s25, s15
	s_mov_b32 s13, s15
	s_delay_alu instid0(VALU_DEP_1)
	v_cmp_gt_i32_e64 s2, s12, v4
	s_wait_kmcnt 0x0
	s_sub_nc_u64 s[18:19], s[8:9], s[14:15]
	s_sub_nc_u64 s[20:21], s[10:11], s[14:15]
	s_mul_u64 s[26:27], s[18:19], s[24:25]
	s_sub_nc_u64 s[28:29], s[20:21], s[18:19]
	s_add_nc_u64 s[30:31], s[26:27], s[16:17]
	s_mul_u64 s[22:23], s[28:29], s[12:13]
	s_delay_alu instid0(SALU_CYCLE_1)
	s_add_nc_u64 s[34:35], s[30:31], s[22:23]
	s_mul_i32 s30, s12, s4
	s_and_saveexec_b32 s3, s2
	s_cbranch_execz .LBB180_4
; %bb.3:
	v_mad_nc_u64_u32 v[2:3], s22, v4, s[34:35]
	v_add_nc_u32_e32 v1, s30, v4
	s_delay_alu instid0(VALU_DEP_2)
	v_mad_u32 v3, s23, v4, v3
	global_store_b64 v1, v[2:3], s[6:7] offset:8 scale_offset
.LBB180_4:
	s_wait_xcnt 0x0
	s_or_b32 exec_lo, exec_lo, s3
	v_or_b32_e32 v2, 32, v4
	s_delay_alu instid0(VALU_DEP_1)
	v_cmp_gt_i32_e64 s3, s12, v2
	s_and_saveexec_b32 s4, s3
	s_cbranch_execz .LBB180_6
; %bb.5:
	v_mad_nc_u64_u32 v[6:7], s22, v2, s[34:35]
	v_mov_b32_e32 v5, 0
	s_ashr_i32 s31, s30, 31
	s_delay_alu instid0(VALU_DEP_1) | instid1(SALU_CYCLE_1)
	v_add_nc_u64_e32 v[8:9], s[30:31], v[4:5]
	s_delay_alu instid0(VALU_DEP_3) | instskip(NEXT) | instid1(VALU_DEP_2)
	v_mad_u32 v7, s23, v2, v7
	v_lshl_add_u64 v[8:9], v[8:9], 3, s[6:7]
	global_store_b64 v[8:9], v[6:7], off offset:264
.LBB180_6:
	s_wait_xcnt 0x0
	s_or_b32 exec_lo, exec_lo, s4
	v_or_b32_e32 v6, 64, v4
	s_delay_alu instid0(VALU_DEP_1)
	v_cmp_gt_i32_e64 s4, s12, v6
	s_and_saveexec_b32 s5, s4
	s_cbranch_execz .LBB180_8
; %bb.7:
	v_mad_nc_u64_u32 v[8:9], s22, v6, s[34:35]
	v_mov_b32_e32 v5, 0
	s_ashr_i32 s31, s30, 31
	s_delay_alu instid0(VALU_DEP_1) | instid1(SALU_CYCLE_1)
	v_add_nc_u64_e32 v[10:11], s[30:31], v[4:5]
	s_delay_alu instid0(VALU_DEP_3) | instskip(NEXT) | instid1(VALU_DEP_2)
	v_mad_u32 v9, s23, v6, v9
	v_lshl_add_u64 v[10:11], v[10:11], 3, s[6:7]
	global_store_b64 v[10:11], v[8:9], off offset:520
.LBB180_8:
	;; [unrolled: 18-line block ×3, first 2 shown]
	s_wait_xcnt 0x0
	s_or_b32 exec_lo, exec_lo, s17
	v_cmp_lt_i64_e64 s6, s[8:9], s[10:11]
	s_and_b32 vcc_lo, exec_lo, s6
	s_cbranch_vccz .LBB180_45
; %bb.11:
	v_dual_mov_b32 v5, 0 :: v_dual_bitop2_b32 v0, 31, v0 bitop3:0x40
	s_clause 0x1
	s_load_b64 s[30:31], s[0:1], 0x20
	s_load_b32 s6, s[0:1], 0x0
	v_mul_lo_u32 v8, v4, s12
	s_clause 0x2
	s_load_b64 s[34:35], s[0:1], 0x10
	s_load_b64 s[10:11], s[0:1], 0x30
	;; [unrolled: 1-line block ×3, first 2 shown]
	v_dual_mov_b32 v13, v5 :: v_dual_bitop2_b32 v49, 64, v0 bitop3:0x54
	v_dual_mov_b32 v3, v5 :: v_dual_mov_b32 v7, v5
	v_mul_u64_e32 v[14:15], s[28:29], v[4:5]
	v_mul_lo_u32 v10, v0, s12
	s_delay_alu instid0(VALU_DEP_4) | instskip(NEXT) | instid1(VALU_DEP_4)
	v_mul_u64_e32 v[12:13], s[28:29], v[12:13]
	v_mul_u64_e32 v[18:19], s[28:29], v[2:3]
	;; [unrolled: 1-line block ×3, first 2 shown]
	v_dual_mov_b32 v9, v5 :: v_dual_mov_b32 v1, v5
	v_dual_mov_b32 v31, v5 :: v_dual_lshlrev_b32 v30, 3, v0
	v_or_b32_e32 v50, 0x60, v0
	v_dual_mov_b32 v11, v5 :: v_dual_bitop2_b32 v48, 32, v0 bitop3:0x54
	v_dual_mov_b32 v41, v5 :: v_dual_lshlrev_b32 v40, 3, v4
	s_wait_kmcnt 0x0
	s_cmp_eq_u32 s6, 0
	v_mov_b32_e32 v23, v5
	s_cselect_b32 s0, -1, 0
	s_lshl_b32 s44, s12, 5
	s_delay_alu instid0(SALU_CYCLE_1) | instskip(SKIP_3) | instid1(VALU_DEP_3)
	v_dual_mov_b32 v17, v5 :: v_dual_add_nc_u32 v16, s44, v10
	v_dual_mov_b32 v25, v5 :: v_dual_add_nc_u32 v22, s44, v8
	v_mov_b32_e32 v21, v5
	v_lshl_add_u64 v[2:3], v[8:9], 3, v[30:31]
	v_dual_add_nc_u32 v20, s44, v16 :: v_dual_add_nc_u32 v24, s44, v22
	v_dual_mov_b32 v27, v5 :: v_dual_mov_b32 v33, v5
	v_lshl_add_u64 v[4:5], v[22:23], 3, v[30:31]
	s_delay_alu instid0(VALU_DEP_3) | instskip(NEXT) | instid1(VALU_DEP_4)
	v_add_nc_u32_e32 v32, s44, v20
	v_add_nc_u32_e32 v26, s44, v24
	v_cmp_gt_i32_e64 s6, s12, v49
	v_mad_nc_u64_u32 v[28:29], v14, s12, s[26:27]
	v_cmp_gt_i32_e64 s7, s12, v50
	v_mad_nc_u64_u32 v[34:35], v12, s12, s[26:27]
	v_mad_nc_u64_u32 v[36:37], v18, s12, s[26:27]
	;; [unrolled: 1-line block ×3, first 2 shown]
	v_lshl_add_u64 v[8:9], v[26:27], 3, v[30:31]
	v_cmp_gt_i32_e32 vcc_lo, s12, v0
	v_cmp_gt_i32_e64 s1, s12, v48
	s_and_b32 s28, s2, s6
	s_and_b32 s29, s2, s7
	;; [unrolled: 1-line block ×3, first 2 shown]
	v_mad_u32 v29, v15, s12, v29
	v_lshl_add_u64 v[14:15], v[20:21], 3, v[40:41]
	v_mad_u32 v35, v13, s12, v35
	v_mad_u32 v37, v19, s12, v37
	;; [unrolled: 1-line block ×3, first 2 shown]
	v_lshl_add_u64 v[6:7], v[24:25], 3, v[30:31]
	v_lshl_add_u64 v[12:13], v[16:17], 3, v[40:41]
	s_and_b32 s39, s3, s7
	s_and_b32 s42, s4, s6
	;; [unrolled: 1-line block ×4, first 2 shown]
	v_add_nc_u64_e32 v[18:19], v[28:29], v[0:1]
	s_and_b32 s46, s5, s7
	v_add_nc_u64_e32 v[22:23], v[34:35], v[0:1]
	v_add_nc_u64_e32 v[26:27], v[36:37], v[0:1]
	;; [unrolled: 1-line block ×3, first 2 shown]
	s_lshl_b64 s[6:7], s[8:9], 2
	s_lshl_b64 s[8:9], s[14:15], 2
	v_lshlrev_b64_e32 v[16:17], 2, v[18:19]
	v_lshlrev_b64_e32 v[18:19], 3, v[18:19]
	;; [unrolled: 1-line block ×8, first 2 shown]
	v_lshl_add_u64 v[10:11], v[10:11], 3, v[40:41]
	v_lshl_add_u64 v[32:33], v[32:33], 3, v[40:41]
	s_and_b32 s17, s2, vcc_lo
	s_and_b32 s33, s2, s1
	s_and_b32 s36, s3, vcc_lo
	s_and_b32 s37, s3, s1
	s_lshl_b64 s[2:3], s[26:27], 3
	s_sub_nc_u64 s[6:7], s[6:7], s[8:9]
	s_and_b32 s40, s4, vcc_lo
	s_and_b32 s41, s4, s1
	s_and_b32 s44, s5, vcc_lo
	s_and_b32 s1, s5, s1
	s_add_nc_u64 s[2:3], s[34:35], s[2:3]
	s_lshl_b64 s[4:5], s[24:25], 3
	s_add_nc_u64 s[6:7], s[30:31], s[6:7]
	s_lshl_b64 s[8:9], s[12:13], 2
	s_lshl_b64 s[24:25], s[12:13], 3
	s_branch .LBB180_13
.LBB180_12:                             ;   in Loop: Header=BB180_13 Depth=1
	s_wait_xcnt 0x0
	s_or_b32 exec_lo, exec_lo, s13
	s_add_nc_u64 s[18:19], s[18:19], 1
	s_add_nc_u64 s[2:3], s[2:3], s[4:5]
	v_cmp_ge_i64_e64 s13, s[18:19], s[20:21]
	s_add_nc_u64 s[6:7], s[6:7], 4
	s_add_nc_u64 s[22:23], s[22:23], s[8:9]
	s_add_nc_u64 s[10:11], s[10:11], s[24:25]
	s_and_b32 vcc_lo, exec_lo, s13
	s_cbranch_vccnz .LBB180_45
.LBB180_13:                             ; =>This Inner Loop Header: Depth=1
	s_load_b32 s13, s[6:7], 0x0
	v_add_nc_u64_e32 v[42:43], s[22:23], v[16:17]
	v_add_nc_u64_e32 v[44:45], s[10:11], v[18:19]
	;; [unrolled: 1-line block ×4, first 2 shown]
	s_wait_kmcnt 0x0
	s_sub_co_i32 s13, s13, s14
	s_delay_alu instid0(SALU_CYCLE_1) | instskip(NEXT) | instid1(SALU_CYCLE_1)
	s_mul_i32 s13, s13, s12
	s_add_co_i32 s13, s13, s16
	s_delay_alu instid0(SALU_CYCLE_1)
	v_add_nc_u32_e32 v1, s13, v0
	s_and_saveexec_b32 s15, s17
	s_cbranch_execz .LBB180_15
; %bb.14:                               ;   in Loop: Header=BB180_13 Depth=1
	v_dual_cndmask_b32 v37, v35, v47, s0 :: v_dual_cndmask_b32 v36, v34, v46, s0
	global_load_b64 v[36:37], v[36:37], off
	global_store_b32 v[42:43], v1, off
	s_wait_loadcnt 0x0
	global_store_b64 v[44:45], v[36:37], off
.LBB180_15:                             ;   in Loop: Header=BB180_13 Depth=1
	s_wait_xcnt 0x0
	s_or_b32 exec_lo, exec_lo, s15
	v_add_nc_u64_e32 v[36:37], s[2:3], v[12:13]
	v_add_nc_u32_e32 v51, s13, v48
	s_and_saveexec_b32 s15, s33
	s_cbranch_execz .LBB180_17
; %bb.16:                               ;   in Loop: Header=BB180_13 Depth=1
	v_add_nc_u64_e32 v[38:39], 0x100, v[46:47]
	s_delay_alu instid0(VALU_DEP_1)
	v_dual_cndmask_b32 v39, v37, v39, s0 :: v_dual_cndmask_b32 v38, v36, v38, s0
	global_load_b64 v[38:39], v[38:39], off
	global_store_b32 v[42:43], v51, off offset:128
	s_wait_loadcnt 0x0
	global_store_b64 v[44:45], v[38:39], off offset:256
.LBB180_17:                             ;   in Loop: Header=BB180_13 Depth=1
	s_wait_xcnt 0x0
	s_or_b32 exec_lo, exec_lo, s15
	v_add_nc_u64_e32 v[38:39], s[2:3], v[14:15]
	v_add_nc_u32_e32 v52, s13, v49
	s_and_saveexec_b32 s15, s28
	s_cbranch_execz .LBB180_19
; %bb.18:                               ;   in Loop: Header=BB180_13 Depth=1
	v_add_nc_u64_e32 v[40:41], 0x200, v[46:47]
	s_delay_alu instid0(VALU_DEP_1)
	v_dual_cndmask_b32 v41, v39, v41, s0 :: v_dual_cndmask_b32 v40, v38, v40, s0
	global_load_b64 v[40:41], v[40:41], off
	global_store_b32 v[42:43], v52, off offset:256
	s_wait_loadcnt 0x0
	global_store_b64 v[44:45], v[40:41], off offset:512
.LBB180_19:                             ;   in Loop: Header=BB180_13 Depth=1
	;; [unrolled: 15-line block ×3, first 2 shown]
	s_wait_xcnt 0x0
	s_or_b32 exec_lo, exec_lo, s13
	v_add_nc_u64_e32 v[42:43], s[22:23], v[24:25]
	v_add_nc_u64_e32 v[44:45], s[10:11], v[26:27]
	v_add_nc_u64_e32 v[46:47], s[2:3], v[4:5]
	s_and_saveexec_b32 s13, s36
	s_cbranch_execnz .LBB180_35
; %bb.22:                               ;   in Loop: Header=BB180_13 Depth=1
	s_or_b32 exec_lo, exec_lo, s13
	s_and_saveexec_b32 s13, s37
	s_cbranch_execnz .LBB180_36
.LBB180_23:                             ;   in Loop: Header=BB180_13 Depth=1
	s_or_b32 exec_lo, exec_lo, s13
	s_and_saveexec_b32 s13, s38
	s_cbranch_execnz .LBB180_37
.LBB180_24:                             ;   in Loop: Header=BB180_13 Depth=1
	s_or_b32 exec_lo, exec_lo, s13
	s_and_saveexec_b32 s13, s39
	s_cbranch_execz .LBB180_26
.LBB180_25:                             ;   in Loop: Header=BB180_13 Depth=1
	v_add_nc_u64_e32 v[46:47], 0x300, v[46:47]
	v_add_nc_u64_e32 v[54:55], 0x100, v[40:41]
	s_delay_alu instid0(VALU_DEP_1)
	v_dual_cndmask_b32 v47, v55, v47, s0 :: v_dual_cndmask_b32 v46, v54, v46, s0
	global_load_b64 v[46:47], v[46:47], off
	global_store_b32 v[42:43], v53, off offset:384
	s_wait_loadcnt 0x0
	global_store_b64 v[44:45], v[46:47], off offset:768
.LBB180_26:                             ;   in Loop: Header=BB180_13 Depth=1
	s_wait_xcnt 0x0
	s_or_b32 exec_lo, exec_lo, s13
	v_add_nc_u64_e32 v[42:43], s[22:23], v[30:31]
	v_add_nc_u64_e32 v[44:45], s[10:11], v[28:29]
	;; [unrolled: 1-line block ×3, first 2 shown]
	s_and_saveexec_b32 s13, s40
	s_cbranch_execnz .LBB180_38
; %bb.27:                               ;   in Loop: Header=BB180_13 Depth=1
	s_or_b32 exec_lo, exec_lo, s13
	s_and_saveexec_b32 s13, s41
	s_cbranch_execnz .LBB180_39
.LBB180_28:                             ;   in Loop: Header=BB180_13 Depth=1
	s_or_b32 exec_lo, exec_lo, s13
	s_and_saveexec_b32 s13, s42
	s_cbranch_execnz .LBB180_40
.LBB180_29:                             ;   in Loop: Header=BB180_13 Depth=1
	s_or_b32 exec_lo, exec_lo, s13
	s_and_saveexec_b32 s13, s43
	s_cbranch_execz .LBB180_31
.LBB180_30:                             ;   in Loop: Header=BB180_13 Depth=1
	v_add_nc_u64_e32 v[46:47], 0x300, v[46:47]
	v_add_nc_u64_e32 v[54:55], 0x200, v[40:41]
	s_delay_alu instid0(VALU_DEP_1)
	v_dual_cndmask_b32 v47, v55, v47, s0 :: v_dual_cndmask_b32 v46, v54, v46, s0
	global_load_b64 v[46:47], v[46:47], off
	global_store_b32 v[42:43], v53, off offset:384
	s_wait_loadcnt 0x0
	global_store_b64 v[44:45], v[46:47], off offset:768
.LBB180_31:                             ;   in Loop: Header=BB180_13 Depth=1
	s_wait_xcnt 0x0
	s_or_b32 exec_lo, exec_lo, s13
	v_add_nc_u64_e32 v[42:43], s[22:23], v[22:23]
	v_add_nc_u64_e32 v[44:45], s[10:11], v[20:21]
	;; [unrolled: 1-line block ×3, first 2 shown]
	s_and_saveexec_b32 s13, s44
	s_cbranch_execnz .LBB180_41
; %bb.32:                               ;   in Loop: Header=BB180_13 Depth=1
	s_or_b32 exec_lo, exec_lo, s13
	s_and_saveexec_b32 s13, s1
	s_cbranch_execnz .LBB180_42
.LBB180_33:                             ;   in Loop: Header=BB180_13 Depth=1
	s_or_b32 exec_lo, exec_lo, s13
	s_and_saveexec_b32 s13, s45
	s_cbranch_execnz .LBB180_43
.LBB180_34:                             ;   in Loop: Header=BB180_13 Depth=1
	s_or_b32 exec_lo, exec_lo, s13
	s_and_saveexec_b32 s13, s46
	s_cbranch_execz .LBB180_12
	s_branch .LBB180_44
.LBB180_35:                             ;   in Loop: Header=BB180_13 Depth=1
	v_add_nc_u64_e32 v[54:55], 0x100, v[34:35]
	s_delay_alu instid0(VALU_DEP_1)
	v_dual_cndmask_b32 v55, v55, v47, s0 :: v_dual_cndmask_b32 v54, v54, v46, s0
	global_load_b64 v[54:55], v[54:55], off
	global_store_b32 v[42:43], v1, off
	s_wait_loadcnt 0x0
	global_store_b64 v[44:45], v[54:55], off
	s_wait_xcnt 0x0
	s_or_b32 exec_lo, exec_lo, s13
	s_and_saveexec_b32 s13, s37
	s_cbranch_execz .LBB180_23
.LBB180_36:                             ;   in Loop: Header=BB180_13 Depth=1
	s_delay_alu instid0(VALU_DEP_1)
	v_dual_cndmask_b32 v55, v37, v47, s0 :: v_dual_cndmask_b32 v54, v36, v46, s0
	global_load_b64 v[54:55], v[54:55], off offset:256
	global_store_b32 v[42:43], v51, off offset:128
	s_wait_loadcnt 0x0
	global_store_b64 v[44:45], v[54:55], off offset:256
	s_wait_xcnt 0x0
	s_or_b32 exec_lo, exec_lo, s13
	s_and_saveexec_b32 s13, s38
	s_cbranch_execz .LBB180_24
.LBB180_37:                             ;   in Loop: Header=BB180_13 Depth=1
	v_add_nc_u64_e32 v[54:55], 0x200, v[46:47]
	v_add_nc_u64_e32 v[56:57], 0x100, v[38:39]
	s_delay_alu instid0(VALU_DEP_1)
	v_dual_cndmask_b32 v55, v57, v55, s0 :: v_dual_cndmask_b32 v54, v56, v54, s0
	global_load_b64 v[54:55], v[54:55], off
	global_store_b32 v[42:43], v52, off offset:256
	s_wait_loadcnt 0x0
	global_store_b64 v[44:45], v[54:55], off offset:512
	s_wait_xcnt 0x0
	s_or_b32 exec_lo, exec_lo, s13
	s_and_saveexec_b32 s13, s39
	s_cbranch_execnz .LBB180_25
	s_branch .LBB180_26
.LBB180_38:                             ;   in Loop: Header=BB180_13 Depth=1
	v_add_nc_u64_e32 v[54:55], 0x200, v[34:35]
	s_delay_alu instid0(VALU_DEP_1)
	v_dual_cndmask_b32 v55, v55, v47, s0 :: v_dual_cndmask_b32 v54, v54, v46, s0
	global_load_b64 v[54:55], v[54:55], off
	global_store_b32 v[42:43], v1, off
	s_wait_loadcnt 0x0
	global_store_b64 v[44:45], v[54:55], off
	s_wait_xcnt 0x0
	s_or_b32 exec_lo, exec_lo, s13
	s_and_saveexec_b32 s13, s41
	s_cbranch_execz .LBB180_28
.LBB180_39:                             ;   in Loop: Header=BB180_13 Depth=1
	s_delay_alu instid0(VALU_DEP_1) | instskip(SKIP_1) | instid1(VALU_DEP_1)
	v_add_nc_u64_e32 v[54:55], 0x100, v[46:47]
	v_add_nc_u64_e32 v[56:57], 0x200, v[36:37]
	v_dual_cndmask_b32 v55, v57, v55, s0 :: v_dual_cndmask_b32 v54, v56, v54, s0
	global_load_b64 v[54:55], v[54:55], off
	global_store_b32 v[42:43], v51, off offset:128
	s_wait_loadcnt 0x0
	global_store_b64 v[44:45], v[54:55], off offset:256
	s_wait_xcnt 0x0
	s_or_b32 exec_lo, exec_lo, s13
	s_and_saveexec_b32 s13, s42
	s_cbranch_execz .LBB180_29
.LBB180_40:                             ;   in Loop: Header=BB180_13 Depth=1
	v_dual_cndmask_b32 v55, v39, v47, s0 :: v_dual_cndmask_b32 v54, v38, v46, s0
	global_load_b64 v[54:55], v[54:55], off offset:512
	global_store_b32 v[42:43], v52, off offset:256
	s_wait_loadcnt 0x0
	global_store_b64 v[44:45], v[54:55], off offset:512
	s_wait_xcnt 0x0
	s_or_b32 exec_lo, exec_lo, s13
	s_and_saveexec_b32 s13, s43
	s_cbranch_execnz .LBB180_30
	s_branch .LBB180_31
.LBB180_41:                             ;   in Loop: Header=BB180_13 Depth=1
	v_add_nc_u64_e32 v[34:35], 0x300, v[34:35]
	s_delay_alu instid0(VALU_DEP_1)
	v_dual_cndmask_b32 v35, v35, v47, s0 :: v_dual_cndmask_b32 v34, v34, v46, s0
	global_load_b64 v[34:35], v[34:35], off
	global_store_b32 v[42:43], v1, off
	s_wait_loadcnt 0x0
	global_store_b64 v[44:45], v[34:35], off
	s_wait_xcnt 0x0
	s_or_b32 exec_lo, exec_lo, s13
	s_and_saveexec_b32 s13, s1
	s_cbranch_execz .LBB180_33
.LBB180_42:                             ;   in Loop: Header=BB180_13 Depth=1
	s_delay_alu instid0(VALU_DEP_1) | instskip(SKIP_1) | instid1(VALU_DEP_1)
	v_add_nc_u64_e32 v[34:35], 0x100, v[46:47]
	v_add_nc_u64_e32 v[36:37], 0x300, v[36:37]
	v_dual_cndmask_b32 v35, v37, v35, s0 :: v_dual_cndmask_b32 v34, v36, v34, s0
	global_load_b64 v[34:35], v[34:35], off
	global_store_b32 v[42:43], v51, off offset:128
	s_wait_loadcnt 0x0
	global_store_b64 v[44:45], v[34:35], off offset:256
	s_wait_xcnt 0x0
	s_or_b32 exec_lo, exec_lo, s13
	s_and_saveexec_b32 s13, s45
	s_cbranch_execz .LBB180_34
.LBB180_43:                             ;   in Loop: Header=BB180_13 Depth=1
	v_add_nc_u64_e32 v[34:35], 0x200, v[46:47]
	v_add_nc_u64_e32 v[36:37], 0x300, v[38:39]
	s_delay_alu instid0(VALU_DEP_1)
	v_dual_cndmask_b32 v35, v37, v35, s0 :: v_dual_cndmask_b32 v34, v36, v34, s0
	global_load_b64 v[34:35], v[34:35], off
	global_store_b32 v[42:43], v52, off offset:256
	s_wait_loadcnt 0x0
	global_store_b64 v[44:45], v[34:35], off offset:512
	s_wait_xcnt 0x0
	s_or_b32 exec_lo, exec_lo, s13
	s_and_saveexec_b32 s13, s46
	s_cbranch_execz .LBB180_12
.LBB180_44:                             ;   in Loop: Header=BB180_13 Depth=1
	v_dual_cndmask_b32 v35, v41, v47, s0 :: v_dual_cndmask_b32 v34, v40, v46, s0
	global_load_b64 v[34:35], v[34:35], off offset:768
	global_store_b32 v[42:43], v53, off offset:384
	s_wait_loadcnt 0x0
	global_store_b64 v[44:45], v[34:35], off offset:768
	s_branch .LBB180_12
.LBB180_45:
	s_endpgm
	.section	.rodata,"a",@progbits
	.p2align	6, 0x0
	.amdhsa_kernel _ZN9rocsparseL35bsr2csr_block_per_row_33_256_kernelILj1024ELj128ELj32E21rocsparse_complex_numIfEliEEv20rocsparse_direction_T4_S4_21rocsparse_index_base_PKT2_PKT3_PKS4_S4_S5_PS6_PS9_PS4_
		.amdhsa_group_segment_fixed_size 0
		.amdhsa_private_segment_fixed_size 0
		.amdhsa_kernarg_size 72
		.amdhsa_user_sgpr_count 2
		.amdhsa_user_sgpr_dispatch_ptr 0
		.amdhsa_user_sgpr_queue_ptr 0
		.amdhsa_user_sgpr_kernarg_segment_ptr 1
		.amdhsa_user_sgpr_dispatch_id 0
		.amdhsa_user_sgpr_kernarg_preload_length 0
		.amdhsa_user_sgpr_kernarg_preload_offset 0
		.amdhsa_user_sgpr_private_segment_size 0
		.amdhsa_wavefront_size32 1
		.amdhsa_uses_dynamic_stack 0
		.amdhsa_enable_private_segment 0
		.amdhsa_system_sgpr_workgroup_id_x 1
		.amdhsa_system_sgpr_workgroup_id_y 0
		.amdhsa_system_sgpr_workgroup_id_z 0
		.amdhsa_system_sgpr_workgroup_info 0
		.amdhsa_system_vgpr_workitem_id 0
		.amdhsa_next_free_vgpr 58
		.amdhsa_next_free_sgpr 47
		.amdhsa_named_barrier_count 0
		.amdhsa_reserve_vcc 1
		.amdhsa_float_round_mode_32 0
		.amdhsa_float_round_mode_16_64 0
		.amdhsa_float_denorm_mode_32 3
		.amdhsa_float_denorm_mode_16_64 3
		.amdhsa_fp16_overflow 0
		.amdhsa_memory_ordered 1
		.amdhsa_forward_progress 1
		.amdhsa_inst_pref_size 21
		.amdhsa_round_robin_scheduling 0
		.amdhsa_exception_fp_ieee_invalid_op 0
		.amdhsa_exception_fp_denorm_src 0
		.amdhsa_exception_fp_ieee_div_zero 0
		.amdhsa_exception_fp_ieee_overflow 0
		.amdhsa_exception_fp_ieee_underflow 0
		.amdhsa_exception_fp_ieee_inexact 0
		.amdhsa_exception_int_div_zero 0
	.end_amdhsa_kernel
	.section	.text._ZN9rocsparseL35bsr2csr_block_per_row_33_256_kernelILj1024ELj128ELj32E21rocsparse_complex_numIfEliEEv20rocsparse_direction_T4_S4_21rocsparse_index_base_PKT2_PKT3_PKS4_S4_S5_PS6_PS9_PS4_,"axG",@progbits,_ZN9rocsparseL35bsr2csr_block_per_row_33_256_kernelILj1024ELj128ELj32E21rocsparse_complex_numIfEliEEv20rocsparse_direction_T4_S4_21rocsparse_index_base_PKT2_PKT3_PKS4_S4_S5_PS6_PS9_PS4_,comdat
.Lfunc_end180:
	.size	_ZN9rocsparseL35bsr2csr_block_per_row_33_256_kernelILj1024ELj128ELj32E21rocsparse_complex_numIfEliEEv20rocsparse_direction_T4_S4_21rocsparse_index_base_PKT2_PKT3_PKS4_S4_S5_PS6_PS9_PS4_, .Lfunc_end180-_ZN9rocsparseL35bsr2csr_block_per_row_33_256_kernelILj1024ELj128ELj32E21rocsparse_complex_numIfEliEEv20rocsparse_direction_T4_S4_21rocsparse_index_base_PKT2_PKT3_PKS4_S4_S5_PS6_PS9_PS4_
                                        ; -- End function
	.set _ZN9rocsparseL35bsr2csr_block_per_row_33_256_kernelILj1024ELj128ELj32E21rocsparse_complex_numIfEliEEv20rocsparse_direction_T4_S4_21rocsparse_index_base_PKT2_PKT3_PKS4_S4_S5_PS6_PS9_PS4_.num_vgpr, 58
	.set _ZN9rocsparseL35bsr2csr_block_per_row_33_256_kernelILj1024ELj128ELj32E21rocsparse_complex_numIfEliEEv20rocsparse_direction_T4_S4_21rocsparse_index_base_PKT2_PKT3_PKS4_S4_S5_PS6_PS9_PS4_.num_agpr, 0
	.set _ZN9rocsparseL35bsr2csr_block_per_row_33_256_kernelILj1024ELj128ELj32E21rocsparse_complex_numIfEliEEv20rocsparse_direction_T4_S4_21rocsparse_index_base_PKT2_PKT3_PKS4_S4_S5_PS6_PS9_PS4_.numbered_sgpr, 47
	.set _ZN9rocsparseL35bsr2csr_block_per_row_33_256_kernelILj1024ELj128ELj32E21rocsparse_complex_numIfEliEEv20rocsparse_direction_T4_S4_21rocsparse_index_base_PKT2_PKT3_PKS4_S4_S5_PS6_PS9_PS4_.num_named_barrier, 0
	.set _ZN9rocsparseL35bsr2csr_block_per_row_33_256_kernelILj1024ELj128ELj32E21rocsparse_complex_numIfEliEEv20rocsparse_direction_T4_S4_21rocsparse_index_base_PKT2_PKT3_PKS4_S4_S5_PS6_PS9_PS4_.private_seg_size, 0
	.set _ZN9rocsparseL35bsr2csr_block_per_row_33_256_kernelILj1024ELj128ELj32E21rocsparse_complex_numIfEliEEv20rocsparse_direction_T4_S4_21rocsparse_index_base_PKT2_PKT3_PKS4_S4_S5_PS6_PS9_PS4_.uses_vcc, 1
	.set _ZN9rocsparseL35bsr2csr_block_per_row_33_256_kernelILj1024ELj128ELj32E21rocsparse_complex_numIfEliEEv20rocsparse_direction_T4_S4_21rocsparse_index_base_PKT2_PKT3_PKS4_S4_S5_PS6_PS9_PS4_.uses_flat_scratch, 0
	.set _ZN9rocsparseL35bsr2csr_block_per_row_33_256_kernelILj1024ELj128ELj32E21rocsparse_complex_numIfEliEEv20rocsparse_direction_T4_S4_21rocsparse_index_base_PKT2_PKT3_PKS4_S4_S5_PS6_PS9_PS4_.has_dyn_sized_stack, 0
	.set _ZN9rocsparseL35bsr2csr_block_per_row_33_256_kernelILj1024ELj128ELj32E21rocsparse_complex_numIfEliEEv20rocsparse_direction_T4_S4_21rocsparse_index_base_PKT2_PKT3_PKS4_S4_S5_PS6_PS9_PS4_.has_recursion, 0
	.set _ZN9rocsparseL35bsr2csr_block_per_row_33_256_kernelILj1024ELj128ELj32E21rocsparse_complex_numIfEliEEv20rocsparse_direction_T4_S4_21rocsparse_index_base_PKT2_PKT3_PKS4_S4_S5_PS6_PS9_PS4_.has_indirect_call, 0
	.section	.AMDGPU.csdata,"",@progbits
; Kernel info:
; codeLenInByte = 2676
; TotalNumSgprs: 49
; NumVgprs: 58
; ScratchSize: 0
; MemoryBound: 0
; FloatMode: 240
; IeeeMode: 1
; LDSByteSize: 0 bytes/workgroup (compile time only)
; SGPRBlocks: 0
; VGPRBlocks: 3
; NumSGPRsForWavesPerEU: 49
; NumVGPRsForWavesPerEU: 58
; NamedBarCnt: 0
; Occupancy: 16
; WaveLimiterHint : 1
; COMPUTE_PGM_RSRC2:SCRATCH_EN: 0
; COMPUTE_PGM_RSRC2:USER_SGPR: 2
; COMPUTE_PGM_RSRC2:TRAP_HANDLER: 0
; COMPUTE_PGM_RSRC2:TGID_X_EN: 1
; COMPUTE_PGM_RSRC2:TGID_Y_EN: 0
; COMPUTE_PGM_RSRC2:TGID_Z_EN: 0
; COMPUTE_PGM_RSRC2:TIDIG_COMP_CNT: 0
	.section	.text._ZN9rocsparseL35bsr2csr_block_per_row_33_256_kernelILj1024ELj256ELj32E21rocsparse_complex_numIfEliEEv20rocsparse_direction_T4_S4_21rocsparse_index_base_PKT2_PKT3_PKS4_S4_S5_PS6_PS9_PS4_,"axG",@progbits,_ZN9rocsparseL35bsr2csr_block_per_row_33_256_kernelILj1024ELj256ELj32E21rocsparse_complex_numIfEliEEv20rocsparse_direction_T4_S4_21rocsparse_index_base_PKT2_PKT3_PKS4_S4_S5_PS6_PS9_PS4_,comdat
	.globl	_ZN9rocsparseL35bsr2csr_block_per_row_33_256_kernelILj1024ELj256ELj32E21rocsparse_complex_numIfEliEEv20rocsparse_direction_T4_S4_21rocsparse_index_base_PKT2_PKT3_PKS4_S4_S5_PS6_PS9_PS4_ ; -- Begin function _ZN9rocsparseL35bsr2csr_block_per_row_33_256_kernelILj1024ELj256ELj32E21rocsparse_complex_numIfEliEEv20rocsparse_direction_T4_S4_21rocsparse_index_base_PKT2_PKT3_PKS4_S4_S5_PS6_PS9_PS4_
	.p2align	8
	.type	_ZN9rocsparseL35bsr2csr_block_per_row_33_256_kernelILj1024ELj256ELj32E21rocsparse_complex_numIfEliEEv20rocsparse_direction_T4_S4_21rocsparse_index_base_PKT2_PKT3_PKS4_S4_S5_PS6_PS9_PS4_,@function
_ZN9rocsparseL35bsr2csr_block_per_row_33_256_kernelILj1024ELj256ELj32E21rocsparse_complex_numIfEliEEv20rocsparse_direction_T4_S4_21rocsparse_index_base_PKT2_PKT3_PKS4_S4_S5_PS6_PS9_PS4_: ; @_ZN9rocsparseL35bsr2csr_block_per_row_33_256_kernelILj1024ELj256ELj32E21rocsparse_complex_numIfEliEEv20rocsparse_direction_T4_S4_21rocsparse_index_base_PKT2_PKT3_PKS4_S4_S5_PS6_PS9_PS4_
; %bb.0:
	s_load_b64 s[2:3], s[0:1], 0x18
	s_bfe_u32 s4, ttmp6, 0x4000c
	s_and_b32 s5, ttmp6, 15
	s_add_co_i32 s4, s4, 1
	s_getreg_b32 s6, hwreg(HW_REG_IB_STS2, 6, 4)
	s_mul_i32 s4, ttmp9, s4
	s_clause 0x1
	s_load_b64 s[16:17], s[0:1], 0x28
	s_load_b64 s[10:11], s[0:1], 0x38
	s_add_co_i32 s5, s5, s4
	s_cmp_eq_u32 s6, 0
	s_mov_b32 s19, 0
	s_cselect_b32 s4, ttmp9, s5
	s_mov_b32 s21, s19
	s_ashr_i32 s5, s4, 31
	v_or_b32_e32 v1, s4, v0
	s_lshl_b64 s[6:7], s[4:5], 3
	s_wait_kmcnt 0x0
	s_add_nc_u64 s[2:3], s[2:3], s[6:7]
	s_load_b128 s[12:15], s[2:3], 0x0
	s_wait_xcnt 0x0
	s_mov_b32 s2, exec_lo
	s_mov_b32 s20, s17
	v_cmpx_eq_u32_e32 0, v1
	s_cbranch_execz .LBB181_2
; %bb.1:
	v_mov_b64_e32 v[2:3], s[20:21]
	v_mov_b32_e32 v1, 0
	global_store_b64 v1, v[2:3], s[10:11]
.LBB181_2:
	s_wait_xcnt 0x0
	s_or_b32 exec_lo, exec_lo, s2
	s_load_b32 s22, s[0:1], 0xc
	s_mov_b32 s23, s19
	v_lshrrev_b32_e32 v2, 5, v0
	s_mul_i32 s18, s16, s16
	s_mov_b32 s17, s19
	s_mul_i32 s34, s16, s4
	s_delay_alu instid0(VALU_DEP_1)
	v_cmp_gt_i32_e64 s2, s16, v2
	s_wait_kmcnt 0x0
	s_sub_nc_u64 s[24:25], s[12:13], s[22:23]
	s_sub_nc_u64 s[26:27], s[14:15], s[22:23]
	s_mul_u64 s[28:29], s[24:25], s[18:19]
	s_sub_nc_u64 s[40:41], s[26:27], s[24:25]
	s_add_nc_u64 s[6:7], s[28:29], s[20:21]
	s_mul_u64 s[30:31], s[40:41], s[16:17]
	s_delay_alu instid0(SALU_CYCLE_1)
	s_add_nc_u64 s[36:37], s[6:7], s[30:31]
	s_and_saveexec_b32 s3, s2
	s_cbranch_execz .LBB181_4
; %bb.3:
	v_mad_nc_u64_u32 v[4:5], s30, v2, s[36:37]
	v_add_nc_u32_e32 v1, s34, v2
	s_delay_alu instid0(VALU_DEP_2)
	v_mad_u32 v5, s31, v2, v5
	global_store_b64 v1, v[4:5], s[10:11] offset:8 scale_offset
.LBB181_4:
	s_wait_xcnt 0x0
	s_or_b32 exec_lo, exec_lo, s3
	v_or_b32_e32 v24, 32, v2
	s_delay_alu instid0(VALU_DEP_1)
	v_cmp_gt_i32_e64 s3, s16, v24
	s_and_saveexec_b32 s4, s3
	s_cbranch_execz .LBB181_6
; %bb.5:
	v_mad_nc_u64_u32 v[4:5], s30, v24, s[36:37]
	v_mov_b32_e32 v3, 0
	s_ashr_i32 s35, s34, 31
	s_delay_alu instid0(VALU_DEP_1) | instid1(SALU_CYCLE_1)
	v_add_nc_u64_e32 v[6:7], s[34:35], v[2:3]
	s_delay_alu instid0(VALU_DEP_3) | instskip(NEXT) | instid1(VALU_DEP_2)
	v_mad_u32 v5, s31, v24, v5
	v_lshl_add_u64 v[6:7], v[6:7], 3, s[10:11]
	global_store_b64 v[6:7], v[4:5], off offset:264
.LBB181_6:
	s_wait_xcnt 0x0
	s_or_b32 exec_lo, exec_lo, s4
	v_or_b32_e32 v28, 64, v2
	s_delay_alu instid0(VALU_DEP_1)
	v_cmp_gt_i32_e64 s4, s16, v28
	s_and_saveexec_b32 s5, s4
	s_cbranch_execz .LBB181_8
; %bb.7:
	v_mad_nc_u64_u32 v[4:5], s30, v28, s[36:37]
	v_mov_b32_e32 v3, 0
	s_ashr_i32 s35, s34, 31
	s_delay_alu instid0(VALU_DEP_1) | instid1(SALU_CYCLE_1)
	v_add_nc_u64_e32 v[6:7], s[34:35], v[2:3]
	s_delay_alu instid0(VALU_DEP_3) | instskip(NEXT) | instid1(VALU_DEP_2)
	v_mad_u32 v5, s31, v28, v5
	v_lshl_add_u64 v[6:7], v[6:7], 3, s[10:11]
	global_store_b64 v[6:7], v[4:5], off offset:520
.LBB181_8:
	;; [unrolled: 18-line block ×7, first 2 shown]
	s_wait_xcnt 0x0
	s_or_b32 exec_lo, exec_lo, s17
	v_cmp_lt_i64_e64 s10, s[12:13], s[14:15]
	s_and_b32 vcc_lo, exec_lo, s10
	s_cbranch_vccz .LBB181_149
; %bb.19:
	s_clause 0x2
	s_load_b64 s[30:31], s[0:1], 0x20
	s_load_b64 s[34:35], s[0:1], 0x30
	s_load_b32 s10, s[0:1], 0x0
	v_dual_mov_b32 v3, 0 :: v_dual_bitop2_b32 v0, 31, v0 bitop3:0x40
	s_clause 0x1
	s_load_b64 s[36:37], s[0:1], 0x10
	s_load_b64 s[38:39], s[0:1], 0x40
	v_mul_lo_u32 v4, v2, s16
	v_mul_lo_u32 v6, v0, s16
	v_dual_mov_b32 v31, v3 :: v_dual_mov_b32 v33, v3
	v_dual_mov_b32 v39, v3 :: v_dual_mov_b32 v41, v3
	;; [unrolled: 1-line block ×3, first 2 shown]
	v_mul_u64_e32 v[22:23], s[40:41], v[2:3]
	s_delay_alu instid0(VALU_DEP_4) | instskip(NEXT) | instid1(VALU_DEP_4)
	v_mul_u64_e32 v[32:33], s[40:41], v[32:33]
	v_mul_u64_e32 v[40:41], s[40:41], v[40:41]
	s_delay_alu instid0(VALU_DEP_4)
	v_mul_u64_e32 v[44:45], s[40:41], v[44:45]
	v_mul_u64_e32 v[46:47], s[40:41], v[46:47]
	v_dual_mov_b32 v9, v3 :: v_dual_bitop2_b32 v76, 32, v0 bitop3:0x54
	s_wait_kmcnt 0x0
	s_cmp_eq_u32 s10, 0
	v_dual_mov_b32 v11, v3 :: v_dual_bitop2_b32 v77, 64, v0 bitop3:0x54
	s_cselect_b32 s0, -1, 0
	s_lshl_b32 s91, s16, 5
	s_delay_alu instid0(SALU_CYCLE_1)
	v_dual_mov_b32 v17, v3 :: v_dual_add_nc_u32 v8, s91, v6
	v_mov_b32_e32 v19, v3
	v_or_b32_e32 v78, 0x60, v0
	v_or_b32_e32 v79, 0x80, v0
	;; [unrolled: 1-line block ×3, first 2 shown]
	v_dual_mov_b32 v25, v3 :: v_dual_add_nc_u32 v10, s91, v8
	v_or_b32_e32 v81, 0xc0, v0
	v_or_b32_e32 v82, 0xe0, v0
	v_cmp_gt_i32_e32 vcc_lo, s16, v0
	s_delay_alu instid0(VALU_DEP_4)
	v_add_nc_u32_e32 v12, s91, v10
	v_mul_u64_e32 v[24:25], s[40:41], v[24:25]
	v_cmp_gt_i32_e64 s1, s16, v76
	v_cmp_gt_i32_e64 s10, s16, v77
	;; [unrolled: 1-line block ×3, first 2 shown]
	v_add_nc_u32_e32 v14, s91, v12
	v_cmp_gt_i32_e64 s12, s16, v79
	v_cmp_gt_i32_e64 s13, s16, v80
	v_dual_mov_b32 v29, v3 :: v_dual_add_nc_u32 v26, s91, v4
	s_delay_alu instid0(VALU_DEP_4) | instskip(SKIP_2) | instid1(VALU_DEP_4)
	v_add_nc_u32_e32 v16, s91, v14
	v_cmp_gt_i32_e64 s14, s16, v81
	v_cmp_gt_i32_e64 s15, s16, v82
	v_add_nc_u32_e32 v30, s91, v26
	v_mul_u64_e32 v[28:29], s[40:41], v[28:29]
	v_dual_mov_b32 v27, v3 :: v_dual_add_nc_u32 v18, s91, v16
	v_dual_mov_b32 v1, v3 :: v_dual_mov_b32 v7, v3
	s_delay_alu instid0(VALU_DEP_4) | instskip(SKIP_1) | instid1(VALU_DEP_2)
	v_dual_mov_b32 v35, v3 :: v_dual_add_nc_u32 v34, s91, v30
	v_dual_mov_b32 v37, v3 :: v_dual_mov_b32 v13, v3
	v_dual_mov_b32 v15, v3 :: v_dual_add_nc_u32 v38, s91, v34
	v_dual_mov_b32 v21, v3 :: v_dual_mov_b32 v5, v3
	s_delay_alu instid0(VALU_DEP_3) | instskip(NEXT) | instid1(VALU_DEP_3)
	v_mul_u64_e32 v[36:37], s[40:41], v[36:37]
	v_dual_mov_b32 v43, v3 :: v_dual_add_nc_u32 v42, s91, v38
	v_add_nc_u32_e32 v20, s91, v18
	v_lshlrev_b32_e32 v2, 3, v2
	s_and_b32 s17, s2, vcc_lo
	s_delay_alu instid0(VALU_DEP_3) | instskip(SKIP_3) | instid1(VALU_DEP_1)
	v_dual_mov_b32 v49, v3 :: v_dual_add_nc_u32 v48, s91, v42
	s_and_b32 s21, s2, s1
	s_and_b32 s23, s2, s10
	;; [unrolled: 1-line block ×3, first 2 shown]
	v_dual_mov_b32 v51, v3 :: v_dual_add_nc_u32 v50, s91, v48
	s_and_b32 s42, s2, s12
	s_and_b32 s43, s2, s13
	s_and_b32 s44, s2, s14
	s_and_b32 s45, s2, s15
	s_and_b32 s46, s3, vcc_lo
	s_and_b32 s47, s3, s1
	s_and_b32 s48, s3, s10
	s_and_b32 s49, s3, s11
	s_and_b32 s50, s3, s12
	s_and_b32 s51, s3, s13
	s_and_b32 s52, s3, s14
	s_and_b32 s53, s3, s15
	s_and_b32 s54, s4, vcc_lo
	s_and_b32 s55, s4, s1
	s_and_b32 s56, s4, s10
	s_and_b32 s57, s4, s11
	s_and_b32 s58, s4, s12
	s_and_b32 s59, s4, s13
	s_and_b32 s60, s4, s14
	s_and_b32 s61, s4, s15
	s_and_b32 s62, s6, vcc_lo
	s_and_b32 s63, s6, s1
	s_and_b32 s64, s6, s10
	s_and_b32 s65, s6, s11
	s_and_b32 s66, s6, s12
	s_and_b32 s67, s6, s13
	s_and_b32 s68, s6, s14
	s_and_b32 s69, s6, s15
	s_and_b32 s70, s8, vcc_lo
	s_and_b32 s71, s8, s1
	s_and_b32 s72, s8, s10
	s_and_b32 s73, s8, s11
	s_and_b32 s74, s8, s12
	s_and_b32 s75, s8, s13
	s_and_b32 s76, s8, s14
	s_and_b32 s8, s8, s15
	s_and_b32 s40, s5, vcc_lo
	s_and_b32 s41, s5, s1
	s_and_b32 s77, s5, s10
	s_and_b32 s78, s5, s11
	s_and_b32 s79, s5, s12
	s_and_b32 s80, s5, s13
	s_and_b32 s81, s5, s14
	s_and_b32 s82, s5, s15
	s_and_b32 s83, s7, vcc_lo
	s_and_b32 s84, s7, s1
	s_and_b32 s85, s7, s10
	s_and_b32 s86, s7, s11
	s_and_b32 s87, s7, s12
	s_and_b32 s88, s7, s13
	s_and_b32 s89, s7, s14
	s_and_b32 s90, s7, s15
	s_and_b32 s91, s9, vcc_lo
	s_and_b32 s1, s9, s1
	s_and_b32 s10, s9, s10
	s_and_b32 s11, s9, s11
	s_and_b32 s12, s9, s12
	s_and_b32 s13, s9, s13
	;; [unrolled: 1-line block ×4, first 2 shown]
	s_mov_b64 s[2:3], s[24:25]
	s_branch .LBB181_21
.LBB181_20:                             ;   in Loop: Header=BB181_21 Depth=1
	s_wait_xcnt 0x0
	s_or_b32 exec_lo, exec_lo, s4
	s_add_nc_u64 s[2:3], s[2:3], 1
	s_delay_alu instid0(SALU_CYCLE_1)
	v_cmp_ge_i64_e64 s4, s[2:3], s[26:27]
	s_and_b32 vcc_lo, exec_lo, s4
	s_cbranch_vccnz .LBB181_149
.LBB181_21:                             ; =>This Inner Loop Header: Depth=1
	s_sub_nc_u64 s[4:5], s[2:3], s[24:25]
	s_lshl_b64 s[6:7], s[2:3], 2
	v_add_nc_u64_e32 v[52:53], s[4:5], v[22:23]
	s_add_nc_u64 s[6:7], s[30:31], s[6:7]
	s_load_b32 s15, s[6:7], 0x0
	s_wait_xcnt 0x0
	s_mul_u64 s[6:7], s[2:3], s[18:19]
	s_delay_alu instid0(SALU_CYCLE_1) | instskip(NEXT) | instid1(VALU_DEP_1)
	s_lshl_b64 s[6:7], s[6:7], 3
	v_mad_nc_u64_u32 v[54:55], v52, s16, s[28:29]
	s_add_nc_u64 s[6:7], s[36:37], s[6:7]
	s_delay_alu instid0(SALU_CYCLE_1) | instskip(SKIP_1) | instid1(VALU_DEP_3)
	v_add_nc_u64_e32 v[56:57], s[6:7], v[2:3]
	v_lshl_add_u64 v[74:75], v[4:5], 3, s[6:7]
	v_mad_u32 v55, v53, s16, v55
	s_wait_kmcnt 0x0
	s_sub_co_i32 s15, s15, s22
	s_delay_alu instid0(SALU_CYCLE_1) | instskip(NEXT) | instid1(SALU_CYCLE_1)
	s_mul_i32 s15, s15, s16
	s_add_co_i32 s15, s15, s20
	s_delay_alu instid0(SALU_CYCLE_1) | instskip(NEXT) | instid1(VALU_DEP_2)
	v_add_nc_u32_e32 v83, s15, v0
	v_add_nc_u64_e32 v[52:53], v[54:55], v[0:1]
	v_lshl_add_u64 v[54:55], v[6:7], 3, v[56:57]
	s_delay_alu instid0(VALU_DEP_2)
	v_lshl_add_u64 v[70:71], v[52:53], 2, s[38:39]
	v_lshl_add_u64 v[72:73], v[52:53], 3, s[34:35]
	v_lshlrev_b32_e32 v52, 3, v0
	s_and_saveexec_b32 s92, s17
	s_cbranch_execz .LBB181_23
; %bb.22:                               ;   in Loop: Header=BB181_21 Depth=1
	v_mov_b32_e32 v53, v3
	s_delay_alu instid0(VALU_DEP_1) | instskip(NEXT) | instid1(VALU_DEP_1)
	v_add_nc_u64_e32 v[58:59], v[74:75], v[52:53]
	v_dual_cndmask_b32 v59, v55, v59, s0 :: v_dual_cndmask_b32 v58, v54, v58, s0
	global_load_b64 v[58:59], v[58:59], off
	global_store_b32 v[70:71], v83, off
	s_wait_loadcnt 0x0
	global_store_b64 v[72:73], v[58:59], off
.LBB181_23:                             ;   in Loop: Header=BB181_21 Depth=1
	s_wait_xcnt 0x0
	s_or_b32 exec_lo, exec_lo, s92
	v_add_nc_u32_e32 v84, s15, v76
	v_lshl_add_u64 v[68:69], v[8:9], 3, v[56:57]
	s_and_saveexec_b32 s92, s21
	s_cbranch_execz .LBB181_25
; %bb.24:                               ;   in Loop: Header=BB181_21 Depth=1
	v_mov_b32_e32 v53, v3
	s_delay_alu instid0(VALU_DEP_1) | instskip(NEXT) | instid1(VALU_DEP_1)
	v_add_nc_u64_e32 v[58:59], v[74:75], v[52:53]
	v_add_nc_u64_e32 v[58:59], 0x100, v[58:59]
	s_delay_alu instid0(VALU_DEP_1)
	v_dual_cndmask_b32 v59, v69, v59, s0 :: v_dual_cndmask_b32 v58, v68, v58, s0
	global_load_b64 v[58:59], v[58:59], off
	global_store_b32 v[70:71], v84, off offset:128
	s_wait_loadcnt 0x0
	global_store_b64 v[72:73], v[58:59], off offset:256
.LBB181_25:                             ;   in Loop: Header=BB181_21 Depth=1
	s_wait_xcnt 0x0
	s_or_b32 exec_lo, exec_lo, s92
	v_add_nc_u32_e32 v85, s15, v77
	v_lshl_add_u64 v[66:67], v[10:11], 3, v[56:57]
	s_and_saveexec_b32 s92, s23
	s_cbranch_execz .LBB181_27
; %bb.26:                               ;   in Loop: Header=BB181_21 Depth=1
	v_mov_b32_e32 v53, v3
	s_delay_alu instid0(VALU_DEP_1) | instskip(NEXT) | instid1(VALU_DEP_1)
	v_add_nc_u64_e32 v[58:59], v[74:75], v[52:53]
	v_add_nc_u64_e32 v[58:59], 0x200, v[58:59]
	s_delay_alu instid0(VALU_DEP_1)
	v_dual_cndmask_b32 v59, v67, v59, s0 :: v_dual_cndmask_b32 v58, v66, v58, s0
	global_load_b64 v[58:59], v[58:59], off
	global_store_b32 v[70:71], v85, off offset:256
	s_wait_loadcnt 0x0
	global_store_b64 v[72:73], v[58:59], off offset:512
.LBB181_27:                             ;   in Loop: Header=BB181_21 Depth=1
	;; [unrolled: 18-line block ×7, first 2 shown]
	s_wait_xcnt 0x0
	s_or_b32 exec_lo, exec_lo, s15
	v_add_nc_u64_e32 v[70:71], s[4:5], v[24:25]
	v_lshl_add_u64 v[74:75], v[26:27], 3, s[6:7]
	s_delay_alu instid0(VALU_DEP_2) | instskip(NEXT) | instid1(VALU_DEP_1)
	v_mad_nc_u64_u32 v[72:73], v70, s16, s[28:29]
	v_mad_u32 v73, v71, s16, v73
	s_delay_alu instid0(VALU_DEP_1) | instskip(NEXT) | instid1(VALU_DEP_1)
	v_add_nc_u64_e32 v[72:73], v[72:73], v[0:1]
	v_lshl_add_u64 v[70:71], v[72:73], 2, s[38:39]
	v_lshl_add_u64 v[72:73], v[72:73], 3, s[34:35]
	s_and_saveexec_b32 s15, s46
	s_cbranch_execnz .LBB181_99
; %bb.38:                               ;   in Loop: Header=BB181_21 Depth=1
	s_or_b32 exec_lo, exec_lo, s15
	s_and_saveexec_b32 s15, s47
	s_cbranch_execnz .LBB181_100
.LBB181_39:                             ;   in Loop: Header=BB181_21 Depth=1
	s_or_b32 exec_lo, exec_lo, s15
	s_and_saveexec_b32 s15, s48
	s_cbranch_execnz .LBB181_101
.LBB181_40:                             ;   in Loop: Header=BB181_21 Depth=1
	s_or_b32 exec_lo, exec_lo, s15
	s_and_saveexec_b32 s15, s49
	s_cbranch_execnz .LBB181_102
.LBB181_41:                             ;   in Loop: Header=BB181_21 Depth=1
	s_or_b32 exec_lo, exec_lo, s15
	s_and_saveexec_b32 s15, s50
	s_cbranch_execnz .LBB181_103
.LBB181_42:                             ;   in Loop: Header=BB181_21 Depth=1
	s_or_b32 exec_lo, exec_lo, s15
	s_and_saveexec_b32 s15, s51
	s_cbranch_execnz .LBB181_104
.LBB181_43:                             ;   in Loop: Header=BB181_21 Depth=1
	s_or_b32 exec_lo, exec_lo, s15
	s_and_saveexec_b32 s15, s52
	s_cbranch_execnz .LBB181_105
.LBB181_44:                             ;   in Loop: Header=BB181_21 Depth=1
	s_or_b32 exec_lo, exec_lo, s15
	s_and_saveexec_b32 s15, s53
	s_cbranch_execz .LBB181_46
.LBB181_45:                             ;   in Loop: Header=BB181_21 Depth=1
	v_add_nc_u64_e32 v[92:93], 0x100, v[56:57]
	v_mov_b32_e32 v53, v3
	s_delay_alu instid0(VALU_DEP_1) | instskip(NEXT) | instid1(VALU_DEP_1)
	v_add_nc_u64_e32 v[74:75], v[74:75], v[52:53]
	v_add_nc_u64_e32 v[74:75], 0x700, v[74:75]
	s_delay_alu instid0(VALU_DEP_1)
	v_dual_cndmask_b32 v75, v93, v75, s0 :: v_dual_cndmask_b32 v74, v92, v74, s0
	global_load_b64 v[74:75], v[74:75], off
	global_store_b32 v[70:71], v90, off offset:896
	s_wait_loadcnt 0x0
	global_store_b64 v[72:73], v[74:75], off offset:1792
.LBB181_46:                             ;   in Loop: Header=BB181_21 Depth=1
	s_wait_xcnt 0x0
	s_or_b32 exec_lo, exec_lo, s15
	v_add_nc_u64_e32 v[70:71], s[4:5], v[28:29]
	v_lshl_add_u64 v[74:75], v[30:31], 3, s[6:7]
	s_delay_alu instid0(VALU_DEP_2) | instskip(NEXT) | instid1(VALU_DEP_1)
	v_mad_nc_u64_u32 v[72:73], v70, s16, s[28:29]
	v_mad_u32 v73, v71, s16, v73
	s_delay_alu instid0(VALU_DEP_1) | instskip(NEXT) | instid1(VALU_DEP_1)
	v_add_nc_u64_e32 v[72:73], v[72:73], v[0:1]
	v_lshl_add_u64 v[70:71], v[72:73], 2, s[38:39]
	v_lshl_add_u64 v[72:73], v[72:73], 3, s[34:35]
	s_and_saveexec_b32 s15, s54
	s_cbranch_execnz .LBB181_106
; %bb.47:                               ;   in Loop: Header=BB181_21 Depth=1
	s_or_b32 exec_lo, exec_lo, s15
	s_and_saveexec_b32 s15, s55
	s_cbranch_execnz .LBB181_107
.LBB181_48:                             ;   in Loop: Header=BB181_21 Depth=1
	s_or_b32 exec_lo, exec_lo, s15
	s_and_saveexec_b32 s15, s56
	s_cbranch_execnz .LBB181_108
.LBB181_49:                             ;   in Loop: Header=BB181_21 Depth=1
	s_or_b32 exec_lo, exec_lo, s15
	s_and_saveexec_b32 s15, s57
	s_cbranch_execnz .LBB181_109
.LBB181_50:                             ;   in Loop: Header=BB181_21 Depth=1
	s_or_b32 exec_lo, exec_lo, s15
	s_and_saveexec_b32 s15, s58
	s_cbranch_execnz .LBB181_110
.LBB181_51:                             ;   in Loop: Header=BB181_21 Depth=1
	s_or_b32 exec_lo, exec_lo, s15
	s_and_saveexec_b32 s15, s59
	s_cbranch_execnz .LBB181_111
.LBB181_52:                             ;   in Loop: Header=BB181_21 Depth=1
	s_or_b32 exec_lo, exec_lo, s15
	s_and_saveexec_b32 s15, s60
	s_cbranch_execnz .LBB181_112
.LBB181_53:                             ;   in Loop: Header=BB181_21 Depth=1
	s_or_b32 exec_lo, exec_lo, s15
	s_and_saveexec_b32 s15, s61
	s_cbranch_execz .LBB181_55
.LBB181_54:                             ;   in Loop: Header=BB181_21 Depth=1
	v_add_nc_u64_e32 v[92:93], 0x200, v[56:57]
	v_mov_b32_e32 v53, v3
	s_delay_alu instid0(VALU_DEP_1) | instskip(NEXT) | instid1(VALU_DEP_1)
	v_add_nc_u64_e32 v[74:75], v[74:75], v[52:53]
	v_add_nc_u64_e32 v[74:75], 0x700, v[74:75]
	s_delay_alu instid0(VALU_DEP_1)
	v_dual_cndmask_b32 v75, v93, v75, s0 :: v_dual_cndmask_b32 v74, v92, v74, s0
	global_load_b64 v[74:75], v[74:75], off
	global_store_b32 v[70:71], v90, off offset:896
	s_wait_loadcnt 0x0
	global_store_b64 v[72:73], v[74:75], off offset:1792
.LBB181_55:                             ;   in Loop: Header=BB181_21 Depth=1
	s_wait_xcnt 0x0
	s_or_b32 exec_lo, exec_lo, s15
	v_add_nc_u64_e32 v[70:71], s[4:5], v[32:33]
	v_lshl_add_u64 v[74:75], v[34:35], 3, s[6:7]
	s_delay_alu instid0(VALU_DEP_2) | instskip(NEXT) | instid1(VALU_DEP_1)
	v_mad_nc_u64_u32 v[72:73], v70, s16, s[28:29]
	v_mad_u32 v73, v71, s16, v73
	s_delay_alu instid0(VALU_DEP_1) | instskip(NEXT) | instid1(VALU_DEP_1)
	v_add_nc_u64_e32 v[72:73], v[72:73], v[0:1]
	v_lshl_add_u64 v[70:71], v[72:73], 2, s[38:39]
	v_lshl_add_u64 v[72:73], v[72:73], 3, s[34:35]
	s_and_saveexec_b32 s15, s62
	s_cbranch_execnz .LBB181_113
; %bb.56:                               ;   in Loop: Header=BB181_21 Depth=1
	s_or_b32 exec_lo, exec_lo, s15
	s_and_saveexec_b32 s15, s63
	s_cbranch_execnz .LBB181_114
.LBB181_57:                             ;   in Loop: Header=BB181_21 Depth=1
	s_or_b32 exec_lo, exec_lo, s15
	s_and_saveexec_b32 s15, s64
	s_cbranch_execnz .LBB181_115
.LBB181_58:                             ;   in Loop: Header=BB181_21 Depth=1
	s_or_b32 exec_lo, exec_lo, s15
	s_and_saveexec_b32 s15, s65
	s_cbranch_execnz .LBB181_116
.LBB181_59:                             ;   in Loop: Header=BB181_21 Depth=1
	s_or_b32 exec_lo, exec_lo, s15
	s_and_saveexec_b32 s15, s66
	s_cbranch_execnz .LBB181_117
.LBB181_60:                             ;   in Loop: Header=BB181_21 Depth=1
	s_or_b32 exec_lo, exec_lo, s15
	s_and_saveexec_b32 s15, s67
	s_cbranch_execnz .LBB181_118
.LBB181_61:                             ;   in Loop: Header=BB181_21 Depth=1
	s_or_b32 exec_lo, exec_lo, s15
	s_and_saveexec_b32 s15, s68
	s_cbranch_execnz .LBB181_119
.LBB181_62:                             ;   in Loop: Header=BB181_21 Depth=1
	s_or_b32 exec_lo, exec_lo, s15
	s_and_saveexec_b32 s15, s69
	s_cbranch_execz .LBB181_64
.LBB181_63:                             ;   in Loop: Header=BB181_21 Depth=1
	v_add_nc_u64_e32 v[92:93], 0x300, v[56:57]
	v_mov_b32_e32 v53, v3
	s_delay_alu instid0(VALU_DEP_1) | instskip(NEXT) | instid1(VALU_DEP_1)
	v_add_nc_u64_e32 v[74:75], v[74:75], v[52:53]
	v_add_nc_u64_e32 v[74:75], 0x700, v[74:75]
	s_delay_alu instid0(VALU_DEP_1)
	v_dual_cndmask_b32 v75, v93, v75, s0 :: v_dual_cndmask_b32 v74, v92, v74, s0
	global_load_b64 v[74:75], v[74:75], off
	global_store_b32 v[70:71], v90, off offset:896
	s_wait_loadcnt 0x0
	global_store_b64 v[72:73], v[74:75], off offset:1792
.LBB181_64:                             ;   in Loop: Header=BB181_21 Depth=1
	s_wait_xcnt 0x0
	s_or_b32 exec_lo, exec_lo, s15
	v_add_nc_u64_e32 v[70:71], s[4:5], v[36:37]
	v_lshl_add_u64 v[74:75], v[38:39], 3, s[6:7]
	s_delay_alu instid0(VALU_DEP_2) | instskip(NEXT) | instid1(VALU_DEP_1)
	v_mad_nc_u64_u32 v[72:73], v70, s16, s[28:29]
	v_mad_u32 v73, v71, s16, v73
	s_delay_alu instid0(VALU_DEP_1) | instskip(NEXT) | instid1(VALU_DEP_1)
	v_add_nc_u64_e32 v[72:73], v[72:73], v[0:1]
	v_lshl_add_u64 v[70:71], v[72:73], 2, s[38:39]
	v_lshl_add_u64 v[72:73], v[72:73], 3, s[34:35]
	s_and_saveexec_b32 s15, s70
	s_cbranch_execnz .LBB181_120
; %bb.65:                               ;   in Loop: Header=BB181_21 Depth=1
	s_or_b32 exec_lo, exec_lo, s15
	s_and_saveexec_b32 s15, s71
	s_cbranch_execnz .LBB181_121
.LBB181_66:                             ;   in Loop: Header=BB181_21 Depth=1
	s_or_b32 exec_lo, exec_lo, s15
	s_and_saveexec_b32 s15, s72
	s_cbranch_execnz .LBB181_122
.LBB181_67:                             ;   in Loop: Header=BB181_21 Depth=1
	s_or_b32 exec_lo, exec_lo, s15
	s_and_saveexec_b32 s15, s73
	s_cbranch_execnz .LBB181_123
.LBB181_68:                             ;   in Loop: Header=BB181_21 Depth=1
	s_or_b32 exec_lo, exec_lo, s15
	s_and_saveexec_b32 s15, s74
	s_cbranch_execnz .LBB181_124
.LBB181_69:                             ;   in Loop: Header=BB181_21 Depth=1
	s_or_b32 exec_lo, exec_lo, s15
	s_and_saveexec_b32 s15, s75
	s_cbranch_execnz .LBB181_125
.LBB181_70:                             ;   in Loop: Header=BB181_21 Depth=1
	s_or_b32 exec_lo, exec_lo, s15
	s_and_saveexec_b32 s15, s76
	s_cbranch_execnz .LBB181_126
.LBB181_71:                             ;   in Loop: Header=BB181_21 Depth=1
	s_or_b32 exec_lo, exec_lo, s15
	s_and_saveexec_b32 s15, s8
	s_cbranch_execz .LBB181_73
.LBB181_72:                             ;   in Loop: Header=BB181_21 Depth=1
	v_add_nc_u64_e32 v[92:93], 0x400, v[56:57]
	v_mov_b32_e32 v53, v3
	s_delay_alu instid0(VALU_DEP_1) | instskip(NEXT) | instid1(VALU_DEP_1)
	v_add_nc_u64_e32 v[74:75], v[74:75], v[52:53]
	v_add_nc_u64_e32 v[74:75], 0x700, v[74:75]
	s_delay_alu instid0(VALU_DEP_1)
	v_dual_cndmask_b32 v75, v93, v75, s0 :: v_dual_cndmask_b32 v74, v92, v74, s0
	global_load_b64 v[74:75], v[74:75], off
	global_store_b32 v[70:71], v90, off offset:896
	s_wait_loadcnt 0x0
	global_store_b64 v[72:73], v[74:75], off offset:1792
.LBB181_73:                             ;   in Loop: Header=BB181_21 Depth=1
	s_wait_xcnt 0x0
	s_or_b32 exec_lo, exec_lo, s15
	v_add_nc_u64_e32 v[70:71], s[4:5], v[40:41]
	v_lshl_add_u64 v[74:75], v[42:43], 3, s[6:7]
	s_delay_alu instid0(VALU_DEP_2) | instskip(NEXT) | instid1(VALU_DEP_1)
	v_mad_nc_u64_u32 v[72:73], v70, s16, s[28:29]
	v_mad_u32 v73, v71, s16, v73
	s_delay_alu instid0(VALU_DEP_1) | instskip(NEXT) | instid1(VALU_DEP_1)
	v_add_nc_u64_e32 v[72:73], v[72:73], v[0:1]
	v_lshl_add_u64 v[70:71], v[72:73], 2, s[38:39]
	v_lshl_add_u64 v[72:73], v[72:73], 3, s[34:35]
	s_and_saveexec_b32 s15, s40
	s_cbranch_execnz .LBB181_127
; %bb.74:                               ;   in Loop: Header=BB181_21 Depth=1
	s_or_b32 exec_lo, exec_lo, s15
	s_and_saveexec_b32 s15, s41
	s_cbranch_execnz .LBB181_128
.LBB181_75:                             ;   in Loop: Header=BB181_21 Depth=1
	s_or_b32 exec_lo, exec_lo, s15
	s_and_saveexec_b32 s15, s77
	s_cbranch_execnz .LBB181_129
.LBB181_76:                             ;   in Loop: Header=BB181_21 Depth=1
	s_or_b32 exec_lo, exec_lo, s15
	s_and_saveexec_b32 s15, s78
	s_cbranch_execnz .LBB181_130
.LBB181_77:                             ;   in Loop: Header=BB181_21 Depth=1
	s_or_b32 exec_lo, exec_lo, s15
	s_and_saveexec_b32 s15, s79
	s_cbranch_execnz .LBB181_131
.LBB181_78:                             ;   in Loop: Header=BB181_21 Depth=1
	s_or_b32 exec_lo, exec_lo, s15
	s_and_saveexec_b32 s15, s80
	s_cbranch_execnz .LBB181_132
.LBB181_79:                             ;   in Loop: Header=BB181_21 Depth=1
	s_or_b32 exec_lo, exec_lo, s15
	s_and_saveexec_b32 s15, s81
	s_cbranch_execnz .LBB181_133
.LBB181_80:                             ;   in Loop: Header=BB181_21 Depth=1
	s_or_b32 exec_lo, exec_lo, s15
	s_and_saveexec_b32 s15, s82
	s_cbranch_execz .LBB181_82
.LBB181_81:                             ;   in Loop: Header=BB181_21 Depth=1
	v_add_nc_u64_e32 v[92:93], 0x500, v[56:57]
	v_mov_b32_e32 v53, v3
	s_delay_alu instid0(VALU_DEP_1) | instskip(NEXT) | instid1(VALU_DEP_1)
	v_add_nc_u64_e32 v[74:75], v[74:75], v[52:53]
	v_add_nc_u64_e32 v[74:75], 0x700, v[74:75]
	s_delay_alu instid0(VALU_DEP_1)
	v_dual_cndmask_b32 v75, v93, v75, s0 :: v_dual_cndmask_b32 v74, v92, v74, s0
	global_load_b64 v[74:75], v[74:75], off
	global_store_b32 v[70:71], v90, off offset:896
	s_wait_loadcnt 0x0
	global_store_b64 v[72:73], v[74:75], off offset:1792
.LBB181_82:                             ;   in Loop: Header=BB181_21 Depth=1
	s_wait_xcnt 0x0
	s_or_b32 exec_lo, exec_lo, s15
	v_add_nc_u64_e32 v[70:71], s[4:5], v[44:45]
	v_lshl_add_u64 v[74:75], v[48:49], 3, s[6:7]
	s_delay_alu instid0(VALU_DEP_2) | instskip(NEXT) | instid1(VALU_DEP_1)
	v_mad_nc_u64_u32 v[72:73], v70, s16, s[28:29]
	v_mad_u32 v73, v71, s16, v73
	s_delay_alu instid0(VALU_DEP_1) | instskip(NEXT) | instid1(VALU_DEP_1)
	v_add_nc_u64_e32 v[72:73], v[72:73], v[0:1]
	v_lshl_add_u64 v[70:71], v[72:73], 2, s[38:39]
	v_lshl_add_u64 v[72:73], v[72:73], 3, s[34:35]
	s_and_saveexec_b32 s15, s83
	s_cbranch_execnz .LBB181_134
; %bb.83:                               ;   in Loop: Header=BB181_21 Depth=1
	s_or_b32 exec_lo, exec_lo, s15
	s_and_saveexec_b32 s15, s84
	s_cbranch_execnz .LBB181_135
.LBB181_84:                             ;   in Loop: Header=BB181_21 Depth=1
	s_or_b32 exec_lo, exec_lo, s15
	s_and_saveexec_b32 s15, s85
	s_cbranch_execnz .LBB181_136
.LBB181_85:                             ;   in Loop: Header=BB181_21 Depth=1
	s_or_b32 exec_lo, exec_lo, s15
	s_and_saveexec_b32 s15, s86
	s_cbranch_execnz .LBB181_137
.LBB181_86:                             ;   in Loop: Header=BB181_21 Depth=1
	s_or_b32 exec_lo, exec_lo, s15
	s_and_saveexec_b32 s15, s87
	s_cbranch_execnz .LBB181_138
.LBB181_87:                             ;   in Loop: Header=BB181_21 Depth=1
	s_or_b32 exec_lo, exec_lo, s15
	s_and_saveexec_b32 s15, s88
	s_cbranch_execnz .LBB181_139
.LBB181_88:                             ;   in Loop: Header=BB181_21 Depth=1
	s_or_b32 exec_lo, exec_lo, s15
	s_and_saveexec_b32 s15, s89
	s_cbranch_execnz .LBB181_140
.LBB181_89:                             ;   in Loop: Header=BB181_21 Depth=1
	s_or_b32 exec_lo, exec_lo, s15
	s_and_saveexec_b32 s15, s90
	s_cbranch_execz .LBB181_91
.LBB181_90:                             ;   in Loop: Header=BB181_21 Depth=1
	v_add_nc_u64_e32 v[92:93], 0x600, v[56:57]
	v_mov_b32_e32 v53, v3
	s_delay_alu instid0(VALU_DEP_1) | instskip(NEXT) | instid1(VALU_DEP_1)
	v_add_nc_u64_e32 v[74:75], v[74:75], v[52:53]
	v_add_nc_u64_e32 v[74:75], 0x700, v[74:75]
	s_delay_alu instid0(VALU_DEP_1)
	v_dual_cndmask_b32 v75, v93, v75, s0 :: v_dual_cndmask_b32 v74, v92, v74, s0
	global_load_b64 v[74:75], v[74:75], off
	global_store_b32 v[70:71], v90, off offset:896
	s_wait_loadcnt 0x0
	global_store_b64 v[72:73], v[74:75], off offset:1792
.LBB181_91:                             ;   in Loop: Header=BB181_21 Depth=1
	s_wait_xcnt 0x0
	s_or_b32 exec_lo, exec_lo, s15
	v_add_nc_u64_e32 v[70:71], s[4:5], v[46:47]
	v_lshl_add_u64 v[74:75], v[50:51], 3, s[6:7]
	s_delay_alu instid0(VALU_DEP_2) | instskip(NEXT) | instid1(VALU_DEP_1)
	v_mad_nc_u64_u32 v[72:73], v70, s16, s[28:29]
	v_mad_u32 v73, v71, s16, v73
	s_delay_alu instid0(VALU_DEP_1) | instskip(NEXT) | instid1(VALU_DEP_1)
	v_add_nc_u64_e32 v[72:73], v[72:73], v[0:1]
	v_lshl_add_u64 v[70:71], v[72:73], 2, s[38:39]
	v_lshl_add_u64 v[72:73], v[72:73], 3, s[34:35]
	s_and_saveexec_b32 s4, s91
	s_cbranch_execnz .LBB181_141
; %bb.92:                               ;   in Loop: Header=BB181_21 Depth=1
	s_or_b32 exec_lo, exec_lo, s4
	s_and_saveexec_b32 s4, s1
	s_cbranch_execnz .LBB181_142
.LBB181_93:                             ;   in Loop: Header=BB181_21 Depth=1
	s_or_b32 exec_lo, exec_lo, s4
	s_and_saveexec_b32 s4, s10
	s_cbranch_execnz .LBB181_143
.LBB181_94:                             ;   in Loop: Header=BB181_21 Depth=1
	s_or_b32 exec_lo, exec_lo, s4
	s_and_saveexec_b32 s4, s11
	s_cbranch_execnz .LBB181_144
.LBB181_95:                             ;   in Loop: Header=BB181_21 Depth=1
	s_or_b32 exec_lo, exec_lo, s4
	s_and_saveexec_b32 s4, s12
	s_cbranch_execnz .LBB181_145
.LBB181_96:                             ;   in Loop: Header=BB181_21 Depth=1
	s_or_b32 exec_lo, exec_lo, s4
	s_and_saveexec_b32 s4, s13
	s_cbranch_execnz .LBB181_146
.LBB181_97:                             ;   in Loop: Header=BB181_21 Depth=1
	s_or_b32 exec_lo, exec_lo, s4
	s_and_saveexec_b32 s4, s14
	s_cbranch_execnz .LBB181_147
.LBB181_98:                             ;   in Loop: Header=BB181_21 Depth=1
	s_or_b32 exec_lo, exec_lo, s4
	s_and_saveexec_b32 s4, s9
	s_cbranch_execz .LBB181_20
	s_branch .LBB181_148
.LBB181_99:                             ;   in Loop: Header=BB181_21 Depth=1
	v_add_nc_u64_e32 v[92:93], 0x100, v[54:55]
	v_mov_b32_e32 v53, v3
	s_delay_alu instid0(VALU_DEP_1) | instskip(NEXT) | instid1(VALU_DEP_1)
	v_add_nc_u64_e32 v[94:95], v[74:75], v[52:53]
	v_dual_cndmask_b32 v93, v93, v95, s0 :: v_dual_cndmask_b32 v92, v92, v94, s0
	global_load_b64 v[92:93], v[92:93], off
	global_store_b32 v[70:71], v83, off
	s_wait_loadcnt 0x0
	global_store_b64 v[72:73], v[92:93], off
	s_wait_xcnt 0x0
	s_or_b32 exec_lo, exec_lo, s15
	s_and_saveexec_b32 s15, s47
	s_cbranch_execz .LBB181_39
.LBB181_100:                            ;   in Loop: Header=BB181_21 Depth=1
	v_mov_b32_e32 v53, v3
	s_delay_alu instid0(VALU_DEP_1) | instskip(NEXT) | instid1(VALU_DEP_1)
	v_add_nc_u64_e32 v[92:93], v[74:75], v[52:53]
	v_dual_cndmask_b32 v93, v69, v93, s0 :: v_dual_cndmask_b32 v92, v68, v92, s0
	global_load_b64 v[92:93], v[92:93], off offset:256
	global_store_b32 v[70:71], v84, off offset:128
	s_wait_loadcnt 0x0
	global_store_b64 v[72:73], v[92:93], off offset:256
	s_wait_xcnt 0x0
	s_or_b32 exec_lo, exec_lo, s15
	s_and_saveexec_b32 s15, s48
	s_cbranch_execz .LBB181_40
.LBB181_101:                            ;   in Loop: Header=BB181_21 Depth=1
	v_add_nc_u64_e32 v[94:95], 0x100, v[66:67]
	v_mov_b32_e32 v53, v3
	s_delay_alu instid0(VALU_DEP_1) | instskip(NEXT) | instid1(VALU_DEP_1)
	v_add_nc_u64_e32 v[92:93], v[74:75], v[52:53]
	v_add_nc_u64_e32 v[92:93], 0x200, v[92:93]
	s_delay_alu instid0(VALU_DEP_1)
	v_dual_cndmask_b32 v93, v95, v93, s0 :: v_dual_cndmask_b32 v92, v94, v92, s0
	global_load_b64 v[92:93], v[92:93], off
	global_store_b32 v[70:71], v85, off offset:256
	s_wait_loadcnt 0x0
	global_store_b64 v[72:73], v[92:93], off offset:512
	s_wait_xcnt 0x0
	s_or_b32 exec_lo, exec_lo, s15
	s_and_saveexec_b32 s15, s49
	s_cbranch_execz .LBB181_41
.LBB181_102:                            ;   in Loop: Header=BB181_21 Depth=1
	v_add_nc_u64_e32 v[94:95], 0x100, v[64:65]
	v_mov_b32_e32 v53, v3
	s_delay_alu instid0(VALU_DEP_1) | instskip(NEXT) | instid1(VALU_DEP_1)
	v_add_nc_u64_e32 v[92:93], v[74:75], v[52:53]
	v_add_nc_u64_e32 v[92:93], 0x300, v[92:93]
	s_delay_alu instid0(VALU_DEP_1)
	v_dual_cndmask_b32 v93, v95, v93, s0 :: v_dual_cndmask_b32 v92, v94, v92, s0
	global_load_b64 v[92:93], v[92:93], off
	global_store_b32 v[70:71], v86, off offset:384
	s_wait_loadcnt 0x0
	global_store_b64 v[72:73], v[92:93], off offset:768
	s_wait_xcnt 0x0
	s_or_b32 exec_lo, exec_lo, s15
	s_and_saveexec_b32 s15, s50
	s_cbranch_execz .LBB181_42
.LBB181_103:                            ;   in Loop: Header=BB181_21 Depth=1
	v_add_nc_u64_e32 v[94:95], 0x100, v[62:63]
	v_mov_b32_e32 v53, v3
	s_delay_alu instid0(VALU_DEP_1) | instskip(NEXT) | instid1(VALU_DEP_1)
	v_add_nc_u64_e32 v[92:93], v[74:75], v[52:53]
	v_add_nc_u64_e32 v[92:93], 0x400, v[92:93]
	s_delay_alu instid0(VALU_DEP_1)
	v_dual_cndmask_b32 v93, v95, v93, s0 :: v_dual_cndmask_b32 v92, v94, v92, s0
	global_load_b64 v[92:93], v[92:93], off
	global_store_b32 v[70:71], v87, off offset:512
	s_wait_loadcnt 0x0
	global_store_b64 v[72:73], v[92:93], off offset:1024
	s_wait_xcnt 0x0
	s_or_b32 exec_lo, exec_lo, s15
	s_and_saveexec_b32 s15, s51
	s_cbranch_execz .LBB181_43
.LBB181_104:                            ;   in Loop: Header=BB181_21 Depth=1
	v_add_nc_u64_e32 v[94:95], 0x100, v[60:61]
	v_mov_b32_e32 v53, v3
	s_delay_alu instid0(VALU_DEP_1) | instskip(NEXT) | instid1(VALU_DEP_1)
	v_add_nc_u64_e32 v[92:93], v[74:75], v[52:53]
	v_add_nc_u64_e32 v[92:93], 0x500, v[92:93]
	s_delay_alu instid0(VALU_DEP_1)
	v_dual_cndmask_b32 v93, v95, v93, s0 :: v_dual_cndmask_b32 v92, v94, v92, s0
	global_load_b64 v[92:93], v[92:93], off
	global_store_b32 v[70:71], v88, off offset:640
	s_wait_loadcnt 0x0
	global_store_b64 v[72:73], v[92:93], off offset:1280
	s_wait_xcnt 0x0
	s_or_b32 exec_lo, exec_lo, s15
	s_and_saveexec_b32 s15, s52
	s_cbranch_execz .LBB181_44
.LBB181_105:                            ;   in Loop: Header=BB181_21 Depth=1
	v_add_nc_u64_e32 v[94:95], 0x100, v[58:59]
	v_mov_b32_e32 v53, v3
	s_delay_alu instid0(VALU_DEP_1) | instskip(NEXT) | instid1(VALU_DEP_1)
	v_add_nc_u64_e32 v[92:93], v[74:75], v[52:53]
	v_add_nc_u64_e32 v[92:93], 0x600, v[92:93]
	s_delay_alu instid0(VALU_DEP_1)
	v_dual_cndmask_b32 v93, v95, v93, s0 :: v_dual_cndmask_b32 v92, v94, v92, s0
	global_load_b64 v[92:93], v[92:93], off
	global_store_b32 v[70:71], v89, off offset:768
	s_wait_loadcnt 0x0
	global_store_b64 v[72:73], v[92:93], off offset:1536
	s_wait_xcnt 0x0
	s_or_b32 exec_lo, exec_lo, s15
	s_and_saveexec_b32 s15, s53
	s_cbranch_execnz .LBB181_45
	s_branch .LBB181_46
.LBB181_106:                            ;   in Loop: Header=BB181_21 Depth=1
	v_add_nc_u64_e32 v[92:93], 0x200, v[54:55]
	v_mov_b32_e32 v53, v3
	s_delay_alu instid0(VALU_DEP_1) | instskip(NEXT) | instid1(VALU_DEP_1)
	v_add_nc_u64_e32 v[94:95], v[74:75], v[52:53]
	v_dual_cndmask_b32 v93, v93, v95, s0 :: v_dual_cndmask_b32 v92, v92, v94, s0
	global_load_b64 v[92:93], v[92:93], off
	global_store_b32 v[70:71], v83, off
	s_wait_loadcnt 0x0
	global_store_b64 v[72:73], v[92:93], off
	s_wait_xcnt 0x0
	s_or_b32 exec_lo, exec_lo, s15
	s_and_saveexec_b32 s15, s55
	s_cbranch_execz .LBB181_48
.LBB181_107:                            ;   in Loop: Header=BB181_21 Depth=1
	v_add_nc_u64_e32 v[94:95], 0x200, v[68:69]
	v_mov_b32_e32 v53, v3
	s_delay_alu instid0(VALU_DEP_1) | instskip(NEXT) | instid1(VALU_DEP_1)
	v_add_nc_u64_e32 v[92:93], v[74:75], v[52:53]
	v_add_nc_u64_e32 v[92:93], 0x100, v[92:93]
	s_delay_alu instid0(VALU_DEP_1)
	v_dual_cndmask_b32 v93, v95, v93, s0 :: v_dual_cndmask_b32 v92, v94, v92, s0
	global_load_b64 v[92:93], v[92:93], off
	global_store_b32 v[70:71], v84, off offset:128
	s_wait_loadcnt 0x0
	global_store_b64 v[72:73], v[92:93], off offset:256
	s_wait_xcnt 0x0
	s_or_b32 exec_lo, exec_lo, s15
	s_and_saveexec_b32 s15, s56
	s_cbranch_execz .LBB181_49
.LBB181_108:                            ;   in Loop: Header=BB181_21 Depth=1
	v_mov_b32_e32 v53, v3
	s_delay_alu instid0(VALU_DEP_1) | instskip(NEXT) | instid1(VALU_DEP_1)
	v_add_nc_u64_e32 v[92:93], v[74:75], v[52:53]
	v_dual_cndmask_b32 v93, v67, v93, s0 :: v_dual_cndmask_b32 v92, v66, v92, s0
	global_load_b64 v[92:93], v[92:93], off offset:512
	global_store_b32 v[70:71], v85, off offset:256
	s_wait_loadcnt 0x0
	global_store_b64 v[72:73], v[92:93], off offset:512
	s_wait_xcnt 0x0
	s_or_b32 exec_lo, exec_lo, s15
	s_and_saveexec_b32 s15, s57
	s_cbranch_execz .LBB181_50
.LBB181_109:                            ;   in Loop: Header=BB181_21 Depth=1
	v_add_nc_u64_e32 v[94:95], 0x200, v[64:65]
	v_mov_b32_e32 v53, v3
	s_delay_alu instid0(VALU_DEP_1) | instskip(NEXT) | instid1(VALU_DEP_1)
	v_add_nc_u64_e32 v[92:93], v[74:75], v[52:53]
	v_add_nc_u64_e32 v[92:93], 0x300, v[92:93]
	s_delay_alu instid0(VALU_DEP_1)
	v_dual_cndmask_b32 v93, v95, v93, s0 :: v_dual_cndmask_b32 v92, v94, v92, s0
	global_load_b64 v[92:93], v[92:93], off
	global_store_b32 v[70:71], v86, off offset:384
	s_wait_loadcnt 0x0
	global_store_b64 v[72:73], v[92:93], off offset:768
	s_wait_xcnt 0x0
	s_or_b32 exec_lo, exec_lo, s15
	s_and_saveexec_b32 s15, s58
	s_cbranch_execz .LBB181_51
.LBB181_110:                            ;   in Loop: Header=BB181_21 Depth=1
	v_add_nc_u64_e32 v[94:95], 0x200, v[62:63]
	v_mov_b32_e32 v53, v3
	s_delay_alu instid0(VALU_DEP_1) | instskip(NEXT) | instid1(VALU_DEP_1)
	v_add_nc_u64_e32 v[92:93], v[74:75], v[52:53]
	v_add_nc_u64_e32 v[92:93], 0x400, v[92:93]
	s_delay_alu instid0(VALU_DEP_1)
	v_dual_cndmask_b32 v93, v95, v93, s0 :: v_dual_cndmask_b32 v92, v94, v92, s0
	global_load_b64 v[92:93], v[92:93], off
	global_store_b32 v[70:71], v87, off offset:512
	s_wait_loadcnt 0x0
	global_store_b64 v[72:73], v[92:93], off offset:1024
	s_wait_xcnt 0x0
	s_or_b32 exec_lo, exec_lo, s15
	s_and_saveexec_b32 s15, s59
	s_cbranch_execz .LBB181_52
.LBB181_111:                            ;   in Loop: Header=BB181_21 Depth=1
	v_add_nc_u64_e32 v[94:95], 0x200, v[60:61]
	v_mov_b32_e32 v53, v3
	s_delay_alu instid0(VALU_DEP_1) | instskip(NEXT) | instid1(VALU_DEP_1)
	v_add_nc_u64_e32 v[92:93], v[74:75], v[52:53]
	v_add_nc_u64_e32 v[92:93], 0x500, v[92:93]
	s_delay_alu instid0(VALU_DEP_1)
	v_dual_cndmask_b32 v93, v95, v93, s0 :: v_dual_cndmask_b32 v92, v94, v92, s0
	global_load_b64 v[92:93], v[92:93], off
	global_store_b32 v[70:71], v88, off offset:640
	s_wait_loadcnt 0x0
	global_store_b64 v[72:73], v[92:93], off offset:1280
	s_wait_xcnt 0x0
	s_or_b32 exec_lo, exec_lo, s15
	s_and_saveexec_b32 s15, s60
	s_cbranch_execz .LBB181_53
.LBB181_112:                            ;   in Loop: Header=BB181_21 Depth=1
	v_add_nc_u64_e32 v[94:95], 0x200, v[58:59]
	v_mov_b32_e32 v53, v3
	s_delay_alu instid0(VALU_DEP_1) | instskip(NEXT) | instid1(VALU_DEP_1)
	v_add_nc_u64_e32 v[92:93], v[74:75], v[52:53]
	v_add_nc_u64_e32 v[92:93], 0x600, v[92:93]
	s_delay_alu instid0(VALU_DEP_1)
	v_dual_cndmask_b32 v93, v95, v93, s0 :: v_dual_cndmask_b32 v92, v94, v92, s0
	global_load_b64 v[92:93], v[92:93], off
	global_store_b32 v[70:71], v89, off offset:768
	s_wait_loadcnt 0x0
	global_store_b64 v[72:73], v[92:93], off offset:1536
	s_wait_xcnt 0x0
	s_or_b32 exec_lo, exec_lo, s15
	s_and_saveexec_b32 s15, s61
	s_cbranch_execnz .LBB181_54
	s_branch .LBB181_55
.LBB181_113:                            ;   in Loop: Header=BB181_21 Depth=1
	v_add_nc_u64_e32 v[92:93], 0x300, v[54:55]
	v_mov_b32_e32 v53, v3
	s_delay_alu instid0(VALU_DEP_1) | instskip(NEXT) | instid1(VALU_DEP_1)
	v_add_nc_u64_e32 v[94:95], v[74:75], v[52:53]
	v_dual_cndmask_b32 v93, v93, v95, s0 :: v_dual_cndmask_b32 v92, v92, v94, s0
	global_load_b64 v[92:93], v[92:93], off
	global_store_b32 v[70:71], v83, off
	s_wait_loadcnt 0x0
	global_store_b64 v[72:73], v[92:93], off
	s_wait_xcnt 0x0
	s_or_b32 exec_lo, exec_lo, s15
	s_and_saveexec_b32 s15, s63
	s_cbranch_execz .LBB181_57
.LBB181_114:                            ;   in Loop: Header=BB181_21 Depth=1
	v_add_nc_u64_e32 v[94:95], 0x300, v[68:69]
	v_mov_b32_e32 v53, v3
	s_delay_alu instid0(VALU_DEP_1) | instskip(NEXT) | instid1(VALU_DEP_1)
	v_add_nc_u64_e32 v[92:93], v[74:75], v[52:53]
	v_add_nc_u64_e32 v[92:93], 0x100, v[92:93]
	s_delay_alu instid0(VALU_DEP_1)
	v_dual_cndmask_b32 v93, v95, v93, s0 :: v_dual_cndmask_b32 v92, v94, v92, s0
	global_load_b64 v[92:93], v[92:93], off
	global_store_b32 v[70:71], v84, off offset:128
	s_wait_loadcnt 0x0
	global_store_b64 v[72:73], v[92:93], off offset:256
	s_wait_xcnt 0x0
	s_or_b32 exec_lo, exec_lo, s15
	s_and_saveexec_b32 s15, s64
	s_cbranch_execz .LBB181_58
.LBB181_115:                            ;   in Loop: Header=BB181_21 Depth=1
	v_add_nc_u64_e32 v[94:95], 0x300, v[66:67]
	v_mov_b32_e32 v53, v3
	s_delay_alu instid0(VALU_DEP_1) | instskip(NEXT) | instid1(VALU_DEP_1)
	v_add_nc_u64_e32 v[92:93], v[74:75], v[52:53]
	v_add_nc_u64_e32 v[92:93], 0x200, v[92:93]
	s_delay_alu instid0(VALU_DEP_1)
	v_dual_cndmask_b32 v93, v95, v93, s0 :: v_dual_cndmask_b32 v92, v94, v92, s0
	global_load_b64 v[92:93], v[92:93], off
	global_store_b32 v[70:71], v85, off offset:256
	s_wait_loadcnt 0x0
	global_store_b64 v[72:73], v[92:93], off offset:512
	s_wait_xcnt 0x0
	s_or_b32 exec_lo, exec_lo, s15
	s_and_saveexec_b32 s15, s65
	s_cbranch_execz .LBB181_59
.LBB181_116:                            ;   in Loop: Header=BB181_21 Depth=1
	v_mov_b32_e32 v53, v3
	s_delay_alu instid0(VALU_DEP_1) | instskip(NEXT) | instid1(VALU_DEP_1)
	v_add_nc_u64_e32 v[92:93], v[74:75], v[52:53]
	v_dual_cndmask_b32 v93, v65, v93, s0 :: v_dual_cndmask_b32 v92, v64, v92, s0
	global_load_b64 v[92:93], v[92:93], off offset:768
	global_store_b32 v[70:71], v86, off offset:384
	s_wait_loadcnt 0x0
	global_store_b64 v[72:73], v[92:93], off offset:768
	s_wait_xcnt 0x0
	s_or_b32 exec_lo, exec_lo, s15
	s_and_saveexec_b32 s15, s66
	s_cbranch_execz .LBB181_60
.LBB181_117:                            ;   in Loop: Header=BB181_21 Depth=1
	v_add_nc_u64_e32 v[94:95], 0x300, v[62:63]
	v_mov_b32_e32 v53, v3
	s_delay_alu instid0(VALU_DEP_1) | instskip(NEXT) | instid1(VALU_DEP_1)
	v_add_nc_u64_e32 v[92:93], v[74:75], v[52:53]
	v_add_nc_u64_e32 v[92:93], 0x400, v[92:93]
	s_delay_alu instid0(VALU_DEP_1)
	v_dual_cndmask_b32 v93, v95, v93, s0 :: v_dual_cndmask_b32 v92, v94, v92, s0
	global_load_b64 v[92:93], v[92:93], off
	global_store_b32 v[70:71], v87, off offset:512
	s_wait_loadcnt 0x0
	global_store_b64 v[72:73], v[92:93], off offset:1024
	s_wait_xcnt 0x0
	s_or_b32 exec_lo, exec_lo, s15
	s_and_saveexec_b32 s15, s67
	s_cbranch_execz .LBB181_61
.LBB181_118:                            ;   in Loop: Header=BB181_21 Depth=1
	v_add_nc_u64_e32 v[94:95], 0x300, v[60:61]
	v_mov_b32_e32 v53, v3
	s_delay_alu instid0(VALU_DEP_1) | instskip(NEXT) | instid1(VALU_DEP_1)
	v_add_nc_u64_e32 v[92:93], v[74:75], v[52:53]
	v_add_nc_u64_e32 v[92:93], 0x500, v[92:93]
	s_delay_alu instid0(VALU_DEP_1)
	v_dual_cndmask_b32 v93, v95, v93, s0 :: v_dual_cndmask_b32 v92, v94, v92, s0
	global_load_b64 v[92:93], v[92:93], off
	global_store_b32 v[70:71], v88, off offset:640
	s_wait_loadcnt 0x0
	global_store_b64 v[72:73], v[92:93], off offset:1280
	s_wait_xcnt 0x0
	s_or_b32 exec_lo, exec_lo, s15
	s_and_saveexec_b32 s15, s68
	s_cbranch_execz .LBB181_62
.LBB181_119:                            ;   in Loop: Header=BB181_21 Depth=1
	v_add_nc_u64_e32 v[94:95], 0x300, v[58:59]
	v_mov_b32_e32 v53, v3
	s_delay_alu instid0(VALU_DEP_1) | instskip(NEXT) | instid1(VALU_DEP_1)
	v_add_nc_u64_e32 v[92:93], v[74:75], v[52:53]
	v_add_nc_u64_e32 v[92:93], 0x600, v[92:93]
	s_delay_alu instid0(VALU_DEP_1)
	v_dual_cndmask_b32 v93, v95, v93, s0 :: v_dual_cndmask_b32 v92, v94, v92, s0
	global_load_b64 v[92:93], v[92:93], off
	global_store_b32 v[70:71], v89, off offset:768
	s_wait_loadcnt 0x0
	global_store_b64 v[72:73], v[92:93], off offset:1536
	s_wait_xcnt 0x0
	s_or_b32 exec_lo, exec_lo, s15
	s_and_saveexec_b32 s15, s69
	s_cbranch_execnz .LBB181_63
	s_branch .LBB181_64
.LBB181_120:                            ;   in Loop: Header=BB181_21 Depth=1
	v_add_nc_u64_e32 v[92:93], 0x400, v[54:55]
	v_mov_b32_e32 v53, v3
	s_delay_alu instid0(VALU_DEP_1) | instskip(NEXT) | instid1(VALU_DEP_1)
	v_add_nc_u64_e32 v[94:95], v[74:75], v[52:53]
	v_dual_cndmask_b32 v93, v93, v95, s0 :: v_dual_cndmask_b32 v92, v92, v94, s0
	global_load_b64 v[92:93], v[92:93], off
	global_store_b32 v[70:71], v83, off
	s_wait_loadcnt 0x0
	global_store_b64 v[72:73], v[92:93], off
	s_wait_xcnt 0x0
	s_or_b32 exec_lo, exec_lo, s15
	s_and_saveexec_b32 s15, s71
	s_cbranch_execz .LBB181_66
.LBB181_121:                            ;   in Loop: Header=BB181_21 Depth=1
	v_add_nc_u64_e32 v[94:95], 0x400, v[68:69]
	v_mov_b32_e32 v53, v3
	s_delay_alu instid0(VALU_DEP_1) | instskip(NEXT) | instid1(VALU_DEP_1)
	v_add_nc_u64_e32 v[92:93], v[74:75], v[52:53]
	v_add_nc_u64_e32 v[92:93], 0x100, v[92:93]
	s_delay_alu instid0(VALU_DEP_1)
	v_dual_cndmask_b32 v93, v95, v93, s0 :: v_dual_cndmask_b32 v92, v94, v92, s0
	global_load_b64 v[92:93], v[92:93], off
	global_store_b32 v[70:71], v84, off offset:128
	s_wait_loadcnt 0x0
	global_store_b64 v[72:73], v[92:93], off offset:256
	s_wait_xcnt 0x0
	s_or_b32 exec_lo, exec_lo, s15
	s_and_saveexec_b32 s15, s72
	s_cbranch_execz .LBB181_67
.LBB181_122:                            ;   in Loop: Header=BB181_21 Depth=1
	v_add_nc_u64_e32 v[94:95], 0x400, v[66:67]
	v_mov_b32_e32 v53, v3
	s_delay_alu instid0(VALU_DEP_1) | instskip(NEXT) | instid1(VALU_DEP_1)
	v_add_nc_u64_e32 v[92:93], v[74:75], v[52:53]
	v_add_nc_u64_e32 v[92:93], 0x200, v[92:93]
	s_delay_alu instid0(VALU_DEP_1)
	v_dual_cndmask_b32 v93, v95, v93, s0 :: v_dual_cndmask_b32 v92, v94, v92, s0
	global_load_b64 v[92:93], v[92:93], off
	global_store_b32 v[70:71], v85, off offset:256
	s_wait_loadcnt 0x0
	global_store_b64 v[72:73], v[92:93], off offset:512
	s_wait_xcnt 0x0
	s_or_b32 exec_lo, exec_lo, s15
	s_and_saveexec_b32 s15, s73
	s_cbranch_execz .LBB181_68
.LBB181_123:                            ;   in Loop: Header=BB181_21 Depth=1
	v_add_nc_u64_e32 v[94:95], 0x400, v[64:65]
	v_mov_b32_e32 v53, v3
	s_delay_alu instid0(VALU_DEP_1) | instskip(NEXT) | instid1(VALU_DEP_1)
	v_add_nc_u64_e32 v[92:93], v[74:75], v[52:53]
	v_add_nc_u64_e32 v[92:93], 0x300, v[92:93]
	s_delay_alu instid0(VALU_DEP_1)
	v_dual_cndmask_b32 v93, v95, v93, s0 :: v_dual_cndmask_b32 v92, v94, v92, s0
	global_load_b64 v[92:93], v[92:93], off
	global_store_b32 v[70:71], v86, off offset:384
	s_wait_loadcnt 0x0
	global_store_b64 v[72:73], v[92:93], off offset:768
	s_wait_xcnt 0x0
	s_or_b32 exec_lo, exec_lo, s15
	s_and_saveexec_b32 s15, s74
	s_cbranch_execz .LBB181_69
.LBB181_124:                            ;   in Loop: Header=BB181_21 Depth=1
	v_mov_b32_e32 v53, v3
	s_delay_alu instid0(VALU_DEP_1) | instskip(NEXT) | instid1(VALU_DEP_1)
	v_add_nc_u64_e32 v[92:93], v[74:75], v[52:53]
	v_dual_cndmask_b32 v93, v63, v93, s0 :: v_dual_cndmask_b32 v92, v62, v92, s0
	global_load_b64 v[92:93], v[92:93], off offset:1024
	global_store_b32 v[70:71], v87, off offset:512
	s_wait_loadcnt 0x0
	global_store_b64 v[72:73], v[92:93], off offset:1024
	s_wait_xcnt 0x0
	s_or_b32 exec_lo, exec_lo, s15
	s_and_saveexec_b32 s15, s75
	s_cbranch_execz .LBB181_70
.LBB181_125:                            ;   in Loop: Header=BB181_21 Depth=1
	v_add_nc_u64_e32 v[94:95], 0x400, v[60:61]
	v_mov_b32_e32 v53, v3
	s_delay_alu instid0(VALU_DEP_1) | instskip(NEXT) | instid1(VALU_DEP_1)
	v_add_nc_u64_e32 v[92:93], v[74:75], v[52:53]
	v_add_nc_u64_e32 v[92:93], 0x500, v[92:93]
	s_delay_alu instid0(VALU_DEP_1)
	v_dual_cndmask_b32 v93, v95, v93, s0 :: v_dual_cndmask_b32 v92, v94, v92, s0
	global_load_b64 v[92:93], v[92:93], off
	global_store_b32 v[70:71], v88, off offset:640
	s_wait_loadcnt 0x0
	global_store_b64 v[72:73], v[92:93], off offset:1280
	s_wait_xcnt 0x0
	s_or_b32 exec_lo, exec_lo, s15
	s_and_saveexec_b32 s15, s76
	s_cbranch_execz .LBB181_71
.LBB181_126:                            ;   in Loop: Header=BB181_21 Depth=1
	v_add_nc_u64_e32 v[94:95], 0x400, v[58:59]
	v_mov_b32_e32 v53, v3
	s_delay_alu instid0(VALU_DEP_1) | instskip(NEXT) | instid1(VALU_DEP_1)
	v_add_nc_u64_e32 v[92:93], v[74:75], v[52:53]
	v_add_nc_u64_e32 v[92:93], 0x600, v[92:93]
	s_delay_alu instid0(VALU_DEP_1)
	v_dual_cndmask_b32 v93, v95, v93, s0 :: v_dual_cndmask_b32 v92, v94, v92, s0
	global_load_b64 v[92:93], v[92:93], off
	global_store_b32 v[70:71], v89, off offset:768
	s_wait_loadcnt 0x0
	global_store_b64 v[72:73], v[92:93], off offset:1536
	s_wait_xcnt 0x0
	s_or_b32 exec_lo, exec_lo, s15
	s_and_saveexec_b32 s15, s8
	s_cbranch_execnz .LBB181_72
	s_branch .LBB181_73
.LBB181_127:                            ;   in Loop: Header=BB181_21 Depth=1
	v_add_nc_u64_e32 v[92:93], 0x500, v[54:55]
	v_mov_b32_e32 v53, v3
	s_delay_alu instid0(VALU_DEP_1) | instskip(NEXT) | instid1(VALU_DEP_1)
	v_add_nc_u64_e32 v[94:95], v[74:75], v[52:53]
	v_dual_cndmask_b32 v93, v93, v95, s0 :: v_dual_cndmask_b32 v92, v92, v94, s0
	global_load_b64 v[92:93], v[92:93], off
	global_store_b32 v[70:71], v83, off
	s_wait_loadcnt 0x0
	global_store_b64 v[72:73], v[92:93], off
	s_wait_xcnt 0x0
	s_or_b32 exec_lo, exec_lo, s15
	s_and_saveexec_b32 s15, s41
	s_cbranch_execz .LBB181_75
.LBB181_128:                            ;   in Loop: Header=BB181_21 Depth=1
	v_add_nc_u64_e32 v[94:95], 0x500, v[68:69]
	v_mov_b32_e32 v53, v3
	s_delay_alu instid0(VALU_DEP_1) | instskip(NEXT) | instid1(VALU_DEP_1)
	v_add_nc_u64_e32 v[92:93], v[74:75], v[52:53]
	v_add_nc_u64_e32 v[92:93], 0x100, v[92:93]
	s_delay_alu instid0(VALU_DEP_1)
	v_dual_cndmask_b32 v93, v95, v93, s0 :: v_dual_cndmask_b32 v92, v94, v92, s0
	global_load_b64 v[92:93], v[92:93], off
	global_store_b32 v[70:71], v84, off offset:128
	s_wait_loadcnt 0x0
	global_store_b64 v[72:73], v[92:93], off offset:256
	s_wait_xcnt 0x0
	s_or_b32 exec_lo, exec_lo, s15
	s_and_saveexec_b32 s15, s77
	s_cbranch_execz .LBB181_76
.LBB181_129:                            ;   in Loop: Header=BB181_21 Depth=1
	v_add_nc_u64_e32 v[94:95], 0x500, v[66:67]
	v_mov_b32_e32 v53, v3
	s_delay_alu instid0(VALU_DEP_1) | instskip(NEXT) | instid1(VALU_DEP_1)
	v_add_nc_u64_e32 v[92:93], v[74:75], v[52:53]
	v_add_nc_u64_e32 v[92:93], 0x200, v[92:93]
	s_delay_alu instid0(VALU_DEP_1)
	v_dual_cndmask_b32 v93, v95, v93, s0 :: v_dual_cndmask_b32 v92, v94, v92, s0
	global_load_b64 v[92:93], v[92:93], off
	global_store_b32 v[70:71], v85, off offset:256
	s_wait_loadcnt 0x0
	global_store_b64 v[72:73], v[92:93], off offset:512
	s_wait_xcnt 0x0
	s_or_b32 exec_lo, exec_lo, s15
	s_and_saveexec_b32 s15, s78
	s_cbranch_execz .LBB181_77
.LBB181_130:                            ;   in Loop: Header=BB181_21 Depth=1
	v_add_nc_u64_e32 v[94:95], 0x500, v[64:65]
	v_mov_b32_e32 v53, v3
	s_delay_alu instid0(VALU_DEP_1) | instskip(NEXT) | instid1(VALU_DEP_1)
	v_add_nc_u64_e32 v[92:93], v[74:75], v[52:53]
	v_add_nc_u64_e32 v[92:93], 0x300, v[92:93]
	s_delay_alu instid0(VALU_DEP_1)
	v_dual_cndmask_b32 v93, v95, v93, s0 :: v_dual_cndmask_b32 v92, v94, v92, s0
	global_load_b64 v[92:93], v[92:93], off
	global_store_b32 v[70:71], v86, off offset:384
	s_wait_loadcnt 0x0
	global_store_b64 v[72:73], v[92:93], off offset:768
	s_wait_xcnt 0x0
	s_or_b32 exec_lo, exec_lo, s15
	s_and_saveexec_b32 s15, s79
	s_cbranch_execz .LBB181_78
.LBB181_131:                            ;   in Loop: Header=BB181_21 Depth=1
	v_add_nc_u64_e32 v[94:95], 0x500, v[62:63]
	v_mov_b32_e32 v53, v3
	s_delay_alu instid0(VALU_DEP_1) | instskip(NEXT) | instid1(VALU_DEP_1)
	v_add_nc_u64_e32 v[92:93], v[74:75], v[52:53]
	v_add_nc_u64_e32 v[92:93], 0x400, v[92:93]
	s_delay_alu instid0(VALU_DEP_1)
	v_dual_cndmask_b32 v93, v95, v93, s0 :: v_dual_cndmask_b32 v92, v94, v92, s0
	global_load_b64 v[92:93], v[92:93], off
	global_store_b32 v[70:71], v87, off offset:512
	s_wait_loadcnt 0x0
	global_store_b64 v[72:73], v[92:93], off offset:1024
	s_wait_xcnt 0x0
	s_or_b32 exec_lo, exec_lo, s15
	s_and_saveexec_b32 s15, s80
	s_cbranch_execz .LBB181_79
.LBB181_132:                            ;   in Loop: Header=BB181_21 Depth=1
	v_mov_b32_e32 v53, v3
	s_delay_alu instid0(VALU_DEP_1) | instskip(NEXT) | instid1(VALU_DEP_1)
	v_add_nc_u64_e32 v[92:93], v[74:75], v[52:53]
	v_dual_cndmask_b32 v93, v61, v93, s0 :: v_dual_cndmask_b32 v92, v60, v92, s0
	global_load_b64 v[92:93], v[92:93], off offset:1280
	global_store_b32 v[70:71], v88, off offset:640
	s_wait_loadcnt 0x0
	global_store_b64 v[72:73], v[92:93], off offset:1280
	s_wait_xcnt 0x0
	s_or_b32 exec_lo, exec_lo, s15
	s_and_saveexec_b32 s15, s81
	s_cbranch_execz .LBB181_80
.LBB181_133:                            ;   in Loop: Header=BB181_21 Depth=1
	v_add_nc_u64_e32 v[94:95], 0x500, v[58:59]
	v_mov_b32_e32 v53, v3
	s_delay_alu instid0(VALU_DEP_1) | instskip(NEXT) | instid1(VALU_DEP_1)
	v_add_nc_u64_e32 v[92:93], v[74:75], v[52:53]
	v_add_nc_u64_e32 v[92:93], 0x600, v[92:93]
	s_delay_alu instid0(VALU_DEP_1)
	v_dual_cndmask_b32 v93, v95, v93, s0 :: v_dual_cndmask_b32 v92, v94, v92, s0
	global_load_b64 v[92:93], v[92:93], off
	global_store_b32 v[70:71], v89, off offset:768
	s_wait_loadcnt 0x0
	global_store_b64 v[72:73], v[92:93], off offset:1536
	s_wait_xcnt 0x0
	s_or_b32 exec_lo, exec_lo, s15
	s_and_saveexec_b32 s15, s82
	s_cbranch_execnz .LBB181_81
	s_branch .LBB181_82
.LBB181_134:                            ;   in Loop: Header=BB181_21 Depth=1
	v_add_nc_u64_e32 v[92:93], 0x600, v[54:55]
	v_mov_b32_e32 v53, v3
	s_delay_alu instid0(VALU_DEP_1) | instskip(NEXT) | instid1(VALU_DEP_1)
	v_add_nc_u64_e32 v[94:95], v[74:75], v[52:53]
	v_dual_cndmask_b32 v93, v93, v95, s0 :: v_dual_cndmask_b32 v92, v92, v94, s0
	global_load_b64 v[92:93], v[92:93], off
	global_store_b32 v[70:71], v83, off
	s_wait_loadcnt 0x0
	global_store_b64 v[72:73], v[92:93], off
	s_wait_xcnt 0x0
	s_or_b32 exec_lo, exec_lo, s15
	s_and_saveexec_b32 s15, s84
	s_cbranch_execz .LBB181_84
.LBB181_135:                            ;   in Loop: Header=BB181_21 Depth=1
	v_add_nc_u64_e32 v[94:95], 0x600, v[68:69]
	v_mov_b32_e32 v53, v3
	s_delay_alu instid0(VALU_DEP_1) | instskip(NEXT) | instid1(VALU_DEP_1)
	v_add_nc_u64_e32 v[92:93], v[74:75], v[52:53]
	v_add_nc_u64_e32 v[92:93], 0x100, v[92:93]
	s_delay_alu instid0(VALU_DEP_1)
	v_dual_cndmask_b32 v93, v95, v93, s0 :: v_dual_cndmask_b32 v92, v94, v92, s0
	global_load_b64 v[92:93], v[92:93], off
	global_store_b32 v[70:71], v84, off offset:128
	s_wait_loadcnt 0x0
	global_store_b64 v[72:73], v[92:93], off offset:256
	s_wait_xcnt 0x0
	s_or_b32 exec_lo, exec_lo, s15
	s_and_saveexec_b32 s15, s85
	s_cbranch_execz .LBB181_85
.LBB181_136:                            ;   in Loop: Header=BB181_21 Depth=1
	v_add_nc_u64_e32 v[94:95], 0x600, v[66:67]
	v_mov_b32_e32 v53, v3
	s_delay_alu instid0(VALU_DEP_1) | instskip(NEXT) | instid1(VALU_DEP_1)
	v_add_nc_u64_e32 v[92:93], v[74:75], v[52:53]
	v_add_nc_u64_e32 v[92:93], 0x200, v[92:93]
	s_delay_alu instid0(VALU_DEP_1)
	v_dual_cndmask_b32 v93, v95, v93, s0 :: v_dual_cndmask_b32 v92, v94, v92, s0
	global_load_b64 v[92:93], v[92:93], off
	global_store_b32 v[70:71], v85, off offset:256
	s_wait_loadcnt 0x0
	global_store_b64 v[72:73], v[92:93], off offset:512
	s_wait_xcnt 0x0
	s_or_b32 exec_lo, exec_lo, s15
	s_and_saveexec_b32 s15, s86
	s_cbranch_execz .LBB181_86
.LBB181_137:                            ;   in Loop: Header=BB181_21 Depth=1
	v_add_nc_u64_e32 v[94:95], 0x600, v[64:65]
	v_mov_b32_e32 v53, v3
	s_delay_alu instid0(VALU_DEP_1) | instskip(NEXT) | instid1(VALU_DEP_1)
	v_add_nc_u64_e32 v[92:93], v[74:75], v[52:53]
	v_add_nc_u64_e32 v[92:93], 0x300, v[92:93]
	s_delay_alu instid0(VALU_DEP_1)
	v_dual_cndmask_b32 v93, v95, v93, s0 :: v_dual_cndmask_b32 v92, v94, v92, s0
	global_load_b64 v[92:93], v[92:93], off
	global_store_b32 v[70:71], v86, off offset:384
	s_wait_loadcnt 0x0
	global_store_b64 v[72:73], v[92:93], off offset:768
	s_wait_xcnt 0x0
	s_or_b32 exec_lo, exec_lo, s15
	s_and_saveexec_b32 s15, s87
	s_cbranch_execz .LBB181_87
.LBB181_138:                            ;   in Loop: Header=BB181_21 Depth=1
	v_add_nc_u64_e32 v[94:95], 0x600, v[62:63]
	v_mov_b32_e32 v53, v3
	s_delay_alu instid0(VALU_DEP_1) | instskip(NEXT) | instid1(VALU_DEP_1)
	v_add_nc_u64_e32 v[92:93], v[74:75], v[52:53]
	v_add_nc_u64_e32 v[92:93], 0x400, v[92:93]
	s_delay_alu instid0(VALU_DEP_1)
	v_dual_cndmask_b32 v93, v95, v93, s0 :: v_dual_cndmask_b32 v92, v94, v92, s0
	global_load_b64 v[92:93], v[92:93], off
	global_store_b32 v[70:71], v87, off offset:512
	s_wait_loadcnt 0x0
	global_store_b64 v[72:73], v[92:93], off offset:1024
	s_wait_xcnt 0x0
	s_or_b32 exec_lo, exec_lo, s15
	s_and_saveexec_b32 s15, s88
	s_cbranch_execz .LBB181_88
.LBB181_139:                            ;   in Loop: Header=BB181_21 Depth=1
	v_add_nc_u64_e32 v[94:95], 0x600, v[60:61]
	v_mov_b32_e32 v53, v3
	s_delay_alu instid0(VALU_DEP_1) | instskip(NEXT) | instid1(VALU_DEP_1)
	v_add_nc_u64_e32 v[92:93], v[74:75], v[52:53]
	v_add_nc_u64_e32 v[92:93], 0x500, v[92:93]
	s_delay_alu instid0(VALU_DEP_1)
	v_dual_cndmask_b32 v93, v95, v93, s0 :: v_dual_cndmask_b32 v92, v94, v92, s0
	global_load_b64 v[92:93], v[92:93], off
	global_store_b32 v[70:71], v88, off offset:640
	s_wait_loadcnt 0x0
	global_store_b64 v[72:73], v[92:93], off offset:1280
	s_wait_xcnt 0x0
	s_or_b32 exec_lo, exec_lo, s15
	s_and_saveexec_b32 s15, s89
	s_cbranch_execz .LBB181_89
.LBB181_140:                            ;   in Loop: Header=BB181_21 Depth=1
	v_mov_b32_e32 v53, v3
	s_delay_alu instid0(VALU_DEP_1) | instskip(NEXT) | instid1(VALU_DEP_1)
	v_add_nc_u64_e32 v[92:93], v[74:75], v[52:53]
	v_dual_cndmask_b32 v93, v59, v93, s0 :: v_dual_cndmask_b32 v92, v58, v92, s0
	global_load_b64 v[92:93], v[92:93], off offset:1536
	global_store_b32 v[70:71], v89, off offset:768
	s_wait_loadcnt 0x0
	global_store_b64 v[72:73], v[92:93], off offset:1536
	s_wait_xcnt 0x0
	s_or_b32 exec_lo, exec_lo, s15
	s_and_saveexec_b32 s15, s90
	s_cbranch_execnz .LBB181_90
	s_branch .LBB181_91
.LBB181_141:                            ;   in Loop: Header=BB181_21 Depth=1
	v_add_nc_u64_e32 v[54:55], 0x700, v[54:55]
	v_mov_b32_e32 v53, v3
	s_delay_alu instid0(VALU_DEP_1) | instskip(NEXT) | instid1(VALU_DEP_1)
	v_add_nc_u64_e32 v[92:93], v[74:75], v[52:53]
	v_dual_cndmask_b32 v55, v55, v93, s0 :: v_dual_cndmask_b32 v54, v54, v92, s0
	global_load_b64 v[54:55], v[54:55], off
	global_store_b32 v[70:71], v83, off
	s_wait_loadcnt 0x0
	global_store_b64 v[72:73], v[54:55], off
	s_wait_xcnt 0x0
	s_or_b32 exec_lo, exec_lo, s4
	s_and_saveexec_b32 s4, s1
	s_cbranch_execz .LBB181_93
.LBB181_142:                            ;   in Loop: Header=BB181_21 Depth=1
	v_add_nc_u64_e32 v[68:69], 0x700, v[68:69]
	v_mov_b32_e32 v53, v3
	s_delay_alu instid0(VALU_DEP_1) | instskip(NEXT) | instid1(VALU_DEP_1)
	v_add_nc_u64_e32 v[54:55], v[74:75], v[52:53]
	v_add_nc_u64_e32 v[54:55], 0x100, v[54:55]
	s_delay_alu instid0(VALU_DEP_1)
	v_dual_cndmask_b32 v55, v69, v55, s0 :: v_dual_cndmask_b32 v54, v68, v54, s0
	global_load_b64 v[54:55], v[54:55], off
	global_store_b32 v[70:71], v84, off offset:128
	s_wait_loadcnt 0x0
	global_store_b64 v[72:73], v[54:55], off offset:256
	s_wait_xcnt 0x0
	s_or_b32 exec_lo, exec_lo, s4
	s_and_saveexec_b32 s4, s10
	s_cbranch_execz .LBB181_94
.LBB181_143:                            ;   in Loop: Header=BB181_21 Depth=1
	v_add_nc_u64_e32 v[66:67], 0x700, v[66:67]
	v_mov_b32_e32 v53, v3
	s_delay_alu instid0(VALU_DEP_1) | instskip(NEXT) | instid1(VALU_DEP_1)
	v_add_nc_u64_e32 v[54:55], v[74:75], v[52:53]
	v_add_nc_u64_e32 v[54:55], 0x200, v[54:55]
	s_delay_alu instid0(VALU_DEP_1)
	v_dual_cndmask_b32 v55, v67, v55, s0 :: v_dual_cndmask_b32 v54, v66, v54, s0
	global_load_b64 v[54:55], v[54:55], off
	global_store_b32 v[70:71], v85, off offset:256
	s_wait_loadcnt 0x0
	global_store_b64 v[72:73], v[54:55], off offset:512
	s_wait_xcnt 0x0
	s_or_b32 exec_lo, exec_lo, s4
	s_and_saveexec_b32 s4, s11
	s_cbranch_execz .LBB181_95
.LBB181_144:                            ;   in Loop: Header=BB181_21 Depth=1
	v_add_nc_u64_e32 v[64:65], 0x700, v[64:65]
	v_mov_b32_e32 v53, v3
	s_delay_alu instid0(VALU_DEP_1) | instskip(NEXT) | instid1(VALU_DEP_1)
	v_add_nc_u64_e32 v[54:55], v[74:75], v[52:53]
	v_add_nc_u64_e32 v[54:55], 0x300, v[54:55]
	s_delay_alu instid0(VALU_DEP_1)
	v_dual_cndmask_b32 v55, v65, v55, s0 :: v_dual_cndmask_b32 v54, v64, v54, s0
	global_load_b64 v[54:55], v[54:55], off
	global_store_b32 v[70:71], v86, off offset:384
	s_wait_loadcnt 0x0
	global_store_b64 v[72:73], v[54:55], off offset:768
	s_wait_xcnt 0x0
	s_or_b32 exec_lo, exec_lo, s4
	s_and_saveexec_b32 s4, s12
	s_cbranch_execz .LBB181_96
.LBB181_145:                            ;   in Loop: Header=BB181_21 Depth=1
	v_add_nc_u64_e32 v[62:63], 0x700, v[62:63]
	v_mov_b32_e32 v53, v3
	s_delay_alu instid0(VALU_DEP_1) | instskip(NEXT) | instid1(VALU_DEP_1)
	v_add_nc_u64_e32 v[54:55], v[74:75], v[52:53]
	v_add_nc_u64_e32 v[54:55], 0x400, v[54:55]
	s_delay_alu instid0(VALU_DEP_1)
	v_dual_cndmask_b32 v55, v63, v55, s0 :: v_dual_cndmask_b32 v54, v62, v54, s0
	global_load_b64 v[54:55], v[54:55], off
	global_store_b32 v[70:71], v87, off offset:512
	s_wait_loadcnt 0x0
	global_store_b64 v[72:73], v[54:55], off offset:1024
	s_wait_xcnt 0x0
	s_or_b32 exec_lo, exec_lo, s4
	s_and_saveexec_b32 s4, s13
	s_cbranch_execz .LBB181_97
.LBB181_146:                            ;   in Loop: Header=BB181_21 Depth=1
	v_add_nc_u64_e32 v[60:61], 0x700, v[60:61]
	v_mov_b32_e32 v53, v3
	s_delay_alu instid0(VALU_DEP_1) | instskip(NEXT) | instid1(VALU_DEP_1)
	v_add_nc_u64_e32 v[54:55], v[74:75], v[52:53]
	v_add_nc_u64_e32 v[54:55], 0x500, v[54:55]
	s_delay_alu instid0(VALU_DEP_1)
	v_dual_cndmask_b32 v55, v61, v55, s0 :: v_dual_cndmask_b32 v54, v60, v54, s0
	global_load_b64 v[54:55], v[54:55], off
	global_store_b32 v[70:71], v88, off offset:640
	s_wait_loadcnt 0x0
	global_store_b64 v[72:73], v[54:55], off offset:1280
	s_wait_xcnt 0x0
	s_or_b32 exec_lo, exec_lo, s4
	s_and_saveexec_b32 s4, s14
	s_cbranch_execz .LBB181_98
.LBB181_147:                            ;   in Loop: Header=BB181_21 Depth=1
	v_add_nc_u64_e32 v[58:59], 0x700, v[58:59]
	v_mov_b32_e32 v53, v3
	s_delay_alu instid0(VALU_DEP_1) | instskip(NEXT) | instid1(VALU_DEP_1)
	v_add_nc_u64_e32 v[54:55], v[74:75], v[52:53]
	v_add_nc_u64_e32 v[54:55], 0x600, v[54:55]
	s_delay_alu instid0(VALU_DEP_1)
	v_dual_cndmask_b32 v55, v59, v55, s0 :: v_dual_cndmask_b32 v54, v58, v54, s0
	global_load_b64 v[54:55], v[54:55], off
	global_store_b32 v[70:71], v89, off offset:768
	s_wait_loadcnt 0x0
	global_store_b64 v[72:73], v[54:55], off offset:1536
	s_wait_xcnt 0x0
	s_or_b32 exec_lo, exec_lo, s4
	s_and_saveexec_b32 s4, s9
	s_cbranch_execz .LBB181_20
.LBB181_148:                            ;   in Loop: Header=BB181_21 Depth=1
	v_mov_b32_e32 v53, v3
	s_delay_alu instid0(VALU_DEP_1) | instskip(NEXT) | instid1(VALU_DEP_1)
	v_add_nc_u64_e32 v[52:53], v[74:75], v[52:53]
	v_dual_cndmask_b32 v53, v57, v53, s0 :: v_dual_cndmask_b32 v52, v56, v52, s0
	global_load_b64 v[52:53], v[52:53], off offset:1792
	global_store_b32 v[70:71], v90, off offset:896
	s_wait_loadcnt 0x0
	global_store_b64 v[72:73], v[52:53], off offset:1792
	s_branch .LBB181_20
.LBB181_149:
	s_sendmsg sendmsg(MSG_DEALLOC_VGPRS)
	s_endpgm
	.section	.rodata,"a",@progbits
	.p2align	6, 0x0
	.amdhsa_kernel _ZN9rocsparseL35bsr2csr_block_per_row_33_256_kernelILj1024ELj256ELj32E21rocsparse_complex_numIfEliEEv20rocsparse_direction_T4_S4_21rocsparse_index_base_PKT2_PKT3_PKS4_S4_S5_PS6_PS9_PS4_
		.amdhsa_group_segment_fixed_size 0
		.amdhsa_private_segment_fixed_size 0
		.amdhsa_kernarg_size 72
		.amdhsa_user_sgpr_count 2
		.amdhsa_user_sgpr_dispatch_ptr 0
		.amdhsa_user_sgpr_queue_ptr 0
		.amdhsa_user_sgpr_kernarg_segment_ptr 1
		.amdhsa_user_sgpr_dispatch_id 0
		.amdhsa_user_sgpr_kernarg_preload_length 0
		.amdhsa_user_sgpr_kernarg_preload_offset 0
		.amdhsa_user_sgpr_private_segment_size 0
		.amdhsa_wavefront_size32 1
		.amdhsa_uses_dynamic_stack 0
		.amdhsa_enable_private_segment 0
		.amdhsa_system_sgpr_workgroup_id_x 1
		.amdhsa_system_sgpr_workgroup_id_y 0
		.amdhsa_system_sgpr_workgroup_id_z 0
		.amdhsa_system_sgpr_workgroup_info 0
		.amdhsa_system_vgpr_workitem_id 0
		.amdhsa_next_free_vgpr 96
		.amdhsa_next_free_sgpr 93
		.amdhsa_named_barrier_count 0
		.amdhsa_reserve_vcc 1
		.amdhsa_float_round_mode_32 0
		.amdhsa_float_round_mode_16_64 0
		.amdhsa_float_denorm_mode_32 3
		.amdhsa_float_denorm_mode_16_64 3
		.amdhsa_fp16_overflow 0
		.amdhsa_memory_ordered 1
		.amdhsa_forward_progress 1
		.amdhsa_inst_pref_size 71
		.amdhsa_round_robin_scheduling 0
		.amdhsa_exception_fp_ieee_invalid_op 0
		.amdhsa_exception_fp_denorm_src 0
		.amdhsa_exception_fp_ieee_div_zero 0
		.amdhsa_exception_fp_ieee_overflow 0
		.amdhsa_exception_fp_ieee_underflow 0
		.amdhsa_exception_fp_ieee_inexact 0
		.amdhsa_exception_int_div_zero 0
	.end_amdhsa_kernel
	.section	.text._ZN9rocsparseL35bsr2csr_block_per_row_33_256_kernelILj1024ELj256ELj32E21rocsparse_complex_numIfEliEEv20rocsparse_direction_T4_S4_21rocsparse_index_base_PKT2_PKT3_PKS4_S4_S5_PS6_PS9_PS4_,"axG",@progbits,_ZN9rocsparseL35bsr2csr_block_per_row_33_256_kernelILj1024ELj256ELj32E21rocsparse_complex_numIfEliEEv20rocsparse_direction_T4_S4_21rocsparse_index_base_PKT2_PKT3_PKS4_S4_S5_PS6_PS9_PS4_,comdat
.Lfunc_end181:
	.size	_ZN9rocsparseL35bsr2csr_block_per_row_33_256_kernelILj1024ELj256ELj32E21rocsparse_complex_numIfEliEEv20rocsparse_direction_T4_S4_21rocsparse_index_base_PKT2_PKT3_PKS4_S4_S5_PS6_PS9_PS4_, .Lfunc_end181-_ZN9rocsparseL35bsr2csr_block_per_row_33_256_kernelILj1024ELj256ELj32E21rocsparse_complex_numIfEliEEv20rocsparse_direction_T4_S4_21rocsparse_index_base_PKT2_PKT3_PKS4_S4_S5_PS6_PS9_PS4_
                                        ; -- End function
	.set _ZN9rocsparseL35bsr2csr_block_per_row_33_256_kernelILj1024ELj256ELj32E21rocsparse_complex_numIfEliEEv20rocsparse_direction_T4_S4_21rocsparse_index_base_PKT2_PKT3_PKS4_S4_S5_PS6_PS9_PS4_.num_vgpr, 96
	.set _ZN9rocsparseL35bsr2csr_block_per_row_33_256_kernelILj1024ELj256ELj32E21rocsparse_complex_numIfEliEEv20rocsparse_direction_T4_S4_21rocsparse_index_base_PKT2_PKT3_PKS4_S4_S5_PS6_PS9_PS4_.num_agpr, 0
	.set _ZN9rocsparseL35bsr2csr_block_per_row_33_256_kernelILj1024ELj256ELj32E21rocsparse_complex_numIfEliEEv20rocsparse_direction_T4_S4_21rocsparse_index_base_PKT2_PKT3_PKS4_S4_S5_PS6_PS9_PS4_.numbered_sgpr, 93
	.set _ZN9rocsparseL35bsr2csr_block_per_row_33_256_kernelILj1024ELj256ELj32E21rocsparse_complex_numIfEliEEv20rocsparse_direction_T4_S4_21rocsparse_index_base_PKT2_PKT3_PKS4_S4_S5_PS6_PS9_PS4_.num_named_barrier, 0
	.set _ZN9rocsparseL35bsr2csr_block_per_row_33_256_kernelILj1024ELj256ELj32E21rocsparse_complex_numIfEliEEv20rocsparse_direction_T4_S4_21rocsparse_index_base_PKT2_PKT3_PKS4_S4_S5_PS6_PS9_PS4_.private_seg_size, 0
	.set _ZN9rocsparseL35bsr2csr_block_per_row_33_256_kernelILj1024ELj256ELj32E21rocsparse_complex_numIfEliEEv20rocsparse_direction_T4_S4_21rocsparse_index_base_PKT2_PKT3_PKS4_S4_S5_PS6_PS9_PS4_.uses_vcc, 1
	.set _ZN9rocsparseL35bsr2csr_block_per_row_33_256_kernelILj1024ELj256ELj32E21rocsparse_complex_numIfEliEEv20rocsparse_direction_T4_S4_21rocsparse_index_base_PKT2_PKT3_PKS4_S4_S5_PS6_PS9_PS4_.uses_flat_scratch, 0
	.set _ZN9rocsparseL35bsr2csr_block_per_row_33_256_kernelILj1024ELj256ELj32E21rocsparse_complex_numIfEliEEv20rocsparse_direction_T4_S4_21rocsparse_index_base_PKT2_PKT3_PKS4_S4_S5_PS6_PS9_PS4_.has_dyn_sized_stack, 0
	.set _ZN9rocsparseL35bsr2csr_block_per_row_33_256_kernelILj1024ELj256ELj32E21rocsparse_complex_numIfEliEEv20rocsparse_direction_T4_S4_21rocsparse_index_base_PKT2_PKT3_PKS4_S4_S5_PS6_PS9_PS4_.has_recursion, 0
	.set _ZN9rocsparseL35bsr2csr_block_per_row_33_256_kernelILj1024ELj256ELj32E21rocsparse_complex_numIfEliEEv20rocsparse_direction_T4_S4_21rocsparse_index_base_PKT2_PKT3_PKS4_S4_S5_PS6_PS9_PS4_.has_indirect_call, 0
	.section	.AMDGPU.csdata,"",@progbits
; Kernel info:
; codeLenInByte = 9012
; TotalNumSgprs: 95
; NumVgprs: 96
; ScratchSize: 0
; MemoryBound: 0
; FloatMode: 240
; IeeeMode: 1
; LDSByteSize: 0 bytes/workgroup (compile time only)
; SGPRBlocks: 0
; VGPRBlocks: 5
; NumSGPRsForWavesPerEU: 95
; NumVGPRsForWavesPerEU: 96
; NamedBarCnt: 0
; Occupancy: 10
; WaveLimiterHint : 1
; COMPUTE_PGM_RSRC2:SCRATCH_EN: 0
; COMPUTE_PGM_RSRC2:USER_SGPR: 2
; COMPUTE_PGM_RSRC2:TRAP_HANDLER: 0
; COMPUTE_PGM_RSRC2:TGID_X_EN: 1
; COMPUTE_PGM_RSRC2:TGID_Y_EN: 0
; COMPUTE_PGM_RSRC2:TGID_Z_EN: 0
; COMPUTE_PGM_RSRC2:TIDIG_COMP_CNT: 0
	.section	.text._ZN9rocsparseL35bsr2csr_block_dim_equals_one_kernelILj1024E21rocsparse_complex_numIfEilEEvT2_S3_21rocsparse_index_base_PKT0_PKT1_PKS3_S4_PS5_PS8_PS3_,"axG",@progbits,_ZN9rocsparseL35bsr2csr_block_dim_equals_one_kernelILj1024E21rocsparse_complex_numIfEilEEvT2_S3_21rocsparse_index_base_PKT0_PKT1_PKS3_S4_PS5_PS8_PS3_,comdat
	.globl	_ZN9rocsparseL35bsr2csr_block_dim_equals_one_kernelILj1024E21rocsparse_complex_numIfEilEEvT2_S3_21rocsparse_index_base_PKT0_PKT1_PKS3_S4_PS5_PS8_PS3_ ; -- Begin function _ZN9rocsparseL35bsr2csr_block_dim_equals_one_kernelILj1024E21rocsparse_complex_numIfEilEEvT2_S3_21rocsparse_index_base_PKT0_PKT1_PKS3_S4_PS5_PS8_PS3_
	.p2align	8
	.type	_ZN9rocsparseL35bsr2csr_block_dim_equals_one_kernelILj1024E21rocsparse_complex_numIfEilEEvT2_S3_21rocsparse_index_base_PKT0_PKT1_PKS3_S4_PS5_PS8_PS3_,@function
_ZN9rocsparseL35bsr2csr_block_dim_equals_one_kernelILj1024E21rocsparse_complex_numIfEilEEvT2_S3_21rocsparse_index_base_PKT0_PKT1_PKS3_S4_PS5_PS8_PS3_: ; @_ZN9rocsparseL35bsr2csr_block_dim_equals_one_kernelILj1024E21rocsparse_complex_numIfEilEEvT2_S3_21rocsparse_index_base_PKT0_PKT1_PKS3_S4_PS5_PS8_PS3_
; %bb.0:
	s_clause 0x3
	s_load_b32 s2, s[0:1], 0x10
	s_load_b64 s[8:9], s[0:1], 0x20
	s_load_b32 s4, s[0:1], 0x30
	s_load_b64 s[6:7], s[0:1], 0x0
	s_bfe_u32 s3, ttmp6, 0x4000c
	s_and_b32 s5, ttmp6, 15
	s_add_co_i32 s3, s3, 1
	s_getreg_b32 s10, hwreg(HW_REG_IB_STS2, 6, 4)
	s_mul_i32 s3, ttmp9, s3
	v_mov_b32_e32 v1, 0
	s_add_co_i32 s5, s5, s3
	s_cmp_eq_u32 s10, 0
	s_cselect_b32 s3, ttmp9, s5
	s_delay_alu instid0(SALU_CYCLE_1) | instskip(SKIP_2) | instid1(VALU_DEP_1)
	v_lshl_or_b32 v0, s3, 10, v0
	s_mov_b32 s3, exec_lo
	s_wait_kmcnt 0x0
	v_cmpx_gt_i64_e64 s[6:7], v[0:1]
	s_cbranch_execz .LBB182_6
; %bb.1:
	s_mov_b32 s5, exec_lo
                                        ; implicit-def: $sgpr12
	v_cmpx_ne_u32_e32 0, v0
	s_xor_b32 s5, exec_lo, s5
; %bb.2:
	s_sub_co_i32 s12, s4, s2
; %bb.3:
	s_or_saveexec_b32 s5, s5
	s_load_b64 s[10:11], s[0:1], 0x40
	v_mov_b32_e32 v2, s12
	s_xor_b32 exec_lo, exec_lo, s5
	s_cbranch_execz .LBB182_5
; %bb.4:
	s_load_b32 s12, s[8:9], 0x0
	s_sub_co_i32 s13, s4, s2
	s_delay_alu instid0(SALU_CYCLE_1) | instskip(SKIP_2) | instid1(SALU_CYCLE_1)
	v_mov_b32_e32 v2, s13
	s_wait_kmcnt 0x0
	s_add_co_i32 s12, s13, s12
	v_dual_mov_b32 v3, 0 :: v_dual_mov_b32 v4, s12
	global_store_b32 v3, v4, s[10:11]
.LBB182_5:
	s_wait_xcnt 0x0
	s_or_b32 exec_lo, exec_lo, s5
	v_lshlrev_b64_e32 v[4:5], 2, v[0:1]
	s_delay_alu instid0(VALU_DEP_1)
	v_add_nc_u64_e32 v[6:7], s[8:9], v[4:5]
	s_wait_kmcnt 0x0
	v_add_nc_u64_e32 v[4:5], s[10:11], v[4:5]
	global_load_b32 v3, v[6:7], off offset:4
	s_wait_loadcnt 0x0
	v_add_nc_u32_e32 v2, v2, v3
	global_store_b32 v[4:5], v2, off offset:4
.LBB182_6:
	s_wait_xcnt 0x0
	s_or_b32 exec_lo, exec_lo, s3
	s_lshl_b64 s[6:7], s[6:7], 2
	s_clause 0x3
	s_load_b64 s[10:11], s[0:1], 0x48
	s_load_b64 s[12:13], s[0:1], 0x18
	;; [unrolled: 1-line block ×4, first 2 shown]
	s_add_nc_u64 s[6:7], s[8:9], s[6:7]
	s_clause 0x1
	s_load_b32 s3, s[6:7], 0x0
	s_load_b32 s5, s[8:9], 0x0
	s_wait_kmcnt 0x0
	s_sub_co_i32 s6, s3, s5
	s_mov_b32 s3, exec_lo
	s_ashr_i32 s7, s6, 31
	s_delay_alu instid0(SALU_CYCLE_1)
	v_cmpx_gt_i64_e64 s[6:7], v[0:1]
	s_cbranch_execz .LBB182_9
; %bb.7:
	s_load_b32 s8, s[0:1], 0x50
	s_mov_b32 s3, 0
	v_lshlrev_b64_e32 v[2:3], 3, v[0:1]
	s_mov_b32 s5, s3
	s_wait_xcnt 0x0
	s_sub_nc_u64 s[0:1], s[4:5], s[2:3]
	s_wait_kmcnt 0x0
	s_lshl_b32 s2, s8, 10
	s_mov_b32 s8, s3
	s_lshl_b64 s[4:5], s[2:3], 3
.LBB182_8:                              ; =>This Inner Loop Header: Depth=1
	v_add_nc_u64_e32 v[4:5], s[14:15], v[2:3]
	v_add_nc_u64_e32 v[6:7], s[12:13], v[2:3]
	;; [unrolled: 1-line block ×3, first 2 shown]
	global_load_b64 v[8:9], v[4:5], off
	global_load_b64 v[10:11], v[6:7], off
	s_wait_xcnt 0x1
	v_add_nc_u64_e32 v[4:5], s[10:11], v[2:3]
	v_cmp_le_i64_e32 vcc_lo, s[6:7], v[0:1]
	s_wait_xcnt 0x0
	v_add_nc_u64_e32 v[6:7], s[16:17], v[2:3]
	v_add_nc_u64_e32 v[2:3], s[4:5], v[2:3]
	s_or_b32 s8, vcc_lo, s8
	s_wait_loadcnt 0x1
	v_add_nc_u64_e32 v[8:9], s[0:1], v[8:9]
	s_wait_loadcnt 0x0
	global_store_b64 v[6:7], v[10:11], off
	global_store_b64 v[4:5], v[8:9], off
	s_wait_xcnt 0x0
	s_and_not1_b32 exec_lo, exec_lo, s8
	s_cbranch_execnz .LBB182_8
.LBB182_9:
	s_endpgm
	.section	.rodata,"a",@progbits
	.p2align	6, 0x0
	.amdhsa_kernel _ZN9rocsparseL35bsr2csr_block_dim_equals_one_kernelILj1024E21rocsparse_complex_numIfEilEEvT2_S3_21rocsparse_index_base_PKT0_PKT1_PKS3_S4_PS5_PS8_PS3_
		.amdhsa_group_segment_fixed_size 0
		.amdhsa_private_segment_fixed_size 0
		.amdhsa_kernarg_size 336
		.amdhsa_user_sgpr_count 2
		.amdhsa_user_sgpr_dispatch_ptr 0
		.amdhsa_user_sgpr_queue_ptr 0
		.amdhsa_user_sgpr_kernarg_segment_ptr 1
		.amdhsa_user_sgpr_dispatch_id 0
		.amdhsa_user_sgpr_kernarg_preload_length 0
		.amdhsa_user_sgpr_kernarg_preload_offset 0
		.amdhsa_user_sgpr_private_segment_size 0
		.amdhsa_wavefront_size32 1
		.amdhsa_uses_dynamic_stack 0
		.amdhsa_enable_private_segment 0
		.amdhsa_system_sgpr_workgroup_id_x 1
		.amdhsa_system_sgpr_workgroup_id_y 0
		.amdhsa_system_sgpr_workgroup_id_z 0
		.amdhsa_system_sgpr_workgroup_info 0
		.amdhsa_system_vgpr_workitem_id 0
		.amdhsa_next_free_vgpr 12
		.amdhsa_next_free_sgpr 18
		.amdhsa_named_barrier_count 0
		.amdhsa_reserve_vcc 1
		.amdhsa_float_round_mode_32 0
		.amdhsa_float_round_mode_16_64 0
		.amdhsa_float_denorm_mode_32 3
		.amdhsa_float_denorm_mode_16_64 3
		.amdhsa_fp16_overflow 0
		.amdhsa_memory_ordered 1
		.amdhsa_forward_progress 1
		.amdhsa_inst_pref_size 5
		.amdhsa_round_robin_scheduling 0
		.amdhsa_exception_fp_ieee_invalid_op 0
		.amdhsa_exception_fp_denorm_src 0
		.amdhsa_exception_fp_ieee_div_zero 0
		.amdhsa_exception_fp_ieee_overflow 0
		.amdhsa_exception_fp_ieee_underflow 0
		.amdhsa_exception_fp_ieee_inexact 0
		.amdhsa_exception_int_div_zero 0
	.end_amdhsa_kernel
	.section	.text._ZN9rocsparseL35bsr2csr_block_dim_equals_one_kernelILj1024E21rocsparse_complex_numIfEilEEvT2_S3_21rocsparse_index_base_PKT0_PKT1_PKS3_S4_PS5_PS8_PS3_,"axG",@progbits,_ZN9rocsparseL35bsr2csr_block_dim_equals_one_kernelILj1024E21rocsparse_complex_numIfEilEEvT2_S3_21rocsparse_index_base_PKT0_PKT1_PKS3_S4_PS5_PS8_PS3_,comdat
.Lfunc_end182:
	.size	_ZN9rocsparseL35bsr2csr_block_dim_equals_one_kernelILj1024E21rocsparse_complex_numIfEilEEvT2_S3_21rocsparse_index_base_PKT0_PKT1_PKS3_S4_PS5_PS8_PS3_, .Lfunc_end182-_ZN9rocsparseL35bsr2csr_block_dim_equals_one_kernelILj1024E21rocsparse_complex_numIfEilEEvT2_S3_21rocsparse_index_base_PKT0_PKT1_PKS3_S4_PS5_PS8_PS3_
                                        ; -- End function
	.set _ZN9rocsparseL35bsr2csr_block_dim_equals_one_kernelILj1024E21rocsparse_complex_numIfEilEEvT2_S3_21rocsparse_index_base_PKT0_PKT1_PKS3_S4_PS5_PS8_PS3_.num_vgpr, 12
	.set _ZN9rocsparseL35bsr2csr_block_dim_equals_one_kernelILj1024E21rocsparse_complex_numIfEilEEvT2_S3_21rocsparse_index_base_PKT0_PKT1_PKS3_S4_PS5_PS8_PS3_.num_agpr, 0
	.set _ZN9rocsparseL35bsr2csr_block_dim_equals_one_kernelILj1024E21rocsparse_complex_numIfEilEEvT2_S3_21rocsparse_index_base_PKT0_PKT1_PKS3_S4_PS5_PS8_PS3_.numbered_sgpr, 18
	.set _ZN9rocsparseL35bsr2csr_block_dim_equals_one_kernelILj1024E21rocsparse_complex_numIfEilEEvT2_S3_21rocsparse_index_base_PKT0_PKT1_PKS3_S4_PS5_PS8_PS3_.num_named_barrier, 0
	.set _ZN9rocsparseL35bsr2csr_block_dim_equals_one_kernelILj1024E21rocsparse_complex_numIfEilEEvT2_S3_21rocsparse_index_base_PKT0_PKT1_PKS3_S4_PS5_PS8_PS3_.private_seg_size, 0
	.set _ZN9rocsparseL35bsr2csr_block_dim_equals_one_kernelILj1024E21rocsparse_complex_numIfEilEEvT2_S3_21rocsparse_index_base_PKT0_PKT1_PKS3_S4_PS5_PS8_PS3_.uses_vcc, 1
	.set _ZN9rocsparseL35bsr2csr_block_dim_equals_one_kernelILj1024E21rocsparse_complex_numIfEilEEvT2_S3_21rocsparse_index_base_PKT0_PKT1_PKS3_S4_PS5_PS8_PS3_.uses_flat_scratch, 0
	.set _ZN9rocsparseL35bsr2csr_block_dim_equals_one_kernelILj1024E21rocsparse_complex_numIfEilEEvT2_S3_21rocsparse_index_base_PKT0_PKT1_PKS3_S4_PS5_PS8_PS3_.has_dyn_sized_stack, 0
	.set _ZN9rocsparseL35bsr2csr_block_dim_equals_one_kernelILj1024E21rocsparse_complex_numIfEilEEvT2_S3_21rocsparse_index_base_PKT0_PKT1_PKS3_S4_PS5_PS8_PS3_.has_recursion, 0
	.set _ZN9rocsparseL35bsr2csr_block_dim_equals_one_kernelILj1024E21rocsparse_complex_numIfEilEEvT2_S3_21rocsparse_index_base_PKT0_PKT1_PKS3_S4_PS5_PS8_PS3_.has_indirect_call, 0
	.section	.AMDGPU.csdata,"",@progbits
; Kernel info:
; codeLenInByte = 520
; TotalNumSgprs: 20
; NumVgprs: 12
; ScratchSize: 0
; MemoryBound: 0
; FloatMode: 240
; IeeeMode: 1
; LDSByteSize: 0 bytes/workgroup (compile time only)
; SGPRBlocks: 0
; VGPRBlocks: 0
; NumSGPRsForWavesPerEU: 20
; NumVGPRsForWavesPerEU: 12
; NamedBarCnt: 0
; Occupancy: 16
; WaveLimiterHint : 0
; COMPUTE_PGM_RSRC2:SCRATCH_EN: 0
; COMPUTE_PGM_RSRC2:USER_SGPR: 2
; COMPUTE_PGM_RSRC2:TRAP_HANDLER: 0
; COMPUTE_PGM_RSRC2:TGID_X_EN: 1
; COMPUTE_PGM_RSRC2:TGID_Y_EN: 0
; COMPUTE_PGM_RSRC2:TGID_Z_EN: 0
; COMPUTE_PGM_RSRC2:TIDIG_COMP_CNT: 0
	.section	.text._ZN9rocsparseL32bsr2csr_block_per_row_2_7_kernelILj256ELj2E21rocsparse_complex_numIfEilEEv20rocsparse_direction_T3_S4_21rocsparse_index_base_PKT1_PKT2_PKS4_S4_S5_PS6_PS9_PS4_,"axG",@progbits,_ZN9rocsparseL32bsr2csr_block_per_row_2_7_kernelILj256ELj2E21rocsparse_complex_numIfEilEEv20rocsparse_direction_T3_S4_21rocsparse_index_base_PKT1_PKT2_PKS4_S4_S5_PS6_PS9_PS4_,comdat
	.globl	_ZN9rocsparseL32bsr2csr_block_per_row_2_7_kernelILj256ELj2E21rocsparse_complex_numIfEilEEv20rocsparse_direction_T3_S4_21rocsparse_index_base_PKT1_PKT2_PKS4_S4_S5_PS6_PS9_PS4_ ; -- Begin function _ZN9rocsparseL32bsr2csr_block_per_row_2_7_kernelILj256ELj2E21rocsparse_complex_numIfEilEEv20rocsparse_direction_T3_S4_21rocsparse_index_base_PKT1_PKT2_PKS4_S4_S5_PS6_PS9_PS4_
	.p2align	8
	.type	_ZN9rocsparseL32bsr2csr_block_per_row_2_7_kernelILj256ELj2E21rocsparse_complex_numIfEilEEv20rocsparse_direction_T3_S4_21rocsparse_index_base_PKT1_PKT2_PKS4_S4_S5_PS6_PS9_PS4_,@function
_ZN9rocsparseL32bsr2csr_block_per_row_2_7_kernelILj256ELj2E21rocsparse_complex_numIfEilEEv20rocsparse_direction_T3_S4_21rocsparse_index_base_PKT1_PKT2_PKS4_S4_S5_PS6_PS9_PS4_: ; @_ZN9rocsparseL32bsr2csr_block_per_row_2_7_kernelILj256ELj2E21rocsparse_complex_numIfEilEEv20rocsparse_direction_T3_S4_21rocsparse_index_base_PKT1_PKT2_PKS4_S4_S5_PS6_PS9_PS4_
; %bb.0:
	s_load_b64 s[4:5], s[0:1], 0x28
	s_bfe_u32 s2, ttmp6, 0x4000c
	s_and_b32 s3, ttmp6, 15
	s_add_co_i32 s2, s2, 1
	s_getreg_b32 s6, hwreg(HW_REG_IB_STS2, 6, 4)
	s_mul_i32 s2, ttmp9, s2
	s_mov_b32 s7, 0
	s_add_co_i32 s3, s3, s2
	s_cmp_eq_u32 s6, 0
	s_clause 0x1
	s_load_b32 s2, s[0:1], 0x40
	s_load_b64 s[8:9], s[0:1], 0x50
	s_cselect_b32 s6, ttmp9, s3
	s_mov_b32 s3, exec_lo
	s_lshl_b64 s[10:11], s[6:7], 2
	v_or_b32_e32 v1, s6, v0
	s_wait_kmcnt 0x0
	s_add_nc_u64 s[4:5], s[4:5], s[10:11]
	s_load_b64 s[14:15], s[4:5], 0x0
	s_delay_alu instid0(VALU_DEP_1)
	v_cmpx_eq_u32_e32 0, v1
	s_cbranch_execz .LBB183_2
; %bb.1:
	v_dual_mov_b32 v1, 0 :: v_dual_mov_b32 v2, s2
	global_store_b32 v1, v2, s[8:9]
.LBB183_2:
	s_wait_xcnt 0x0
	s_or_b32 exec_lo, exec_lo, s3
	s_load_b32 s4, s[0:1], 0x18
	v_dual_lshrrev_b32 v0, 1, v0 :: v_dual_bitop2_b32 v8, 1, v0 bitop3:0x40
	s_lshl_b64 s[6:7], s[6:7], 3
	s_delay_alu instid0(SALU_CYCLE_1)
	s_add_nc_u64 s[6:7], s[8:9], s[6:7]
	s_wait_kmcnt 0x0
	s_sub_co_i32 s3, s14, s4
	s_sub_co_i32 s15, s15, s4
	s_lshl_b32 s10, s3, 2
	s_sub_co_i32 s5, s15, s3
	v_add_nc_u32_e32 v9, s3, v0
	s_lshl_b32 s5, s5, 1
	s_mov_b32 s3, exec_lo
	v_mul_lo_u32 v2, s5, v8
	s_add_co_i32 s5, s5, s2
	s_delay_alu instid0(VALU_DEP_1) | instid1(SALU_CYCLE_1)
	v_add3_u32 v1, s5, s10, v2
	global_store_b32 v8, v1, s[6:7] offset:4 scale_offset
	s_wait_xcnt 0x0
	v_cmpx_gt_i32_e64 s15, v9
	s_cbranch_execz .LBB183_5
; %bb.3:
	s_clause 0x4
	s_load_b64 s[6:7], s[0:1], 0x30
	s_load_b64 s[8:9], s[0:1], 0x48
	s_load_b32 s3, s[0:1], 0x0
	s_load_b64 s[10:11], s[0:1], 0x20
	s_load_b64 s[12:13], s[0:1], 0x58
	v_dual_lshlrev_b32 v3, 1, v0 :: v_dual_mov_b32 v1, 0
	v_dual_lshlrev_b32 v0, 4, v8 :: v_dual_lshlrev_b32 v6, 2, v9
	s_mov_b32 s5, 0
	s_wait_xcnt 0x0
	s_mov_b32 s1, s5
	s_wait_kmcnt 0x0
	s_cmp_eq_u32 s3, 0
	s_mov_b32 s3, s5
	s_cselect_b32 vcc_lo, -1, 0
	s_lshl_b32 s0, s14, 2
	s_delay_alu instid0(SALU_CYCLE_1) | instskip(SKIP_2) | instid1(VALU_DEP_2)
	v_add3_u32 v4, v2, s0, v3
	s_lshl_b32 s0, s4, 2
	v_add_nc_u64_e32 v[2:3], s[10:11], v[0:1]
	v_subrev_nc_u32_e32 v4, s0, v4
.LBB183_4:                              ; =>This Inner Loop Header: Depth=1
	v_dual_mov_b32 v7, v1 :: v_dual_add_nc_u32 v0, v8, v6
	global_load_b64 v[14:15], v9, s[6:7] scale_offset
	v_ashrrev_i32_e32 v5, 31, v4
	s_wait_xcnt 0x0
	v_add_nc_u32_e32 v9, 0x80, v9
	v_lshl_add_u64 v[10:11], v[6:7], 3, v[2:3]
	v_lshl_add_u64 v[12:13], v[0:1], 3, s[10:11]
	v_add_nc_u32_e32 v6, 0x200, v6
	s_delay_alu instid0(VALU_DEP_4) | instskip(NEXT) | instid1(VALU_DEP_4)
	v_cmp_le_i32_e64 s0, s15, v9
	v_add_nc_u64_e32 v[16:17], 8, v[10:11]
	s_delay_alu instid0(VALU_DEP_4) | instskip(SKIP_2) | instid1(VALU_DEP_2)
	v_add_nc_u64_e32 v[18:19], 16, v[12:13]
	v_dual_cndmask_b32 v21, v13, v11 :: v_dual_cndmask_b32 v20, v12, v10
	s_or_b32 s1, s0, s1
	v_dual_cndmask_b32 v17, v19, v17 :: v_dual_cndmask_b32 v16, v18, v16
	global_load_b64 v[10:11], v[20:21], off
	global_load_b64 v[12:13], v[16:17], off
	s_wait_xcnt 0x0
	v_lshlrev_b64_e32 v[16:17], 3, v[4:5]
	v_add_nc_u32_e32 v4, 0x100, v4
	s_delay_alu instid0(VALU_DEP_2) | instskip(SKIP_3) | instid1(VALU_DEP_1)
	v_add_nc_u64_e32 v[18:19], s[12:13], v[16:17]
	v_add_nc_u64_e32 v[20:21], s[8:9], v[16:17]
	s_wait_loadcnt 0x2
	v_sub_nc_u64_e64 v[14:15], v[14:15], s[4:5]
	v_lshl_add_u64 v[14:15], v[14:15], 1, s[2:3]
	s_delay_alu instid0(VALU_DEP_1)
	v_add_nc_u64_e32 v[16:17], 1, v[14:15]
	global_store_b128 v[18:19], v[14:17], off
	s_wait_loadcnt 0x0
	global_store_b128 v[20:21], v[10:13], off
	s_wait_xcnt 0x0
	s_and_not1_b32 exec_lo, exec_lo, s1
	s_cbranch_execnz .LBB183_4
.LBB183_5:
	s_endpgm
	.section	.rodata,"a",@progbits
	.p2align	6, 0x0
	.amdhsa_kernel _ZN9rocsparseL32bsr2csr_block_per_row_2_7_kernelILj256ELj2E21rocsparse_complex_numIfEilEEv20rocsparse_direction_T3_S4_21rocsparse_index_base_PKT1_PKT2_PKS4_S4_S5_PS6_PS9_PS4_
		.amdhsa_group_segment_fixed_size 0
		.amdhsa_private_segment_fixed_size 0
		.amdhsa_kernarg_size 96
		.amdhsa_user_sgpr_count 2
		.amdhsa_user_sgpr_dispatch_ptr 0
		.amdhsa_user_sgpr_queue_ptr 0
		.amdhsa_user_sgpr_kernarg_segment_ptr 1
		.amdhsa_user_sgpr_dispatch_id 0
		.amdhsa_user_sgpr_kernarg_preload_length 0
		.amdhsa_user_sgpr_kernarg_preload_offset 0
		.amdhsa_user_sgpr_private_segment_size 0
		.amdhsa_wavefront_size32 1
		.amdhsa_uses_dynamic_stack 0
		.amdhsa_enable_private_segment 0
		.amdhsa_system_sgpr_workgroup_id_x 1
		.amdhsa_system_sgpr_workgroup_id_y 0
		.amdhsa_system_sgpr_workgroup_id_z 0
		.amdhsa_system_sgpr_workgroup_info 0
		.amdhsa_system_vgpr_workitem_id 0
		.amdhsa_next_free_vgpr 22
		.amdhsa_next_free_sgpr 16
		.amdhsa_named_barrier_count 0
		.amdhsa_reserve_vcc 1
		.amdhsa_float_round_mode_32 0
		.amdhsa_float_round_mode_16_64 0
		.amdhsa_float_denorm_mode_32 3
		.amdhsa_float_denorm_mode_16_64 3
		.amdhsa_fp16_overflow 0
		.amdhsa_memory_ordered 1
		.amdhsa_forward_progress 1
		.amdhsa_inst_pref_size 5
		.amdhsa_round_robin_scheduling 0
		.amdhsa_exception_fp_ieee_invalid_op 0
		.amdhsa_exception_fp_denorm_src 0
		.amdhsa_exception_fp_ieee_div_zero 0
		.amdhsa_exception_fp_ieee_overflow 0
		.amdhsa_exception_fp_ieee_underflow 0
		.amdhsa_exception_fp_ieee_inexact 0
		.amdhsa_exception_int_div_zero 0
	.end_amdhsa_kernel
	.section	.text._ZN9rocsparseL32bsr2csr_block_per_row_2_7_kernelILj256ELj2E21rocsparse_complex_numIfEilEEv20rocsparse_direction_T3_S4_21rocsparse_index_base_PKT1_PKT2_PKS4_S4_S5_PS6_PS9_PS4_,"axG",@progbits,_ZN9rocsparseL32bsr2csr_block_per_row_2_7_kernelILj256ELj2E21rocsparse_complex_numIfEilEEv20rocsparse_direction_T3_S4_21rocsparse_index_base_PKT1_PKT2_PKS4_S4_S5_PS6_PS9_PS4_,comdat
.Lfunc_end183:
	.size	_ZN9rocsparseL32bsr2csr_block_per_row_2_7_kernelILj256ELj2E21rocsparse_complex_numIfEilEEv20rocsparse_direction_T3_S4_21rocsparse_index_base_PKT1_PKT2_PKS4_S4_S5_PS6_PS9_PS4_, .Lfunc_end183-_ZN9rocsparseL32bsr2csr_block_per_row_2_7_kernelILj256ELj2E21rocsparse_complex_numIfEilEEv20rocsparse_direction_T3_S4_21rocsparse_index_base_PKT1_PKT2_PKS4_S4_S5_PS6_PS9_PS4_
                                        ; -- End function
	.set _ZN9rocsparseL32bsr2csr_block_per_row_2_7_kernelILj256ELj2E21rocsparse_complex_numIfEilEEv20rocsparse_direction_T3_S4_21rocsparse_index_base_PKT1_PKT2_PKS4_S4_S5_PS6_PS9_PS4_.num_vgpr, 22
	.set _ZN9rocsparseL32bsr2csr_block_per_row_2_7_kernelILj256ELj2E21rocsparse_complex_numIfEilEEv20rocsparse_direction_T3_S4_21rocsparse_index_base_PKT1_PKT2_PKS4_S4_S5_PS6_PS9_PS4_.num_agpr, 0
	.set _ZN9rocsparseL32bsr2csr_block_per_row_2_7_kernelILj256ELj2E21rocsparse_complex_numIfEilEEv20rocsparse_direction_T3_S4_21rocsparse_index_base_PKT1_PKT2_PKS4_S4_S5_PS6_PS9_PS4_.numbered_sgpr, 16
	.set _ZN9rocsparseL32bsr2csr_block_per_row_2_7_kernelILj256ELj2E21rocsparse_complex_numIfEilEEv20rocsparse_direction_T3_S4_21rocsparse_index_base_PKT1_PKT2_PKS4_S4_S5_PS6_PS9_PS4_.num_named_barrier, 0
	.set _ZN9rocsparseL32bsr2csr_block_per_row_2_7_kernelILj256ELj2E21rocsparse_complex_numIfEilEEv20rocsparse_direction_T3_S4_21rocsparse_index_base_PKT1_PKT2_PKS4_S4_S5_PS6_PS9_PS4_.private_seg_size, 0
	.set _ZN9rocsparseL32bsr2csr_block_per_row_2_7_kernelILj256ELj2E21rocsparse_complex_numIfEilEEv20rocsparse_direction_T3_S4_21rocsparse_index_base_PKT1_PKT2_PKS4_S4_S5_PS6_PS9_PS4_.uses_vcc, 1
	.set _ZN9rocsparseL32bsr2csr_block_per_row_2_7_kernelILj256ELj2E21rocsparse_complex_numIfEilEEv20rocsparse_direction_T3_S4_21rocsparse_index_base_PKT1_PKT2_PKS4_S4_S5_PS6_PS9_PS4_.uses_flat_scratch, 0
	.set _ZN9rocsparseL32bsr2csr_block_per_row_2_7_kernelILj256ELj2E21rocsparse_complex_numIfEilEEv20rocsparse_direction_T3_S4_21rocsparse_index_base_PKT1_PKT2_PKS4_S4_S5_PS6_PS9_PS4_.has_dyn_sized_stack, 0
	.set _ZN9rocsparseL32bsr2csr_block_per_row_2_7_kernelILj256ELj2E21rocsparse_complex_numIfEilEEv20rocsparse_direction_T3_S4_21rocsparse_index_base_PKT1_PKT2_PKS4_S4_S5_PS6_PS9_PS4_.has_recursion, 0
	.set _ZN9rocsparseL32bsr2csr_block_per_row_2_7_kernelILj256ELj2E21rocsparse_complex_numIfEilEEv20rocsparse_direction_T3_S4_21rocsparse_index_base_PKT1_PKT2_PKS4_S4_S5_PS6_PS9_PS4_.has_indirect_call, 0
	.section	.AMDGPU.csdata,"",@progbits
; Kernel info:
; codeLenInByte = 604
; TotalNumSgprs: 18
; NumVgprs: 22
; ScratchSize: 0
; MemoryBound: 0
; FloatMode: 240
; IeeeMode: 1
; LDSByteSize: 0 bytes/workgroup (compile time only)
; SGPRBlocks: 0
; VGPRBlocks: 1
; NumSGPRsForWavesPerEU: 18
; NumVGPRsForWavesPerEU: 22
; NamedBarCnt: 0
; Occupancy: 16
; WaveLimiterHint : 0
; COMPUTE_PGM_RSRC2:SCRATCH_EN: 0
; COMPUTE_PGM_RSRC2:USER_SGPR: 2
; COMPUTE_PGM_RSRC2:TRAP_HANDLER: 0
; COMPUTE_PGM_RSRC2:TGID_X_EN: 1
; COMPUTE_PGM_RSRC2:TGID_Y_EN: 0
; COMPUTE_PGM_RSRC2:TGID_Z_EN: 0
; COMPUTE_PGM_RSRC2:TIDIG_COMP_CNT: 0
	.section	.text._ZN9rocsparseL32bsr2csr_block_per_row_2_7_kernelILj256ELj3E21rocsparse_complex_numIfEilEEv20rocsparse_direction_T3_S4_21rocsparse_index_base_PKT1_PKT2_PKS4_S4_S5_PS6_PS9_PS4_,"axG",@progbits,_ZN9rocsparseL32bsr2csr_block_per_row_2_7_kernelILj256ELj3E21rocsparse_complex_numIfEilEEv20rocsparse_direction_T3_S4_21rocsparse_index_base_PKT1_PKT2_PKS4_S4_S5_PS6_PS9_PS4_,comdat
	.globl	_ZN9rocsparseL32bsr2csr_block_per_row_2_7_kernelILj256ELj3E21rocsparse_complex_numIfEilEEv20rocsparse_direction_T3_S4_21rocsparse_index_base_PKT1_PKT2_PKS4_S4_S5_PS6_PS9_PS4_ ; -- Begin function _ZN9rocsparseL32bsr2csr_block_per_row_2_7_kernelILj256ELj3E21rocsparse_complex_numIfEilEEv20rocsparse_direction_T3_S4_21rocsparse_index_base_PKT1_PKT2_PKS4_S4_S5_PS6_PS9_PS4_
	.p2align	8
	.type	_ZN9rocsparseL32bsr2csr_block_per_row_2_7_kernelILj256ELj3E21rocsparse_complex_numIfEilEEv20rocsparse_direction_T3_S4_21rocsparse_index_base_PKT1_PKT2_PKS4_S4_S5_PS6_PS9_PS4_,@function
_ZN9rocsparseL32bsr2csr_block_per_row_2_7_kernelILj256ELj3E21rocsparse_complex_numIfEilEEv20rocsparse_direction_T3_S4_21rocsparse_index_base_PKT1_PKT2_PKS4_S4_S5_PS6_PS9_PS4_: ; @_ZN9rocsparseL32bsr2csr_block_per_row_2_7_kernelILj256ELj3E21rocsparse_complex_numIfEilEEv20rocsparse_direction_T3_S4_21rocsparse_index_base_PKT1_PKT2_PKS4_S4_S5_PS6_PS9_PS4_
; %bb.0:
	s_clause 0x1
	s_load_b32 s2, s[0:1], 0x40
	s_load_b64 s[6:7], s[0:1], 0x50
	s_bfe_u32 s3, ttmp6, 0x4000c
	s_and_b32 s4, ttmp6, 15
	s_add_co_i32 s3, s3, 1
	s_getreg_b32 s5, hwreg(HW_REG_IB_STS2, 6, 4)
	s_mul_i32 s3, ttmp9, s3
	s_mov_b32 s9, 0
	s_add_co_i32 s4, s4, s3
	s_cmp_eq_u32 s5, 0
	s_mov_b32 s3, exec_lo
	s_cselect_b32 s8, ttmp9, s4
	s_delay_alu instid0(SALU_CYCLE_1) | instskip(NEXT) | instid1(VALU_DEP_1)
	v_or_b32_e32 v1, s8, v0
	v_cmpx_eq_u32_e32 0, v1
	s_cbranch_execz .LBB184_2
; %bb.1:
	s_wait_kmcnt 0x0
	v_dual_mov_b32 v1, 0 :: v_dual_mov_b32 v2, s2
	global_store_b32 v1, v2, s[6:7]
.LBB184_2:
	s_wait_xcnt 0x0
	s_or_b32 exec_lo, exec_lo, s3
	v_and_b32_e32 v4, 3, v0
	s_mov_b32 s3, exec_lo
	s_delay_alu instid0(VALU_DEP_1)
	v_cmpx_ne_u32_e32 3, v4
	s_cbranch_execz .LBB184_6
; %bb.3:
	s_clause 0x1
	s_load_b64 s[10:11], s[0:1], 0x28
	s_load_b32 s4, s[0:1], 0x18
	s_lshl_b64 s[12:13], s[8:9], 2
	v_lshrrev_b32_e32 v2, 2, v0
	s_mul_u64 s[8:9], s[8:9], 12
	s_wait_kmcnt 0x0
	s_add_nc_u64 s[6:7], s[6:7], s[8:9]
	s_add_nc_u64 s[10:11], s[10:11], s[12:13]
	s_load_b64 s[12:13], s[10:11], 0x0
	s_wait_kmcnt 0x0
	s_sub_co_i32 s3, s12, s4
	s_sub_co_i32 s13, s13, s4
	v_add_nc_u32_e32 v8, s3, v2
	s_sub_co_i32 s5, s13, s3
	s_mul_i32 s10, s3, 9
	s_mul_i32 s5, s5, 3
	s_delay_alu instid0(SALU_CYCLE_1) | instskip(SKIP_2) | instid1(VALU_DEP_2)
	v_mul_lo_u32 v5, s5, v4
	s_add_co_i32 s5, s5, s2
	v_cmp_gt_i32_e32 vcc_lo, s13, v8
	v_add3_u32 v0, s5, s10, v5
	global_store_b32 v4, v0, s[6:7] offset:4 scale_offset
	s_wait_xcnt 0x0
	s_and_b32 exec_lo, exec_lo, vcc_lo
	s_cbranch_execz .LBB184_6
; %bb.4:
	s_clause 0x4
	s_load_b64 s[6:7], s[0:1], 0x48
	s_load_b64 s[14:15], s[0:1], 0x20
	s_load_b32 s3, s[0:1], 0x0
	s_load_b64 s[8:9], s[0:1], 0x30
	s_load_b64 s[10:11], s[0:1], 0x58
	v_dual_mov_b32 v1, 0 :: v_dual_lshlrev_b32 v0, 3, v4
	v_mul_u32_u24_e32 v6, 3, v2
	s_wait_xcnt 0x0
	s_mul_i32 s0, s12, 9
	s_mov_b32 s5, 0
	s_delay_alu instid0(SALU_CYCLE_1)
	s_mov_b32 s1, s5
	v_add3_u32 v6, v5, s0, v6
	s_mul_i32 s0, s4, 9
	s_delay_alu instid0(VALU_DEP_1) | instid1(SALU_CYCLE_1)
	v_subrev_nc_u32_e32 v6, s0, v6
	s_wait_kmcnt 0x0
	v_add_nc_u64_e32 v[2:3], s[14:15], v[0:1]
	v_lshlrev_b32_e32 v0, 4, v4
	s_cmp_eq_u32 s3, 0
	s_mov_b32 s3, s5
	s_cselect_b32 vcc_lo, -1, 0
	s_delay_alu instid0(VALU_DEP_1)
	v_add_nc_u64_e32 v[4:5], v[2:3], v[0:1]
	v_lshl_add_u32 v0, v8, 3, v8
.LBB184_5:                              ; =>This Inner Loop Header: Depth=1
	global_load_b64 v[14:15], v8, s[8:9] scale_offset
	v_lshlrev_b64_e32 v[10:11], 3, v[0:1]
	s_wait_xcnt 0x0
	v_dual_ashrrev_i32 v7, 31, v6 :: v_dual_add_nc_u32 v8, 64, v8
	v_add_nc_u32_e32 v0, 0x240, v0
	s_delay_alu instid0(VALU_DEP_2) | instskip(NEXT) | instid1(VALU_DEP_4)
	v_cmp_le_i32_e64 s0, s13, v8
	v_add_nc_u64_e32 v[12:13], v[4:5], v[10:11]
	v_add_nc_u64_e32 v[10:11], v[2:3], v[10:11]
	s_or_b32 s1, s0, s1
	s_delay_alu instid0(VALU_DEP_2) | instskip(NEXT) | instid1(VALU_DEP_2)
	v_add_nc_u64_e32 v[16:17], 16, v[12:13]
	v_add_nc_u64_e32 v[18:19], 48, v[10:11]
	;; [unrolled: 1-line block ×4, first 2 shown]
	v_dual_cndmask_b32 v25, v11, v13 :: v_dual_cndmask_b32 v24, v10, v12
	s_delay_alu instid0(VALU_DEP_4) | instskip(NEXT) | instid1(VALU_DEP_3)
	v_dual_cndmask_b32 v17, v19, v17 :: v_dual_cndmask_b32 v16, v18, v16
	v_dual_cndmask_b32 v19, v23, v21 :: v_dual_cndmask_b32 v18, v22, v20
	global_load_b64 v[20:21], v[16:17], off
	global_load_b64 v[10:11], v[24:25], off
	;; [unrolled: 1-line block ×3, first 2 shown]
	s_wait_loadcnt 0x3
	s_wait_xcnt 0x2
	v_sub_nc_u64_e64 v[16:17], v[14:15], s[4:5]
	s_delay_alu instid0(VALU_DEP_1) | instskip(NEXT) | instid1(VALU_DEP_1)
	v_mad_nc_u64_u32 v[14:15], v16, 3, s[2:3]
	v_mad_u32 v15, v17, 3, v15
	v_lshlrev_b64_e32 v[16:17], 3, v[6:7]
	s_wait_xcnt 0x1
	s_delay_alu instid0(VALU_DEP_1) | instskip(SKIP_2) | instid1(VALU_DEP_4)
	v_add_nc_u64_e32 v[24:25], s[6:7], v[16:17]
	v_add_nc_u64_e32 v[22:23], s[10:11], v[16:17]
	s_wait_xcnt 0x0
	v_add_nc_u64_e32 v[18:19], 2, v[14:15]
	v_add_nc_u64_e32 v[16:17], 1, v[14:15]
	global_store_b64 v6, v[18:19], s[10:11] offset:16 scale_offset
	s_wait_loadcnt 0x2
	global_store_b64 v6, v[20:21], s[6:7] offset:16 scale_offset
	s_wait_xcnt 0x0
	v_add_nc_u32_e32 v6, 0xc0, v6
	s_wait_loadcnt 0x0
	global_store_b128 v[24:25], v[10:13], off
	global_store_b128 v[22:23], v[14:17], off
	s_wait_xcnt 0x0
	s_and_not1_b32 exec_lo, exec_lo, s1
	s_cbranch_execnz .LBB184_5
.LBB184_6:
	s_endpgm
	.section	.rodata,"a",@progbits
	.p2align	6, 0x0
	.amdhsa_kernel _ZN9rocsparseL32bsr2csr_block_per_row_2_7_kernelILj256ELj3E21rocsparse_complex_numIfEilEEv20rocsparse_direction_T3_S4_21rocsparse_index_base_PKT1_PKT2_PKS4_S4_S5_PS6_PS9_PS4_
		.amdhsa_group_segment_fixed_size 0
		.amdhsa_private_segment_fixed_size 0
		.amdhsa_kernarg_size 96
		.amdhsa_user_sgpr_count 2
		.amdhsa_user_sgpr_dispatch_ptr 0
		.amdhsa_user_sgpr_queue_ptr 0
		.amdhsa_user_sgpr_kernarg_segment_ptr 1
		.amdhsa_user_sgpr_dispatch_id 0
		.amdhsa_user_sgpr_kernarg_preload_length 0
		.amdhsa_user_sgpr_kernarg_preload_offset 0
		.amdhsa_user_sgpr_private_segment_size 0
		.amdhsa_wavefront_size32 1
		.amdhsa_uses_dynamic_stack 0
		.amdhsa_enable_private_segment 0
		.amdhsa_system_sgpr_workgroup_id_x 1
		.amdhsa_system_sgpr_workgroup_id_y 0
		.amdhsa_system_sgpr_workgroup_id_z 0
		.amdhsa_system_sgpr_workgroup_info 0
		.amdhsa_system_vgpr_workitem_id 0
		.amdhsa_next_free_vgpr 26
		.amdhsa_next_free_sgpr 16
		.amdhsa_named_barrier_count 0
		.amdhsa_reserve_vcc 1
		.amdhsa_float_round_mode_32 0
		.amdhsa_float_round_mode_16_64 0
		.amdhsa_float_denorm_mode_32 3
		.amdhsa_float_denorm_mode_16_64 3
		.amdhsa_fp16_overflow 0
		.amdhsa_memory_ordered 1
		.amdhsa_forward_progress 1
		.amdhsa_inst_pref_size 6
		.amdhsa_round_robin_scheduling 0
		.amdhsa_exception_fp_ieee_invalid_op 0
		.amdhsa_exception_fp_denorm_src 0
		.amdhsa_exception_fp_ieee_div_zero 0
		.amdhsa_exception_fp_ieee_overflow 0
		.amdhsa_exception_fp_ieee_underflow 0
		.amdhsa_exception_fp_ieee_inexact 0
		.amdhsa_exception_int_div_zero 0
	.end_amdhsa_kernel
	.section	.text._ZN9rocsparseL32bsr2csr_block_per_row_2_7_kernelILj256ELj3E21rocsparse_complex_numIfEilEEv20rocsparse_direction_T3_S4_21rocsparse_index_base_PKT1_PKT2_PKS4_S4_S5_PS6_PS9_PS4_,"axG",@progbits,_ZN9rocsparseL32bsr2csr_block_per_row_2_7_kernelILj256ELj3E21rocsparse_complex_numIfEilEEv20rocsparse_direction_T3_S4_21rocsparse_index_base_PKT1_PKT2_PKS4_S4_S5_PS6_PS9_PS4_,comdat
.Lfunc_end184:
	.size	_ZN9rocsparseL32bsr2csr_block_per_row_2_7_kernelILj256ELj3E21rocsparse_complex_numIfEilEEv20rocsparse_direction_T3_S4_21rocsparse_index_base_PKT1_PKT2_PKS4_S4_S5_PS6_PS9_PS4_, .Lfunc_end184-_ZN9rocsparseL32bsr2csr_block_per_row_2_7_kernelILj256ELj3E21rocsparse_complex_numIfEilEEv20rocsparse_direction_T3_S4_21rocsparse_index_base_PKT1_PKT2_PKS4_S4_S5_PS6_PS9_PS4_
                                        ; -- End function
	.set _ZN9rocsparseL32bsr2csr_block_per_row_2_7_kernelILj256ELj3E21rocsparse_complex_numIfEilEEv20rocsparse_direction_T3_S4_21rocsparse_index_base_PKT1_PKT2_PKS4_S4_S5_PS6_PS9_PS4_.num_vgpr, 26
	.set _ZN9rocsparseL32bsr2csr_block_per_row_2_7_kernelILj256ELj3E21rocsparse_complex_numIfEilEEv20rocsparse_direction_T3_S4_21rocsparse_index_base_PKT1_PKT2_PKS4_S4_S5_PS6_PS9_PS4_.num_agpr, 0
	.set _ZN9rocsparseL32bsr2csr_block_per_row_2_7_kernelILj256ELj3E21rocsparse_complex_numIfEilEEv20rocsparse_direction_T3_S4_21rocsparse_index_base_PKT1_PKT2_PKS4_S4_S5_PS6_PS9_PS4_.numbered_sgpr, 16
	.set _ZN9rocsparseL32bsr2csr_block_per_row_2_7_kernelILj256ELj3E21rocsparse_complex_numIfEilEEv20rocsparse_direction_T3_S4_21rocsparse_index_base_PKT1_PKT2_PKS4_S4_S5_PS6_PS9_PS4_.num_named_barrier, 0
	.set _ZN9rocsparseL32bsr2csr_block_per_row_2_7_kernelILj256ELj3E21rocsparse_complex_numIfEilEEv20rocsparse_direction_T3_S4_21rocsparse_index_base_PKT1_PKT2_PKS4_S4_S5_PS6_PS9_PS4_.private_seg_size, 0
	.set _ZN9rocsparseL32bsr2csr_block_per_row_2_7_kernelILj256ELj3E21rocsparse_complex_numIfEilEEv20rocsparse_direction_T3_S4_21rocsparse_index_base_PKT1_PKT2_PKS4_S4_S5_PS6_PS9_PS4_.uses_vcc, 1
	.set _ZN9rocsparseL32bsr2csr_block_per_row_2_7_kernelILj256ELj3E21rocsparse_complex_numIfEilEEv20rocsparse_direction_T3_S4_21rocsparse_index_base_PKT1_PKT2_PKS4_S4_S5_PS6_PS9_PS4_.uses_flat_scratch, 0
	.set _ZN9rocsparseL32bsr2csr_block_per_row_2_7_kernelILj256ELj3E21rocsparse_complex_numIfEilEEv20rocsparse_direction_T3_S4_21rocsparse_index_base_PKT1_PKT2_PKS4_S4_S5_PS6_PS9_PS4_.has_dyn_sized_stack, 0
	.set _ZN9rocsparseL32bsr2csr_block_per_row_2_7_kernelILj256ELj3E21rocsparse_complex_numIfEilEEv20rocsparse_direction_T3_S4_21rocsparse_index_base_PKT1_PKT2_PKS4_S4_S5_PS6_PS9_PS4_.has_recursion, 0
	.set _ZN9rocsparseL32bsr2csr_block_per_row_2_7_kernelILj256ELj3E21rocsparse_complex_numIfEilEEv20rocsparse_direction_T3_S4_21rocsparse_index_base_PKT1_PKT2_PKS4_S4_S5_PS6_PS9_PS4_.has_indirect_call, 0
	.section	.AMDGPU.csdata,"",@progbits
; Kernel info:
; codeLenInByte = 700
; TotalNumSgprs: 18
; NumVgprs: 26
; ScratchSize: 0
; MemoryBound: 0
; FloatMode: 240
; IeeeMode: 1
; LDSByteSize: 0 bytes/workgroup (compile time only)
; SGPRBlocks: 0
; VGPRBlocks: 1
; NumSGPRsForWavesPerEU: 18
; NumVGPRsForWavesPerEU: 26
; NamedBarCnt: 0
; Occupancy: 16
; WaveLimiterHint : 0
; COMPUTE_PGM_RSRC2:SCRATCH_EN: 0
; COMPUTE_PGM_RSRC2:USER_SGPR: 2
; COMPUTE_PGM_RSRC2:TRAP_HANDLER: 0
; COMPUTE_PGM_RSRC2:TGID_X_EN: 1
; COMPUTE_PGM_RSRC2:TGID_Y_EN: 0
; COMPUTE_PGM_RSRC2:TGID_Z_EN: 0
; COMPUTE_PGM_RSRC2:TIDIG_COMP_CNT: 0
	.section	.text._ZN9rocsparseL32bsr2csr_block_per_row_2_7_kernelILj256ELj4E21rocsparse_complex_numIfEilEEv20rocsparse_direction_T3_S4_21rocsparse_index_base_PKT1_PKT2_PKS4_S4_S5_PS6_PS9_PS4_,"axG",@progbits,_ZN9rocsparseL32bsr2csr_block_per_row_2_7_kernelILj256ELj4E21rocsparse_complex_numIfEilEEv20rocsparse_direction_T3_S4_21rocsparse_index_base_PKT1_PKT2_PKS4_S4_S5_PS6_PS9_PS4_,comdat
	.globl	_ZN9rocsparseL32bsr2csr_block_per_row_2_7_kernelILj256ELj4E21rocsparse_complex_numIfEilEEv20rocsparse_direction_T3_S4_21rocsparse_index_base_PKT1_PKT2_PKS4_S4_S5_PS6_PS9_PS4_ ; -- Begin function _ZN9rocsparseL32bsr2csr_block_per_row_2_7_kernelILj256ELj4E21rocsparse_complex_numIfEilEEv20rocsparse_direction_T3_S4_21rocsparse_index_base_PKT1_PKT2_PKS4_S4_S5_PS6_PS9_PS4_
	.p2align	8
	.type	_ZN9rocsparseL32bsr2csr_block_per_row_2_7_kernelILj256ELj4E21rocsparse_complex_numIfEilEEv20rocsparse_direction_T3_S4_21rocsparse_index_base_PKT1_PKT2_PKS4_S4_S5_PS6_PS9_PS4_,@function
_ZN9rocsparseL32bsr2csr_block_per_row_2_7_kernelILj256ELj4E21rocsparse_complex_numIfEilEEv20rocsparse_direction_T3_S4_21rocsparse_index_base_PKT1_PKT2_PKS4_S4_S5_PS6_PS9_PS4_: ; @_ZN9rocsparseL32bsr2csr_block_per_row_2_7_kernelILj256ELj4E21rocsparse_complex_numIfEilEEv20rocsparse_direction_T3_S4_21rocsparse_index_base_PKT1_PKT2_PKS4_S4_S5_PS6_PS9_PS4_
; %bb.0:
	s_load_b64 s[4:5], s[0:1], 0x28
	s_bfe_u32 s2, ttmp6, 0x4000c
	s_and_b32 s3, ttmp6, 15
	s_add_co_i32 s2, s2, 1
	s_getreg_b32 s6, hwreg(HW_REG_IB_STS2, 6, 4)
	s_mul_i32 s2, ttmp9, s2
	s_mov_b32 s7, 0
	s_add_co_i32 s3, s3, s2
	s_cmp_eq_u32 s6, 0
	s_clause 0x1
	s_load_b32 s2, s[0:1], 0x40
	s_load_b64 s[8:9], s[0:1], 0x50
	s_cselect_b32 s6, ttmp9, s3
	s_mov_b32 s3, exec_lo
	s_lshl_b64 s[10:11], s[6:7], 2
	v_or_b32_e32 v1, s6, v0
	s_wait_kmcnt 0x0
	s_add_nc_u64 s[4:5], s[4:5], s[10:11]
	s_load_b64 s[14:15], s[4:5], 0x0
	s_delay_alu instid0(VALU_DEP_1)
	v_cmpx_eq_u32_e32 0, v1
	s_cbranch_execz .LBB185_2
; %bb.1:
	v_dual_mov_b32 v1, 0 :: v_dual_mov_b32 v2, s2
	global_store_b32 v1, v2, s[8:9]
.LBB185_2:
	s_wait_xcnt 0x0
	s_or_b32 exec_lo, exec_lo, s3
	s_load_b32 s4, s[0:1], 0x18
	v_dual_lshrrev_b32 v0, 2, v0 :: v_dual_bitop2_b32 v8, 3, v0 bitop3:0x40
	s_lshl_b64 s[6:7], s[6:7], 4
	s_delay_alu instid0(SALU_CYCLE_1)
	s_add_nc_u64 s[6:7], s[8:9], s[6:7]
	s_wait_kmcnt 0x0
	s_sub_co_i32 s3, s14, s4
	s_sub_co_i32 s15, s15, s4
	s_lshl_b32 s10, s3, 4
	s_sub_co_i32 s5, s15, s3
	v_add_nc_u32_e32 v9, s3, v0
	s_lshl_b32 s5, s5, 2
	s_mov_b32 s3, exec_lo
	v_mul_lo_u32 v2, s5, v8
	s_add_co_i32 s5, s5, s2
	s_delay_alu instid0(VALU_DEP_1) | instid1(SALU_CYCLE_1)
	v_add3_u32 v1, s5, s10, v2
	global_store_b32 v8, v1, s[6:7] offset:4 scale_offset
	s_wait_xcnt 0x0
	v_cmpx_gt_i32_e64 s15, v9
	s_cbranch_execz .LBB185_5
; %bb.3:
	s_clause 0x4
	s_load_b64 s[6:7], s[0:1], 0x30
	s_load_b64 s[8:9], s[0:1], 0x48
	s_load_b32 s3, s[0:1], 0x0
	s_load_b64 s[10:11], s[0:1], 0x20
	s_load_b64 s[12:13], s[0:1], 0x58
	v_dual_lshlrev_b32 v3, 2, v0 :: v_dual_mov_b32 v1, 0
	v_dual_lshlrev_b32 v0, 5, v8 :: v_dual_lshlrev_b32 v6, 4, v9
	s_mov_b32 s5, 0
	s_wait_xcnt 0x0
	s_mov_b32 s1, s5
	s_wait_kmcnt 0x0
	s_cmp_eq_u32 s3, 0
	s_mov_b32 s3, s5
	s_cselect_b32 vcc_lo, -1, 0
	s_lshl_b32 s0, s14, 4
	s_delay_alu instid0(SALU_CYCLE_1) | instskip(SKIP_2) | instid1(VALU_DEP_2)
	v_add3_u32 v4, v2, s0, v3
	s_lshl_b32 s0, s4, 4
	v_add_nc_u64_e32 v[2:3], s[10:11], v[0:1]
	v_subrev_nc_u32_e32 v4, s0, v4
.LBB185_4:                              ; =>This Inner Loop Header: Depth=1
	v_dual_mov_b32 v7, v1 :: v_dual_add_nc_u32 v0, v8, v6
	global_load_b64 v[18:19], v9, s[6:7] scale_offset
	s_wait_xcnt 0x0
	v_dual_ashrrev_i32 v5, 31, v4 :: v_dual_add_nc_u32 v9, 64, v9
	v_lshl_add_u64 v[10:11], v[6:7], 3, v[2:3]
	v_lshl_add_u64 v[12:13], v[0:1], 3, s[10:11]
	v_add_nc_u32_e32 v6, 0x400, v6
	s_delay_alu instid0(VALU_DEP_4) | instskip(NEXT) | instid1(VALU_DEP_4)
	v_cmp_le_i32_e64 s0, s15, v9
	v_add_nc_u64_e32 v[14:15], 8, v[10:11]
	s_delay_alu instid0(VALU_DEP_4)
	v_add_nc_u64_e32 v[16:17], 32, v[12:13]
	v_add_nc_u64_e32 v[20:21], 16, v[10:11]
	;; [unrolled: 1-line block ×5, first 2 shown]
	v_dual_cndmask_b32 v29, v13, v11 :: v_dual_cndmask_b32 v28, v12, v10
	v_dual_cndmask_b32 v31, v17, v15 :: v_dual_cndmask_b32 v30, v16, v14
	;; [unrolled: 1-line block ×3, first 2 shown]
	s_delay_alu instid0(VALU_DEP_4)
	v_dual_cndmask_b32 v23, v27, v25 :: v_dual_cndmask_b32 v22, v26, v24
	global_load_b64 v[10:11], v[28:29], off
	global_load_b64 v[12:13], v[30:31], off
	;; [unrolled: 1-line block ×4, first 2 shown]
	s_wait_xcnt 0x1
	v_lshlrev_b64_e32 v[20:21], 3, v[4:5]
	v_add_nc_u32_e32 v4, 0x100, v4
	s_or_b32 s1, s0, s1
	s_delay_alu instid0(VALU_DEP_2) | instskip(SKIP_3) | instid1(VALU_DEP_1)
	v_add_nc_u64_e32 v[26:27], s[12:13], v[20:21]
	v_add_nc_u64_e32 v[28:29], s[8:9], v[20:21]
	s_wait_loadcnt 0x4
	v_sub_nc_u64_e64 v[18:19], v[18:19], s[4:5]
	v_lshl_add_u64 v[18:19], v[18:19], 2, s[2:3]
	s_delay_alu instid0(VALU_DEP_1)
	v_add_nc_u64_e32 v[20:21], 1, v[18:19]
	s_wait_xcnt 0x0
	v_add_nc_u64_e32 v[22:23], 2, v[18:19]
	v_add_nc_u64_e32 v[24:25], 3, v[18:19]
	s_clause 0x1
	global_store_b128 v[26:27], v[18:21], off
	global_store_b128 v[26:27], v[22:25], off offset:16
	s_wait_loadcnt 0x2
	global_store_b128 v[28:29], v[10:13], off
	s_wait_loadcnt 0x0
	global_store_b128 v[28:29], v[14:17], off offset:16
	s_wait_xcnt 0x0
	s_and_not1_b32 exec_lo, exec_lo, s1
	s_cbranch_execnz .LBB185_4
.LBB185_5:
	s_endpgm
	.section	.rodata,"a",@progbits
	.p2align	6, 0x0
	.amdhsa_kernel _ZN9rocsparseL32bsr2csr_block_per_row_2_7_kernelILj256ELj4E21rocsparse_complex_numIfEilEEv20rocsparse_direction_T3_S4_21rocsparse_index_base_PKT1_PKT2_PKS4_S4_S5_PS6_PS9_PS4_
		.amdhsa_group_segment_fixed_size 0
		.amdhsa_private_segment_fixed_size 0
		.amdhsa_kernarg_size 96
		.amdhsa_user_sgpr_count 2
		.amdhsa_user_sgpr_dispatch_ptr 0
		.amdhsa_user_sgpr_queue_ptr 0
		.amdhsa_user_sgpr_kernarg_segment_ptr 1
		.amdhsa_user_sgpr_dispatch_id 0
		.amdhsa_user_sgpr_kernarg_preload_length 0
		.amdhsa_user_sgpr_kernarg_preload_offset 0
		.amdhsa_user_sgpr_private_segment_size 0
		.amdhsa_wavefront_size32 1
		.amdhsa_uses_dynamic_stack 0
		.amdhsa_enable_private_segment 0
		.amdhsa_system_sgpr_workgroup_id_x 1
		.amdhsa_system_sgpr_workgroup_id_y 0
		.amdhsa_system_sgpr_workgroup_id_z 0
		.amdhsa_system_sgpr_workgroup_info 0
		.amdhsa_system_vgpr_workitem_id 0
		.amdhsa_next_free_vgpr 32
		.amdhsa_next_free_sgpr 16
		.amdhsa_named_barrier_count 0
		.amdhsa_reserve_vcc 1
		.amdhsa_float_round_mode_32 0
		.amdhsa_float_round_mode_16_64 0
		.amdhsa_float_denorm_mode_32 3
		.amdhsa_float_denorm_mode_16_64 3
		.amdhsa_fp16_overflow 0
		.amdhsa_memory_ordered 1
		.amdhsa_forward_progress 1
		.amdhsa_inst_pref_size 6
		.amdhsa_round_robin_scheduling 0
		.amdhsa_exception_fp_ieee_invalid_op 0
		.amdhsa_exception_fp_denorm_src 0
		.amdhsa_exception_fp_ieee_div_zero 0
		.amdhsa_exception_fp_ieee_overflow 0
		.amdhsa_exception_fp_ieee_underflow 0
		.amdhsa_exception_fp_ieee_inexact 0
		.amdhsa_exception_int_div_zero 0
	.end_amdhsa_kernel
	.section	.text._ZN9rocsparseL32bsr2csr_block_per_row_2_7_kernelILj256ELj4E21rocsparse_complex_numIfEilEEv20rocsparse_direction_T3_S4_21rocsparse_index_base_PKT1_PKT2_PKS4_S4_S5_PS6_PS9_PS4_,"axG",@progbits,_ZN9rocsparseL32bsr2csr_block_per_row_2_7_kernelILj256ELj4E21rocsparse_complex_numIfEilEEv20rocsparse_direction_T3_S4_21rocsparse_index_base_PKT1_PKT2_PKS4_S4_S5_PS6_PS9_PS4_,comdat
.Lfunc_end185:
	.size	_ZN9rocsparseL32bsr2csr_block_per_row_2_7_kernelILj256ELj4E21rocsparse_complex_numIfEilEEv20rocsparse_direction_T3_S4_21rocsparse_index_base_PKT1_PKT2_PKS4_S4_S5_PS6_PS9_PS4_, .Lfunc_end185-_ZN9rocsparseL32bsr2csr_block_per_row_2_7_kernelILj256ELj4E21rocsparse_complex_numIfEilEEv20rocsparse_direction_T3_S4_21rocsparse_index_base_PKT1_PKT2_PKS4_S4_S5_PS6_PS9_PS4_
                                        ; -- End function
	.set _ZN9rocsparseL32bsr2csr_block_per_row_2_7_kernelILj256ELj4E21rocsparse_complex_numIfEilEEv20rocsparse_direction_T3_S4_21rocsparse_index_base_PKT1_PKT2_PKS4_S4_S5_PS6_PS9_PS4_.num_vgpr, 32
	.set _ZN9rocsparseL32bsr2csr_block_per_row_2_7_kernelILj256ELj4E21rocsparse_complex_numIfEilEEv20rocsparse_direction_T3_S4_21rocsparse_index_base_PKT1_PKT2_PKS4_S4_S5_PS6_PS9_PS4_.num_agpr, 0
	.set _ZN9rocsparseL32bsr2csr_block_per_row_2_7_kernelILj256ELj4E21rocsparse_complex_numIfEilEEv20rocsparse_direction_T3_S4_21rocsparse_index_base_PKT1_PKT2_PKS4_S4_S5_PS6_PS9_PS4_.numbered_sgpr, 16
	.set _ZN9rocsparseL32bsr2csr_block_per_row_2_7_kernelILj256ELj4E21rocsparse_complex_numIfEilEEv20rocsparse_direction_T3_S4_21rocsparse_index_base_PKT1_PKT2_PKS4_S4_S5_PS6_PS9_PS4_.num_named_barrier, 0
	.set _ZN9rocsparseL32bsr2csr_block_per_row_2_7_kernelILj256ELj4E21rocsparse_complex_numIfEilEEv20rocsparse_direction_T3_S4_21rocsparse_index_base_PKT1_PKT2_PKS4_S4_S5_PS6_PS9_PS4_.private_seg_size, 0
	.set _ZN9rocsparseL32bsr2csr_block_per_row_2_7_kernelILj256ELj4E21rocsparse_complex_numIfEilEEv20rocsparse_direction_T3_S4_21rocsparse_index_base_PKT1_PKT2_PKS4_S4_S5_PS6_PS9_PS4_.uses_vcc, 1
	.set _ZN9rocsparseL32bsr2csr_block_per_row_2_7_kernelILj256ELj4E21rocsparse_complex_numIfEilEEv20rocsparse_direction_T3_S4_21rocsparse_index_base_PKT1_PKT2_PKS4_S4_S5_PS6_PS9_PS4_.uses_flat_scratch, 0
	.set _ZN9rocsparseL32bsr2csr_block_per_row_2_7_kernelILj256ELj4E21rocsparse_complex_numIfEilEEv20rocsparse_direction_T3_S4_21rocsparse_index_base_PKT1_PKT2_PKS4_S4_S5_PS6_PS9_PS4_.has_dyn_sized_stack, 0
	.set _ZN9rocsparseL32bsr2csr_block_per_row_2_7_kernelILj256ELj4E21rocsparse_complex_numIfEilEEv20rocsparse_direction_T3_S4_21rocsparse_index_base_PKT1_PKT2_PKS4_S4_S5_PS6_PS9_PS4_.has_recursion, 0
	.set _ZN9rocsparseL32bsr2csr_block_per_row_2_7_kernelILj256ELj4E21rocsparse_complex_numIfEilEEv20rocsparse_direction_T3_S4_21rocsparse_index_base_PKT1_PKT2_PKS4_S4_S5_PS6_PS9_PS4_.has_indirect_call, 0
	.section	.AMDGPU.csdata,"",@progbits
; Kernel info:
; codeLenInByte = 712
; TotalNumSgprs: 18
; NumVgprs: 32
; ScratchSize: 0
; MemoryBound: 0
; FloatMode: 240
; IeeeMode: 1
; LDSByteSize: 0 bytes/workgroup (compile time only)
; SGPRBlocks: 0
; VGPRBlocks: 1
; NumSGPRsForWavesPerEU: 18
; NumVGPRsForWavesPerEU: 32
; NamedBarCnt: 0
; Occupancy: 16
; WaveLimiterHint : 0
; COMPUTE_PGM_RSRC2:SCRATCH_EN: 0
; COMPUTE_PGM_RSRC2:USER_SGPR: 2
; COMPUTE_PGM_RSRC2:TRAP_HANDLER: 0
; COMPUTE_PGM_RSRC2:TGID_X_EN: 1
; COMPUTE_PGM_RSRC2:TGID_Y_EN: 0
; COMPUTE_PGM_RSRC2:TGID_Z_EN: 0
; COMPUTE_PGM_RSRC2:TIDIG_COMP_CNT: 0
	.section	.text._ZN9rocsparseL32bsr2csr_block_per_row_2_7_kernelILj256ELj5E21rocsparse_complex_numIfEilEEv20rocsparse_direction_T3_S4_21rocsparse_index_base_PKT1_PKT2_PKS4_S4_S5_PS6_PS9_PS4_,"axG",@progbits,_ZN9rocsparseL32bsr2csr_block_per_row_2_7_kernelILj256ELj5E21rocsparse_complex_numIfEilEEv20rocsparse_direction_T3_S4_21rocsparse_index_base_PKT1_PKT2_PKS4_S4_S5_PS6_PS9_PS4_,comdat
	.globl	_ZN9rocsparseL32bsr2csr_block_per_row_2_7_kernelILj256ELj5E21rocsparse_complex_numIfEilEEv20rocsparse_direction_T3_S4_21rocsparse_index_base_PKT1_PKT2_PKS4_S4_S5_PS6_PS9_PS4_ ; -- Begin function _ZN9rocsparseL32bsr2csr_block_per_row_2_7_kernelILj256ELj5E21rocsparse_complex_numIfEilEEv20rocsparse_direction_T3_S4_21rocsparse_index_base_PKT1_PKT2_PKS4_S4_S5_PS6_PS9_PS4_
	.p2align	8
	.type	_ZN9rocsparseL32bsr2csr_block_per_row_2_7_kernelILj256ELj5E21rocsparse_complex_numIfEilEEv20rocsparse_direction_T3_S4_21rocsparse_index_base_PKT1_PKT2_PKS4_S4_S5_PS6_PS9_PS4_,@function
_ZN9rocsparseL32bsr2csr_block_per_row_2_7_kernelILj256ELj5E21rocsparse_complex_numIfEilEEv20rocsparse_direction_T3_S4_21rocsparse_index_base_PKT1_PKT2_PKS4_S4_S5_PS6_PS9_PS4_: ; @_ZN9rocsparseL32bsr2csr_block_per_row_2_7_kernelILj256ELj5E21rocsparse_complex_numIfEilEEv20rocsparse_direction_T3_S4_21rocsparse_index_base_PKT1_PKT2_PKS4_S4_S5_PS6_PS9_PS4_
; %bb.0:
	s_clause 0x1
	s_load_b32 s2, s[0:1], 0x40
	s_load_b64 s[6:7], s[0:1], 0x50
	s_bfe_u32 s3, ttmp6, 0x4000c
	s_and_b32 s4, ttmp6, 15
	s_add_co_i32 s3, s3, 1
	s_getreg_b32 s5, hwreg(HW_REG_IB_STS2, 6, 4)
	s_mul_i32 s3, ttmp9, s3
	s_mov_b32 s9, 0
	s_add_co_i32 s4, s4, s3
	s_cmp_eq_u32 s5, 0
	s_mov_b32 s3, exec_lo
	s_cselect_b32 s8, ttmp9, s4
	s_delay_alu instid0(SALU_CYCLE_1) | instskip(NEXT) | instid1(VALU_DEP_1)
	v_or_b32_e32 v1, s8, v0
	v_cmpx_eq_u32_e32 0, v1
	s_cbranch_execz .LBB186_2
; %bb.1:
	s_wait_kmcnt 0x0
	v_dual_mov_b32 v1, 0 :: v_dual_mov_b32 v2, s2
	global_store_b32 v1, v2, s[6:7]
.LBB186_2:
	s_wait_xcnt 0x0
	s_or_b32 exec_lo, exec_lo, s3
	v_and_b32_e32 v4, 7, v0
	s_mov_b32 s3, exec_lo
	s_delay_alu instid0(VALU_DEP_1)
	v_cmpx_gt_u32_e32 5, v4
	s_cbranch_execz .LBB186_6
; %bb.3:
	s_clause 0x1
	s_load_b64 s[10:11], s[0:1], 0x28
	s_load_b32 s4, s[0:1], 0x18
	s_lshl_b64 s[12:13], s[8:9], 2
	v_lshrrev_b32_e32 v5, 3, v0
	s_mul_u64 s[8:9], s[8:9], 20
	s_wait_kmcnt 0x0
	s_add_nc_u64 s[6:7], s[6:7], s[8:9]
	s_add_nc_u64 s[10:11], s[10:11], s[12:13]
	s_load_b64 s[12:13], s[10:11], 0x0
	s_wait_kmcnt 0x0
	s_sub_co_i32 s3, s12, s4
	s_sub_co_i32 s13, s13, s4
	v_add_nc_u32_e32 v8, s3, v5
	s_sub_co_i32 s5, s13, s3
	s_mul_i32 s10, s3, 25
	s_mul_i32 s5, s5, 5
	s_delay_alu instid0(SALU_CYCLE_1) | instskip(SKIP_2) | instid1(VALU_DEP_2)
	v_mul_lo_u32 v6, s5, v4
	s_add_co_i32 s5, s5, s2
	v_cmp_gt_i32_e32 vcc_lo, s13, v8
	v_add3_u32 v0, s5, s10, v6
	global_store_b32 v4, v0, s[6:7] offset:4 scale_offset
	s_wait_xcnt 0x0
	s_and_b32 exec_lo, exec_lo, vcc_lo
	s_cbranch_execz .LBB186_6
; %bb.4:
	s_clause 0x2
	s_load_b64 s[6:7], s[0:1], 0x48
	s_load_b64 s[14:15], s[0:1], 0x20
	s_load_b32 s3, s[0:1], 0x0
	v_dual_mov_b32 v1, 0 :: v_dual_lshlrev_b32 v0, 3, v4
	s_clause 0x1
	s_load_b64 s[8:9], s[0:1], 0x30
	s_load_b64 s[10:11], s[0:1], 0x58
	v_mul_u32_u24_e32 v7, 5, v5
	s_wait_xcnt 0x0
	s_mul_i32 s0, s12, 25
	s_mov_b32 s5, 0
	s_delay_alu instid0(SALU_CYCLE_1)
	s_mov_b32 s1, s5
	v_add3_u32 v6, v6, s0, v7
	s_mul_i32 s0, s4, 25
	s_delay_alu instid0(VALU_DEP_1) | instid1(SALU_CYCLE_1)
	v_subrev_nc_u32_e32 v6, s0, v6
	s_wait_kmcnt 0x0
	v_add_nc_u64_e32 v[2:3], s[14:15], v[0:1]
	v_lshlrev_b32_e32 v0, 5, v4
	s_cmp_eq_u32 s3, 0
	s_mov_b32 s3, s5
	s_cselect_b32 vcc_lo, -1, 0
	s_delay_alu instid0(VALU_DEP_1)
	v_add_nc_u64_e32 v[4:5], v[2:3], v[0:1]
	v_mul_lo_u32 v0, v8, 25
.LBB186_5:                              ; =>This Inner Loop Header: Depth=1
	global_load_b64 v[18:19], v8, s[8:9] scale_offset
	v_lshlrev_b64_e32 v[10:11], 3, v[0:1]
	s_wait_xcnt 0x0
	v_dual_ashrrev_i32 v7, 31, v6 :: v_dual_add_nc_u32 v8, 32, v8
	v_add_nc_u32_e32 v0, 0x320, v0
	s_delay_alu instid0(VALU_DEP_2) | instskip(NEXT) | instid1(VALU_DEP_4)
	v_cmp_le_i32_e64 s0, s13, v8
	v_add_nc_u64_e32 v[12:13], v[2:3], v[10:11]
	v_add_nc_u64_e32 v[10:11], v[4:5], v[10:11]
	s_or_b32 s1, s0, s1
	s_delay_alu instid0(VALU_DEP_2) | instskip(NEXT) | instid1(VALU_DEP_2)
	v_add_nc_u64_e32 v[24:25], 0x50, v[12:13]
	v_add_nc_u64_e32 v[22:23], 16, v[10:11]
	v_add_nc_u64_e32 v[26:27], 32, v[10:11]
	v_add_nc_u64_e32 v[28:29], 0xa0, v[12:13]
	v_add_nc_u64_e32 v[16:17], 8, v[10:11]
	v_add_nc_u64_e32 v[20:21], 40, v[12:13]
	v_dual_cndmask_b32 v15, v13, v11 :: v_dual_cndmask_b32 v14, v12, v10
	v_add_nc_u64_e32 v[30:31], 24, v[10:11]
	v_add_nc_u64_e32 v[12:13], 0x78, v[12:13]
	v_dual_cndmask_b32 v23, v25, v23 :: v_dual_cndmask_b32 v26, v28, v26
	v_dual_cndmask_b32 v27, v29, v27 :: v_dual_cndmask_b32 v22, v24, v22
	;; [unrolled: 1-line block ×3, first 2 shown]
	s_delay_alu instid0(VALU_DEP_4)
	v_dual_cndmask_b32 v25, v13, v31 :: v_dual_cndmask_b32 v24, v12, v30
	global_load_b64 v[10:11], v[14:15], off
	global_load_b64 v[28:29], v[26:27], off
	global_load_b64 v[12:13], v[20:21], off
	global_load_b64 v[14:15], v[22:23], off
	global_load_b64 v[16:17], v[24:25], off
	s_wait_loadcnt 0x5
	s_wait_xcnt 0x2
	v_sub_nc_u64_e64 v[20:21], v[18:19], s[4:5]
	s_delay_alu instid0(VALU_DEP_1) | instskip(NEXT) | instid1(VALU_DEP_1)
	v_mad_nc_u64_u32 v[18:19], v20, 5, s[2:3]
	v_mad_u32 v19, v21, 5, v19
	v_lshlrev_b64_e32 v[20:21], 3, v[6:7]
	s_delay_alu instid0(VALU_DEP_1) | instskip(SKIP_1) | instid1(VALU_DEP_4)
	v_add_nc_u64_e32 v[32:33], s[6:7], v[20:21]
	v_add_nc_u64_e32 v[26:27], s[10:11], v[20:21]
	;; [unrolled: 1-line block ×4, first 2 shown]
	s_wait_xcnt 0x1
	v_add_nc_u64_e32 v[22:23], 2, v[18:19]
	s_wait_xcnt 0x0
	v_add_nc_u64_e32 v[24:25], 3, v[18:19]
	global_store_b64 v6, v[30:31], s[10:11] offset:32 scale_offset
	s_wait_loadcnt 0x3
	global_store_b64 v6, v[28:29], s[6:7] offset:32 scale_offset
	s_wait_xcnt 0x0
	v_add_nc_u32_e32 v6, 0xa0, v6
	s_wait_loadcnt 0x2
	global_store_b128 v[32:33], v[10:13], off
	s_wait_loadcnt 0x0
	global_store_b128 v[32:33], v[14:17], off offset:16
	s_clause 0x1
	global_store_b128 v[26:27], v[18:21], off
	global_store_b128 v[26:27], v[22:25], off offset:16
	s_wait_xcnt 0x0
	s_and_not1_b32 exec_lo, exec_lo, s1
	s_cbranch_execnz .LBB186_5
.LBB186_6:
	s_endpgm
	.section	.rodata,"a",@progbits
	.p2align	6, 0x0
	.amdhsa_kernel _ZN9rocsparseL32bsr2csr_block_per_row_2_7_kernelILj256ELj5E21rocsparse_complex_numIfEilEEv20rocsparse_direction_T3_S4_21rocsparse_index_base_PKT1_PKT2_PKS4_S4_S5_PS6_PS9_PS4_
		.amdhsa_group_segment_fixed_size 0
		.amdhsa_private_segment_fixed_size 0
		.amdhsa_kernarg_size 96
		.amdhsa_user_sgpr_count 2
		.amdhsa_user_sgpr_dispatch_ptr 0
		.amdhsa_user_sgpr_queue_ptr 0
		.amdhsa_user_sgpr_kernarg_segment_ptr 1
		.amdhsa_user_sgpr_dispatch_id 0
		.amdhsa_user_sgpr_kernarg_preload_length 0
		.amdhsa_user_sgpr_kernarg_preload_offset 0
		.amdhsa_user_sgpr_private_segment_size 0
		.amdhsa_wavefront_size32 1
		.amdhsa_uses_dynamic_stack 0
		.amdhsa_enable_private_segment 0
		.amdhsa_system_sgpr_workgroup_id_x 1
		.amdhsa_system_sgpr_workgroup_id_y 0
		.amdhsa_system_sgpr_workgroup_id_z 0
		.amdhsa_system_sgpr_workgroup_info 0
		.amdhsa_system_vgpr_workitem_id 0
		.amdhsa_next_free_vgpr 34
		.amdhsa_next_free_sgpr 16
		.amdhsa_named_barrier_count 0
		.amdhsa_reserve_vcc 1
		.amdhsa_float_round_mode_32 0
		.amdhsa_float_round_mode_16_64 0
		.amdhsa_float_denorm_mode_32 3
		.amdhsa_float_denorm_mode_16_64 3
		.amdhsa_fp16_overflow 0
		.amdhsa_memory_ordered 1
		.amdhsa_forward_progress 1
		.amdhsa_inst_pref_size 7
		.amdhsa_round_robin_scheduling 0
		.amdhsa_exception_fp_ieee_invalid_op 0
		.amdhsa_exception_fp_denorm_src 0
		.amdhsa_exception_fp_ieee_div_zero 0
		.amdhsa_exception_fp_ieee_overflow 0
		.amdhsa_exception_fp_ieee_underflow 0
		.amdhsa_exception_fp_ieee_inexact 0
		.amdhsa_exception_int_div_zero 0
	.end_amdhsa_kernel
	.section	.text._ZN9rocsparseL32bsr2csr_block_per_row_2_7_kernelILj256ELj5E21rocsparse_complex_numIfEilEEv20rocsparse_direction_T3_S4_21rocsparse_index_base_PKT1_PKT2_PKS4_S4_S5_PS6_PS9_PS4_,"axG",@progbits,_ZN9rocsparseL32bsr2csr_block_per_row_2_7_kernelILj256ELj5E21rocsparse_complex_numIfEilEEv20rocsparse_direction_T3_S4_21rocsparse_index_base_PKT1_PKT2_PKS4_S4_S5_PS6_PS9_PS4_,comdat
.Lfunc_end186:
	.size	_ZN9rocsparseL32bsr2csr_block_per_row_2_7_kernelILj256ELj5E21rocsparse_complex_numIfEilEEv20rocsparse_direction_T3_S4_21rocsparse_index_base_PKT1_PKT2_PKS4_S4_S5_PS6_PS9_PS4_, .Lfunc_end186-_ZN9rocsparseL32bsr2csr_block_per_row_2_7_kernelILj256ELj5E21rocsparse_complex_numIfEilEEv20rocsparse_direction_T3_S4_21rocsparse_index_base_PKT1_PKT2_PKS4_S4_S5_PS6_PS9_PS4_
                                        ; -- End function
	.set _ZN9rocsparseL32bsr2csr_block_per_row_2_7_kernelILj256ELj5E21rocsparse_complex_numIfEilEEv20rocsparse_direction_T3_S4_21rocsparse_index_base_PKT1_PKT2_PKS4_S4_S5_PS6_PS9_PS4_.num_vgpr, 34
	.set _ZN9rocsparseL32bsr2csr_block_per_row_2_7_kernelILj256ELj5E21rocsparse_complex_numIfEilEEv20rocsparse_direction_T3_S4_21rocsparse_index_base_PKT1_PKT2_PKS4_S4_S5_PS6_PS9_PS4_.num_agpr, 0
	.set _ZN9rocsparseL32bsr2csr_block_per_row_2_7_kernelILj256ELj5E21rocsparse_complex_numIfEilEEv20rocsparse_direction_T3_S4_21rocsparse_index_base_PKT1_PKT2_PKS4_S4_S5_PS6_PS9_PS4_.numbered_sgpr, 16
	.set _ZN9rocsparseL32bsr2csr_block_per_row_2_7_kernelILj256ELj5E21rocsparse_complex_numIfEilEEv20rocsparse_direction_T3_S4_21rocsparse_index_base_PKT1_PKT2_PKS4_S4_S5_PS6_PS9_PS4_.num_named_barrier, 0
	.set _ZN9rocsparseL32bsr2csr_block_per_row_2_7_kernelILj256ELj5E21rocsparse_complex_numIfEilEEv20rocsparse_direction_T3_S4_21rocsparse_index_base_PKT1_PKT2_PKS4_S4_S5_PS6_PS9_PS4_.private_seg_size, 0
	.set _ZN9rocsparseL32bsr2csr_block_per_row_2_7_kernelILj256ELj5E21rocsparse_complex_numIfEilEEv20rocsparse_direction_T3_S4_21rocsparse_index_base_PKT1_PKT2_PKS4_S4_S5_PS6_PS9_PS4_.uses_vcc, 1
	.set _ZN9rocsparseL32bsr2csr_block_per_row_2_7_kernelILj256ELj5E21rocsparse_complex_numIfEilEEv20rocsparse_direction_T3_S4_21rocsparse_index_base_PKT1_PKT2_PKS4_S4_S5_PS6_PS9_PS4_.uses_flat_scratch, 0
	.set _ZN9rocsparseL32bsr2csr_block_per_row_2_7_kernelILj256ELj5E21rocsparse_complex_numIfEilEEv20rocsparse_direction_T3_S4_21rocsparse_index_base_PKT1_PKT2_PKS4_S4_S5_PS6_PS9_PS4_.has_dyn_sized_stack, 0
	.set _ZN9rocsparseL32bsr2csr_block_per_row_2_7_kernelILj256ELj5E21rocsparse_complex_numIfEilEEv20rocsparse_direction_T3_S4_21rocsparse_index_base_PKT1_PKT2_PKS4_S4_S5_PS6_PS9_PS4_.has_recursion, 0
	.set _ZN9rocsparseL32bsr2csr_block_per_row_2_7_kernelILj256ELj5E21rocsparse_complex_numIfEilEEv20rocsparse_direction_T3_S4_21rocsparse_index_base_PKT1_PKT2_PKS4_S4_S5_PS6_PS9_PS4_.has_indirect_call, 0
	.section	.AMDGPU.csdata,"",@progbits
; Kernel info:
; codeLenInByte = 812
; TotalNumSgprs: 18
; NumVgprs: 34
; ScratchSize: 0
; MemoryBound: 0
; FloatMode: 240
; IeeeMode: 1
; LDSByteSize: 0 bytes/workgroup (compile time only)
; SGPRBlocks: 0
; VGPRBlocks: 2
; NumSGPRsForWavesPerEU: 18
; NumVGPRsForWavesPerEU: 34
; NamedBarCnt: 0
; Occupancy: 16
; WaveLimiterHint : 0
; COMPUTE_PGM_RSRC2:SCRATCH_EN: 0
; COMPUTE_PGM_RSRC2:USER_SGPR: 2
; COMPUTE_PGM_RSRC2:TRAP_HANDLER: 0
; COMPUTE_PGM_RSRC2:TGID_X_EN: 1
; COMPUTE_PGM_RSRC2:TGID_Y_EN: 0
; COMPUTE_PGM_RSRC2:TGID_Z_EN: 0
; COMPUTE_PGM_RSRC2:TIDIG_COMP_CNT: 0
	.section	.text._ZN9rocsparseL32bsr2csr_block_per_row_2_7_kernelILj256ELj6E21rocsparse_complex_numIfEilEEv20rocsparse_direction_T3_S4_21rocsparse_index_base_PKT1_PKT2_PKS4_S4_S5_PS6_PS9_PS4_,"axG",@progbits,_ZN9rocsparseL32bsr2csr_block_per_row_2_7_kernelILj256ELj6E21rocsparse_complex_numIfEilEEv20rocsparse_direction_T3_S4_21rocsparse_index_base_PKT1_PKT2_PKS4_S4_S5_PS6_PS9_PS4_,comdat
	.globl	_ZN9rocsparseL32bsr2csr_block_per_row_2_7_kernelILj256ELj6E21rocsparse_complex_numIfEilEEv20rocsparse_direction_T3_S4_21rocsparse_index_base_PKT1_PKT2_PKS4_S4_S5_PS6_PS9_PS4_ ; -- Begin function _ZN9rocsparseL32bsr2csr_block_per_row_2_7_kernelILj256ELj6E21rocsparse_complex_numIfEilEEv20rocsparse_direction_T3_S4_21rocsparse_index_base_PKT1_PKT2_PKS4_S4_S5_PS6_PS9_PS4_
	.p2align	8
	.type	_ZN9rocsparseL32bsr2csr_block_per_row_2_7_kernelILj256ELj6E21rocsparse_complex_numIfEilEEv20rocsparse_direction_T3_S4_21rocsparse_index_base_PKT1_PKT2_PKS4_S4_S5_PS6_PS9_PS4_,@function
_ZN9rocsparseL32bsr2csr_block_per_row_2_7_kernelILj256ELj6E21rocsparse_complex_numIfEilEEv20rocsparse_direction_T3_S4_21rocsparse_index_base_PKT1_PKT2_PKS4_S4_S5_PS6_PS9_PS4_: ; @_ZN9rocsparseL32bsr2csr_block_per_row_2_7_kernelILj256ELj6E21rocsparse_complex_numIfEilEEv20rocsparse_direction_T3_S4_21rocsparse_index_base_PKT1_PKT2_PKS4_S4_S5_PS6_PS9_PS4_
; %bb.0:
	s_clause 0x1
	s_load_b32 s2, s[0:1], 0x40
	s_load_b64 s[6:7], s[0:1], 0x50
	s_bfe_u32 s3, ttmp6, 0x4000c
	s_and_b32 s4, ttmp6, 15
	s_add_co_i32 s3, s3, 1
	s_getreg_b32 s5, hwreg(HW_REG_IB_STS2, 6, 4)
	s_mul_i32 s3, ttmp9, s3
	s_mov_b32 s9, 0
	s_add_co_i32 s4, s4, s3
	s_cmp_eq_u32 s5, 0
	s_mov_b32 s3, exec_lo
	s_cselect_b32 s8, ttmp9, s4
	s_delay_alu instid0(SALU_CYCLE_1) | instskip(NEXT) | instid1(VALU_DEP_1)
	v_or_b32_e32 v1, s8, v0
	v_cmpx_eq_u32_e32 0, v1
	s_cbranch_execz .LBB187_2
; %bb.1:
	s_wait_kmcnt 0x0
	v_dual_mov_b32 v1, 0 :: v_dual_mov_b32 v2, s2
	global_store_b32 v1, v2, s[6:7]
.LBB187_2:
	s_wait_xcnt 0x0
	s_or_b32 exec_lo, exec_lo, s3
	v_and_b32_e32 v4, 7, v0
	s_mov_b32 s3, exec_lo
	s_delay_alu instid0(VALU_DEP_1)
	v_cmpx_gt_u32_e32 6, v4
	s_cbranch_execz .LBB187_6
; %bb.3:
	s_clause 0x1
	s_load_b64 s[10:11], s[0:1], 0x28
	s_load_b32 s4, s[0:1], 0x18
	s_lshl_b64 s[12:13], s[8:9], 2
	v_lshrrev_b32_e32 v5, 3, v0
	s_mul_u64 s[8:9], s[8:9], 24
	s_wait_kmcnt 0x0
	s_add_nc_u64 s[6:7], s[6:7], s[8:9]
	s_add_nc_u64 s[10:11], s[10:11], s[12:13]
	s_load_b64 s[12:13], s[10:11], 0x0
	s_wait_kmcnt 0x0
	s_sub_co_i32 s3, s12, s4
	s_sub_co_i32 s13, s13, s4
	v_add_nc_u32_e32 v8, s3, v5
	s_sub_co_i32 s5, s13, s3
	s_mul_i32 s10, s3, 36
	s_mul_i32 s5, s5, 6
	s_delay_alu instid0(SALU_CYCLE_1) | instskip(SKIP_2) | instid1(VALU_DEP_2)
	v_mul_lo_u32 v6, s5, v4
	s_add_co_i32 s5, s5, s2
	v_cmp_gt_i32_e32 vcc_lo, s13, v8
	v_add3_u32 v0, s5, s10, v6
	global_store_b32 v4, v0, s[6:7] offset:4 scale_offset
	s_wait_xcnt 0x0
	s_and_b32 exec_lo, exec_lo, vcc_lo
	s_cbranch_execz .LBB187_6
; %bb.4:
	s_clause 0x2
	s_load_b64 s[6:7], s[0:1], 0x48
	s_load_b64 s[14:15], s[0:1], 0x20
	s_load_b32 s3, s[0:1], 0x0
	v_dual_mov_b32 v1, 0 :: v_dual_lshlrev_b32 v0, 3, v4
	s_clause 0x1
	s_load_b64 s[8:9], s[0:1], 0x30
	s_load_b64 s[10:11], s[0:1], 0x58
	v_mul_u32_u24_e32 v7, 6, v5
	s_wait_xcnt 0x0
	s_mul_i32 s0, s12, 36
	s_mov_b32 s5, 0
	s_delay_alu instid0(SALU_CYCLE_1)
	s_mov_b32 s1, s5
	v_add3_u32 v6, v6, s0, v7
	s_mul_i32 s0, s4, 36
	s_delay_alu instid0(VALU_DEP_1) | instid1(SALU_CYCLE_1)
	v_subrev_nc_u32_e32 v6, s0, v6
	s_wait_kmcnt 0x0
	v_add_nc_u64_e32 v[2:3], s[14:15], v[0:1]
	v_mul_lo_u32 v0, v8, 36
	s_cmp_eq_u32 s3, 0
	s_mov_b32 s3, s5
	s_cselect_b32 vcc_lo, -1, 0
	s_delay_alu instid0(VALU_DEP_2)
	v_mad_co_u64_u32 v[4:5], null, v4, 40, v[2:3]
.LBB187_5:                              ; =>This Inner Loop Header: Depth=1
	global_load_b64 v[22:23], v8, s[8:9] scale_offset
	v_lshlrev_b64_e32 v[10:11], 3, v[0:1]
	s_wait_xcnt 0x0
	v_dual_ashrrev_i32 v7, 31, v6 :: v_dual_add_nc_u32 v8, 32, v8
	v_add_nc_u32_e32 v0, 0x480, v0
	s_delay_alu instid0(VALU_DEP_2) | instskip(NEXT) | instid1(VALU_DEP_4)
	v_cmp_le_i32_e64 s0, s13, v8
	v_add_nc_u64_e32 v[12:13], v[2:3], v[10:11]
	v_add_nc_u64_e32 v[10:11], v[4:5], v[10:11]
	s_or_b32 s1, s0, s1
	s_delay_alu instid0(VALU_DEP_2) | instskip(NEXT) | instid1(VALU_DEP_2)
	v_add_nc_u64_e32 v[18:19], 48, v[12:13]
	v_add_nc_u64_e32 v[16:17], 8, v[10:11]
	;; [unrolled: 1-line block ×8, first 2 shown]
	v_dual_cndmask_b32 v15, v13, v11 :: v_dual_cndmask_b32 v14, v12, v10
	v_add_nc_u64_e32 v[34:35], 40, v[10:11]
	v_add_nc_u64_e32 v[12:13], 0xf0, v[12:13]
	v_dual_cndmask_b32 v37, v19, v17 :: v_dual_cndmask_b32 v36, v18, v16
	v_dual_cndmask_b32 v25, v25, v21 :: v_dual_cndmask_b32 v24, v24, v20
	;; [unrolled: 1-line block ×5, first 2 shown]
	global_load_b64 v[10:11], v[14:15], off
	global_load_b64 v[12:13], v[36:37], off
	;; [unrolled: 1-line block ×6, first 2 shown]
	s_wait_loadcnt 0x6
	s_wait_xcnt 0x3
	v_sub_nc_u64_e64 v[24:25], v[22:23], s[4:5]
	s_delay_alu instid0(VALU_DEP_1) | instskip(NEXT) | instid1(VALU_DEP_1)
	v_mad_nc_u64_u32 v[22:23], v24, 6, s[2:3]
	v_mad_u32 v23, v25, 6, v23
	v_lshlrev_b64_e32 v[24:25], 3, v[6:7]
	v_add_nc_u32_e32 v6, 0xc0, v6
	s_delay_alu instid0(VALU_DEP_2)
	v_add_nc_u64_e32 v[36:37], s[6:7], v[24:25]
	v_add_nc_u64_e32 v[34:35], s[10:11], v[24:25]
	;; [unrolled: 1-line block ×3, first 2 shown]
	s_wait_xcnt 0x2
	v_add_nc_u64_e32 v[26:27], 2, v[22:23]
	s_wait_xcnt 0x1
	v_add_nc_u64_e32 v[28:29], 3, v[22:23]
	;; [unrolled: 2-line block ×3, first 2 shown]
	v_add_nc_u64_e32 v[32:33], 5, v[22:23]
	s_wait_loadcnt 0x4
	global_store_b128 v[36:37], v[10:13], off
	s_wait_loadcnt 0x2
	global_store_b128 v[36:37], v[14:17], off offset:16
	s_wait_loadcnt 0x0
	global_store_b128 v[36:37], v[18:21], off offset:32
	s_clause 0x2
	global_store_b128 v[34:35], v[22:25], off
	global_store_b128 v[34:35], v[26:29], off offset:16
	global_store_b128 v[34:35], v[30:33], off offset:32
	s_wait_xcnt 0x0
	s_and_not1_b32 exec_lo, exec_lo, s1
	s_cbranch_execnz .LBB187_5
.LBB187_6:
	s_endpgm
	.section	.rodata,"a",@progbits
	.p2align	6, 0x0
	.amdhsa_kernel _ZN9rocsparseL32bsr2csr_block_per_row_2_7_kernelILj256ELj6E21rocsparse_complex_numIfEilEEv20rocsparse_direction_T3_S4_21rocsparse_index_base_PKT1_PKT2_PKS4_S4_S5_PS6_PS9_PS4_
		.amdhsa_group_segment_fixed_size 0
		.amdhsa_private_segment_fixed_size 0
		.amdhsa_kernarg_size 96
		.amdhsa_user_sgpr_count 2
		.amdhsa_user_sgpr_dispatch_ptr 0
		.amdhsa_user_sgpr_queue_ptr 0
		.amdhsa_user_sgpr_kernarg_segment_ptr 1
		.amdhsa_user_sgpr_dispatch_id 0
		.amdhsa_user_sgpr_kernarg_preload_length 0
		.amdhsa_user_sgpr_kernarg_preload_offset 0
		.amdhsa_user_sgpr_private_segment_size 0
		.amdhsa_wavefront_size32 1
		.amdhsa_uses_dynamic_stack 0
		.amdhsa_enable_private_segment 0
		.amdhsa_system_sgpr_workgroup_id_x 1
		.amdhsa_system_sgpr_workgroup_id_y 0
		.amdhsa_system_sgpr_workgroup_id_z 0
		.amdhsa_system_sgpr_workgroup_info 0
		.amdhsa_system_vgpr_workitem_id 0
		.amdhsa_next_free_vgpr 38
		.amdhsa_next_free_sgpr 16
		.amdhsa_named_barrier_count 0
		.amdhsa_reserve_vcc 1
		.amdhsa_float_round_mode_32 0
		.amdhsa_float_round_mode_16_64 0
		.amdhsa_float_denorm_mode_32 3
		.amdhsa_float_denorm_mode_16_64 3
		.amdhsa_fp16_overflow 0
		.amdhsa_memory_ordered 1
		.amdhsa_forward_progress 1
		.amdhsa_inst_pref_size 7
		.amdhsa_round_robin_scheduling 0
		.amdhsa_exception_fp_ieee_invalid_op 0
		.amdhsa_exception_fp_denorm_src 0
		.amdhsa_exception_fp_ieee_div_zero 0
		.amdhsa_exception_fp_ieee_overflow 0
		.amdhsa_exception_fp_ieee_underflow 0
		.amdhsa_exception_fp_ieee_inexact 0
		.amdhsa_exception_int_div_zero 0
	.end_amdhsa_kernel
	.section	.text._ZN9rocsparseL32bsr2csr_block_per_row_2_7_kernelILj256ELj6E21rocsparse_complex_numIfEilEEv20rocsparse_direction_T3_S4_21rocsparse_index_base_PKT1_PKT2_PKS4_S4_S5_PS6_PS9_PS4_,"axG",@progbits,_ZN9rocsparseL32bsr2csr_block_per_row_2_7_kernelILj256ELj6E21rocsparse_complex_numIfEilEEv20rocsparse_direction_T3_S4_21rocsparse_index_base_PKT1_PKT2_PKS4_S4_S5_PS6_PS9_PS4_,comdat
.Lfunc_end187:
	.size	_ZN9rocsparseL32bsr2csr_block_per_row_2_7_kernelILj256ELj6E21rocsparse_complex_numIfEilEEv20rocsparse_direction_T3_S4_21rocsparse_index_base_PKT1_PKT2_PKS4_S4_S5_PS6_PS9_PS4_, .Lfunc_end187-_ZN9rocsparseL32bsr2csr_block_per_row_2_7_kernelILj256ELj6E21rocsparse_complex_numIfEilEEv20rocsparse_direction_T3_S4_21rocsparse_index_base_PKT1_PKT2_PKS4_S4_S5_PS6_PS9_PS4_
                                        ; -- End function
	.set _ZN9rocsparseL32bsr2csr_block_per_row_2_7_kernelILj256ELj6E21rocsparse_complex_numIfEilEEv20rocsparse_direction_T3_S4_21rocsparse_index_base_PKT1_PKT2_PKS4_S4_S5_PS6_PS9_PS4_.num_vgpr, 38
	.set _ZN9rocsparseL32bsr2csr_block_per_row_2_7_kernelILj256ELj6E21rocsparse_complex_numIfEilEEv20rocsparse_direction_T3_S4_21rocsparse_index_base_PKT1_PKT2_PKS4_S4_S5_PS6_PS9_PS4_.num_agpr, 0
	.set _ZN9rocsparseL32bsr2csr_block_per_row_2_7_kernelILj256ELj6E21rocsparse_complex_numIfEilEEv20rocsparse_direction_T3_S4_21rocsparse_index_base_PKT1_PKT2_PKS4_S4_S5_PS6_PS9_PS4_.numbered_sgpr, 16
	.set _ZN9rocsparseL32bsr2csr_block_per_row_2_7_kernelILj256ELj6E21rocsparse_complex_numIfEilEEv20rocsparse_direction_T3_S4_21rocsparse_index_base_PKT1_PKT2_PKS4_S4_S5_PS6_PS9_PS4_.num_named_barrier, 0
	.set _ZN9rocsparseL32bsr2csr_block_per_row_2_7_kernelILj256ELj6E21rocsparse_complex_numIfEilEEv20rocsparse_direction_T3_S4_21rocsparse_index_base_PKT1_PKT2_PKS4_S4_S5_PS6_PS9_PS4_.private_seg_size, 0
	.set _ZN9rocsparseL32bsr2csr_block_per_row_2_7_kernelILj256ELj6E21rocsparse_complex_numIfEilEEv20rocsparse_direction_T3_S4_21rocsparse_index_base_PKT1_PKT2_PKS4_S4_S5_PS6_PS9_PS4_.uses_vcc, 1
	.set _ZN9rocsparseL32bsr2csr_block_per_row_2_7_kernelILj256ELj6E21rocsparse_complex_numIfEilEEv20rocsparse_direction_T3_S4_21rocsparse_index_base_PKT1_PKT2_PKS4_S4_S5_PS6_PS9_PS4_.uses_flat_scratch, 0
	.set _ZN9rocsparseL32bsr2csr_block_per_row_2_7_kernelILj256ELj6E21rocsparse_complex_numIfEilEEv20rocsparse_direction_T3_S4_21rocsparse_index_base_PKT1_PKT2_PKS4_S4_S5_PS6_PS9_PS4_.has_dyn_sized_stack, 0
	.set _ZN9rocsparseL32bsr2csr_block_per_row_2_7_kernelILj256ELj6E21rocsparse_complex_numIfEilEEv20rocsparse_direction_T3_S4_21rocsparse_index_base_PKT1_PKT2_PKS4_S4_S5_PS6_PS9_PS4_.has_recursion, 0
	.set _ZN9rocsparseL32bsr2csr_block_per_row_2_7_kernelILj256ELj6E21rocsparse_complex_numIfEilEEv20rocsparse_direction_T3_S4_21rocsparse_index_base_PKT1_PKT2_PKS4_S4_S5_PS6_PS9_PS4_.has_indirect_call, 0
	.section	.AMDGPU.csdata,"",@progbits
; Kernel info:
; codeLenInByte = 844
; TotalNumSgprs: 18
; NumVgprs: 38
; ScratchSize: 0
; MemoryBound: 0
; FloatMode: 240
; IeeeMode: 1
; LDSByteSize: 0 bytes/workgroup (compile time only)
; SGPRBlocks: 0
; VGPRBlocks: 2
; NumSGPRsForWavesPerEU: 18
; NumVGPRsForWavesPerEU: 38
; NamedBarCnt: 0
; Occupancy: 16
; WaveLimiterHint : 0
; COMPUTE_PGM_RSRC2:SCRATCH_EN: 0
; COMPUTE_PGM_RSRC2:USER_SGPR: 2
; COMPUTE_PGM_RSRC2:TRAP_HANDLER: 0
; COMPUTE_PGM_RSRC2:TGID_X_EN: 1
; COMPUTE_PGM_RSRC2:TGID_Y_EN: 0
; COMPUTE_PGM_RSRC2:TGID_Z_EN: 0
; COMPUTE_PGM_RSRC2:TIDIG_COMP_CNT: 0
	.section	.text._ZN9rocsparseL32bsr2csr_block_per_row_2_7_kernelILj256ELj7E21rocsparse_complex_numIfEilEEv20rocsparse_direction_T3_S4_21rocsparse_index_base_PKT1_PKT2_PKS4_S4_S5_PS6_PS9_PS4_,"axG",@progbits,_ZN9rocsparseL32bsr2csr_block_per_row_2_7_kernelILj256ELj7E21rocsparse_complex_numIfEilEEv20rocsparse_direction_T3_S4_21rocsparse_index_base_PKT1_PKT2_PKS4_S4_S5_PS6_PS9_PS4_,comdat
	.globl	_ZN9rocsparseL32bsr2csr_block_per_row_2_7_kernelILj256ELj7E21rocsparse_complex_numIfEilEEv20rocsparse_direction_T3_S4_21rocsparse_index_base_PKT1_PKT2_PKS4_S4_S5_PS6_PS9_PS4_ ; -- Begin function _ZN9rocsparseL32bsr2csr_block_per_row_2_7_kernelILj256ELj7E21rocsparse_complex_numIfEilEEv20rocsparse_direction_T3_S4_21rocsparse_index_base_PKT1_PKT2_PKS4_S4_S5_PS6_PS9_PS4_
	.p2align	8
	.type	_ZN9rocsparseL32bsr2csr_block_per_row_2_7_kernelILj256ELj7E21rocsparse_complex_numIfEilEEv20rocsparse_direction_T3_S4_21rocsparse_index_base_PKT1_PKT2_PKS4_S4_S5_PS6_PS9_PS4_,@function
_ZN9rocsparseL32bsr2csr_block_per_row_2_7_kernelILj256ELj7E21rocsparse_complex_numIfEilEEv20rocsparse_direction_T3_S4_21rocsparse_index_base_PKT1_PKT2_PKS4_S4_S5_PS6_PS9_PS4_: ; @_ZN9rocsparseL32bsr2csr_block_per_row_2_7_kernelILj256ELj7E21rocsparse_complex_numIfEilEEv20rocsparse_direction_T3_S4_21rocsparse_index_base_PKT1_PKT2_PKS4_S4_S5_PS6_PS9_PS4_
; %bb.0:
	s_clause 0x1
	s_load_b32 s2, s[0:1], 0x40
	s_load_b64 s[6:7], s[0:1], 0x50
	s_bfe_u32 s3, ttmp6, 0x4000c
	s_and_b32 s4, ttmp6, 15
	s_add_co_i32 s3, s3, 1
	s_getreg_b32 s5, hwreg(HW_REG_IB_STS2, 6, 4)
	s_mul_i32 s3, ttmp9, s3
	s_mov_b32 s9, 0
	s_add_co_i32 s4, s4, s3
	s_cmp_eq_u32 s5, 0
	s_mov_b32 s3, exec_lo
	s_cselect_b32 s8, ttmp9, s4
	s_delay_alu instid0(SALU_CYCLE_1) | instskip(NEXT) | instid1(VALU_DEP_1)
	v_or_b32_e32 v1, s8, v0
	v_cmpx_eq_u32_e32 0, v1
	s_cbranch_execz .LBB188_2
; %bb.1:
	s_wait_kmcnt 0x0
	v_dual_mov_b32 v1, 0 :: v_dual_mov_b32 v2, s2
	global_store_b32 v1, v2, s[6:7]
.LBB188_2:
	s_wait_xcnt 0x0
	s_or_b32 exec_lo, exec_lo, s3
	v_and_b32_e32 v4, 7, v0
	s_mov_b32 s3, exec_lo
	s_delay_alu instid0(VALU_DEP_1)
	v_cmpx_ne_u32_e32 7, v4
	s_cbranch_execz .LBB188_6
; %bb.3:
	s_clause 0x1
	s_load_b64 s[10:11], s[0:1], 0x28
	s_load_b32 s4, s[0:1], 0x18
	s_lshl_b64 s[12:13], s[8:9], 2
	v_lshrrev_b32_e32 v5, 3, v0
	s_mul_u64 s[8:9], s[8:9], 28
	s_wait_kmcnt 0x0
	s_add_nc_u64 s[6:7], s[6:7], s[8:9]
	s_add_nc_u64 s[10:11], s[10:11], s[12:13]
	s_load_b64 s[12:13], s[10:11], 0x0
	s_wait_kmcnt 0x0
	s_sub_co_i32 s3, s12, s4
	s_sub_co_i32 s13, s13, s4
	v_add_nc_u32_e32 v8, s3, v5
	s_sub_co_i32 s5, s13, s3
	s_mul_i32 s10, s3, 49
	s_mul_i32 s5, s5, 7
	s_delay_alu instid0(SALU_CYCLE_1) | instskip(SKIP_2) | instid1(VALU_DEP_2)
	v_mul_lo_u32 v6, s5, v4
	s_add_co_i32 s5, s5, s2
	v_cmp_gt_i32_e32 vcc_lo, s13, v8
	v_add3_u32 v0, s5, s10, v6
	global_store_b32 v4, v0, s[6:7] offset:4 scale_offset
	s_wait_xcnt 0x0
	s_and_b32 exec_lo, exec_lo, vcc_lo
	s_cbranch_execz .LBB188_6
; %bb.4:
	s_clause 0x2
	s_load_b64 s[6:7], s[0:1], 0x48
	s_load_b64 s[14:15], s[0:1], 0x20
	s_load_b32 s3, s[0:1], 0x0
	v_dual_mov_b32 v1, 0 :: v_dual_lshlrev_b32 v0, 3, v4
	s_clause 0x1
	s_load_b64 s[8:9], s[0:1], 0x30
	s_load_b64 s[10:11], s[0:1], 0x58
	v_mul_u32_u24_e32 v7, 7, v5
	s_wait_xcnt 0x0
	s_mul_i32 s0, s12, 49
	s_mov_b32 s5, 0
	s_delay_alu instid0(SALU_CYCLE_1)
	s_mov_b32 s1, s5
	v_add3_u32 v6, v6, s0, v7
	s_mul_i32 s0, s4, 49
	s_delay_alu instid0(VALU_DEP_1) | instid1(SALU_CYCLE_1)
	v_subrev_nc_u32_e32 v6, s0, v6
	s_wait_kmcnt 0x0
	v_add_nc_u64_e32 v[2:3], s[14:15], v[0:1]
	v_mul_lo_u32 v0, v8, 49
	s_cmp_eq_u32 s3, 0
	s_mov_b32 s3, s5
	s_cselect_b32 vcc_lo, -1, 0
	s_delay_alu instid0(VALU_DEP_2)
	v_mad_co_u64_u32 v[4:5], null, v4, 48, v[2:3]
.LBB188_5:                              ; =>This Inner Loop Header: Depth=1
	global_load_b64 v[22:23], v8, s[8:9] scale_offset
	v_lshlrev_b64_e32 v[10:11], 3, v[0:1]
	s_wait_xcnt 0x0
	v_dual_add_nc_u32 v8, 32, v8 :: v_dual_ashrrev_i32 v7, 31, v6
	v_add_nc_u32_e32 v0, 0x620, v0
	s_delay_alu instid0(VALU_DEP_2) | instskip(NEXT) | instid1(VALU_DEP_4)
	v_cmp_le_i32_e64 s0, s13, v8
	v_add_nc_u64_e32 v[12:13], v[2:3], v[10:11]
	v_add_nc_u64_e32 v[10:11], v[4:5], v[10:11]
	s_or_b32 s1, s0, s1
	s_delay_alu instid0(VALU_DEP_2) | instskip(NEXT) | instid1(VALU_DEP_2)
	v_add_nc_u64_e32 v[18:19], 56, v[12:13]
	v_add_nc_u64_e32 v[16:17], 8, v[10:11]
	;; [unrolled: 1-line block ×6, first 2 shown]
	v_dual_cndmask_b32 v15, v13, v11 :: v_dual_cndmask_b32 v14, v12, v10
	v_add_nc_u64_e32 v[30:31], 32, v[10:11]
	v_add_nc_u64_e32 v[32:33], 0xe0, v[12:13]
	;; [unrolled: 1-line block ×6, first 2 shown]
	v_dual_cndmask_b32 v41, v19, v17 :: v_dual_cndmask_b32 v40, v18, v16
	v_dual_cndmask_b32 v25, v25, v21 :: v_dual_cndmask_b32 v24, v24, v20
	v_dual_cndmask_b32 v27, v29, v27 :: v_dual_cndmask_b32 v26, v28, v26
	global_load_b64 v[10:11], v[14:15], off
	v_dual_cndmask_b32 v29, v33, v31 :: v_dual_cndmask_b32 v28, v32, v30
	v_dual_cndmask_b32 v33, v13, v39 :: v_dual_cndmask_b32 v32, v12, v38
	;; [unrolled: 1-line block ×3, first 2 shown]
	global_load_b64 v[12:13], v[40:41], off
	global_load_b64 v[14:15], v[24:25], off
	global_load_b64 v[16:17], v[26:27], off
	global_load_b64 v[34:35], v[32:33], off
	global_load_b64 v[18:19], v[28:29], off
	global_load_b64 v[20:21], v[30:31], off
	s_wait_xcnt 0x3
	v_lshlrev_b64_e32 v[26:27], 3, v[6:7]
	s_wait_xcnt 0x1
	s_delay_alu instid0(VALU_DEP_1)
	v_add_nc_u64_e32 v[28:29], s[6:7], v[26:27]
	v_add_nc_u64_e32 v[26:27], s[10:11], v[26:27]
	s_wait_loadcnt 0x5
	global_store_b128 v[28:29], v[10:13], off
	s_wait_loadcnt 0x3
	global_store_b128 v[28:29], v[14:17], off offset:16
	v_sub_nc_u64_e64 v[24:25], v[22:23], s[4:5]
	s_delay_alu instid0(VALU_DEP_1) | instskip(NEXT) | instid1(VALU_DEP_1)
	v_mad_nc_u64_u32 v[22:23], v24, 7, s[2:3]
	v_mad_u32 v23, v25, 7, v23
	s_wait_xcnt 0x2
	s_delay_alu instid0(VALU_DEP_1)
	v_add_nc_u64_e32 v[30:31], 6, v[22:23]
	v_add_nc_u64_e32 v[24:25], 1, v[22:23]
	s_wait_xcnt 0x1
	v_add_nc_u64_e32 v[10:11], 2, v[22:23]
	v_add_nc_u64_e32 v[12:13], 3, v[22:23]
	global_store_b64 v6, v[30:31], s[10:11] offset:48 scale_offset
	s_wait_loadcnt 0x2
	global_store_b64 v6, v[34:35], s[6:7] offset:48 scale_offset
	s_wait_xcnt 0x0
	v_add_nc_u32_e32 v6, 0xe0, v6
	v_add_nc_u64_e32 v[14:15], 4, v[22:23]
	v_add_nc_u64_e32 v[16:17], 5, v[22:23]
	s_wait_loadcnt 0x0
	global_store_b128 v[28:29], v[18:21], off offset:32
	s_clause 0x2
	global_store_b128 v[26:27], v[22:25], off
	global_store_b128 v[26:27], v[10:13], off offset:16
	global_store_b128 v[26:27], v[14:17], off offset:32
	s_wait_xcnt 0x0
	s_and_not1_b32 exec_lo, exec_lo, s1
	s_cbranch_execnz .LBB188_5
.LBB188_6:
	s_endpgm
	.section	.rodata,"a",@progbits
	.p2align	6, 0x0
	.amdhsa_kernel _ZN9rocsparseL32bsr2csr_block_per_row_2_7_kernelILj256ELj7E21rocsparse_complex_numIfEilEEv20rocsparse_direction_T3_S4_21rocsparse_index_base_PKT1_PKT2_PKS4_S4_S5_PS6_PS9_PS4_
		.amdhsa_group_segment_fixed_size 0
		.amdhsa_private_segment_fixed_size 0
		.amdhsa_kernarg_size 96
		.amdhsa_user_sgpr_count 2
		.amdhsa_user_sgpr_dispatch_ptr 0
		.amdhsa_user_sgpr_queue_ptr 0
		.amdhsa_user_sgpr_kernarg_segment_ptr 1
		.amdhsa_user_sgpr_dispatch_id 0
		.amdhsa_user_sgpr_kernarg_preload_length 0
		.amdhsa_user_sgpr_kernarg_preload_offset 0
		.amdhsa_user_sgpr_private_segment_size 0
		.amdhsa_wavefront_size32 1
		.amdhsa_uses_dynamic_stack 0
		.amdhsa_enable_private_segment 0
		.amdhsa_system_sgpr_workgroup_id_x 1
		.amdhsa_system_sgpr_workgroup_id_y 0
		.amdhsa_system_sgpr_workgroup_id_z 0
		.amdhsa_system_sgpr_workgroup_info 0
		.amdhsa_system_vgpr_workitem_id 0
		.amdhsa_next_free_vgpr 42
		.amdhsa_next_free_sgpr 16
		.amdhsa_named_barrier_count 0
		.amdhsa_reserve_vcc 1
		.amdhsa_float_round_mode_32 0
		.amdhsa_float_round_mode_16_64 0
		.amdhsa_float_denorm_mode_32 3
		.amdhsa_float_denorm_mode_16_64 3
		.amdhsa_fp16_overflow 0
		.amdhsa_memory_ordered 1
		.amdhsa_forward_progress 1
		.amdhsa_inst_pref_size 8
		.amdhsa_round_robin_scheduling 0
		.amdhsa_exception_fp_ieee_invalid_op 0
		.amdhsa_exception_fp_denorm_src 0
		.amdhsa_exception_fp_ieee_div_zero 0
		.amdhsa_exception_fp_ieee_overflow 0
		.amdhsa_exception_fp_ieee_underflow 0
		.amdhsa_exception_fp_ieee_inexact 0
		.amdhsa_exception_int_div_zero 0
	.end_amdhsa_kernel
	.section	.text._ZN9rocsparseL32bsr2csr_block_per_row_2_7_kernelILj256ELj7E21rocsparse_complex_numIfEilEEv20rocsparse_direction_T3_S4_21rocsparse_index_base_PKT1_PKT2_PKS4_S4_S5_PS6_PS9_PS4_,"axG",@progbits,_ZN9rocsparseL32bsr2csr_block_per_row_2_7_kernelILj256ELj7E21rocsparse_complex_numIfEilEEv20rocsparse_direction_T3_S4_21rocsparse_index_base_PKT1_PKT2_PKS4_S4_S5_PS6_PS9_PS4_,comdat
.Lfunc_end188:
	.size	_ZN9rocsparseL32bsr2csr_block_per_row_2_7_kernelILj256ELj7E21rocsparse_complex_numIfEilEEv20rocsparse_direction_T3_S4_21rocsparse_index_base_PKT1_PKT2_PKS4_S4_S5_PS6_PS9_PS4_, .Lfunc_end188-_ZN9rocsparseL32bsr2csr_block_per_row_2_7_kernelILj256ELj7E21rocsparse_complex_numIfEilEEv20rocsparse_direction_T3_S4_21rocsparse_index_base_PKT1_PKT2_PKS4_S4_S5_PS6_PS9_PS4_
                                        ; -- End function
	.set _ZN9rocsparseL32bsr2csr_block_per_row_2_7_kernelILj256ELj7E21rocsparse_complex_numIfEilEEv20rocsparse_direction_T3_S4_21rocsparse_index_base_PKT1_PKT2_PKS4_S4_S5_PS6_PS9_PS4_.num_vgpr, 42
	.set _ZN9rocsparseL32bsr2csr_block_per_row_2_7_kernelILj256ELj7E21rocsparse_complex_numIfEilEEv20rocsparse_direction_T3_S4_21rocsparse_index_base_PKT1_PKT2_PKS4_S4_S5_PS6_PS9_PS4_.num_agpr, 0
	.set _ZN9rocsparseL32bsr2csr_block_per_row_2_7_kernelILj256ELj7E21rocsparse_complex_numIfEilEEv20rocsparse_direction_T3_S4_21rocsparse_index_base_PKT1_PKT2_PKS4_S4_S5_PS6_PS9_PS4_.numbered_sgpr, 16
	.set _ZN9rocsparseL32bsr2csr_block_per_row_2_7_kernelILj256ELj7E21rocsparse_complex_numIfEilEEv20rocsparse_direction_T3_S4_21rocsparse_index_base_PKT1_PKT2_PKS4_S4_S5_PS6_PS9_PS4_.num_named_barrier, 0
	.set _ZN9rocsparseL32bsr2csr_block_per_row_2_7_kernelILj256ELj7E21rocsparse_complex_numIfEilEEv20rocsparse_direction_T3_S4_21rocsparse_index_base_PKT1_PKT2_PKS4_S4_S5_PS6_PS9_PS4_.private_seg_size, 0
	.set _ZN9rocsparseL32bsr2csr_block_per_row_2_7_kernelILj256ELj7E21rocsparse_complex_numIfEilEEv20rocsparse_direction_T3_S4_21rocsparse_index_base_PKT1_PKT2_PKS4_S4_S5_PS6_PS9_PS4_.uses_vcc, 1
	.set _ZN9rocsparseL32bsr2csr_block_per_row_2_7_kernelILj256ELj7E21rocsparse_complex_numIfEilEEv20rocsparse_direction_T3_S4_21rocsparse_index_base_PKT1_PKT2_PKS4_S4_S5_PS6_PS9_PS4_.uses_flat_scratch, 0
	.set _ZN9rocsparseL32bsr2csr_block_per_row_2_7_kernelILj256ELj7E21rocsparse_complex_numIfEilEEv20rocsparse_direction_T3_S4_21rocsparse_index_base_PKT1_PKT2_PKS4_S4_S5_PS6_PS9_PS4_.has_dyn_sized_stack, 0
	.set _ZN9rocsparseL32bsr2csr_block_per_row_2_7_kernelILj256ELj7E21rocsparse_complex_numIfEilEEv20rocsparse_direction_T3_S4_21rocsparse_index_base_PKT1_PKT2_PKS4_S4_S5_PS6_PS9_PS4_.has_recursion, 0
	.set _ZN9rocsparseL32bsr2csr_block_per_row_2_7_kernelILj256ELj7E21rocsparse_complex_numIfEilEEv20rocsparse_direction_T3_S4_21rocsparse_index_base_PKT1_PKT2_PKS4_S4_S5_PS6_PS9_PS4_.has_indirect_call, 0
	.section	.AMDGPU.csdata,"",@progbits
; Kernel info:
; codeLenInByte = 912
; TotalNumSgprs: 18
; NumVgprs: 42
; ScratchSize: 0
; MemoryBound: 0
; FloatMode: 240
; IeeeMode: 1
; LDSByteSize: 0 bytes/workgroup (compile time only)
; SGPRBlocks: 0
; VGPRBlocks: 2
; NumSGPRsForWavesPerEU: 18
; NumVGPRsForWavesPerEU: 42
; NamedBarCnt: 0
; Occupancy: 16
; WaveLimiterHint : 0
; COMPUTE_PGM_RSRC2:SCRATCH_EN: 0
; COMPUTE_PGM_RSRC2:USER_SGPR: 2
; COMPUTE_PGM_RSRC2:TRAP_HANDLER: 0
; COMPUTE_PGM_RSRC2:TGID_X_EN: 1
; COMPUTE_PGM_RSRC2:TGID_Y_EN: 0
; COMPUTE_PGM_RSRC2:TGID_Z_EN: 0
; COMPUTE_PGM_RSRC2:TIDIG_COMP_CNT: 0
	.section	.text._ZN9rocsparseL33bsr2csr_block_per_row_8_32_kernelILj1024ELj8E21rocsparse_complex_numIfEilEEv20rocsparse_direction_T3_S4_21rocsparse_index_base_PKT1_PKT2_PKS4_S4_S5_PS6_PS9_PS4_,"axG",@progbits,_ZN9rocsparseL33bsr2csr_block_per_row_8_32_kernelILj1024ELj8E21rocsparse_complex_numIfEilEEv20rocsparse_direction_T3_S4_21rocsparse_index_base_PKT1_PKT2_PKS4_S4_S5_PS6_PS9_PS4_,comdat
	.globl	_ZN9rocsparseL33bsr2csr_block_per_row_8_32_kernelILj1024ELj8E21rocsparse_complex_numIfEilEEv20rocsparse_direction_T3_S4_21rocsparse_index_base_PKT1_PKT2_PKS4_S4_S5_PS6_PS9_PS4_ ; -- Begin function _ZN9rocsparseL33bsr2csr_block_per_row_8_32_kernelILj1024ELj8E21rocsparse_complex_numIfEilEEv20rocsparse_direction_T3_S4_21rocsparse_index_base_PKT1_PKT2_PKS4_S4_S5_PS6_PS9_PS4_
	.p2align	8
	.type	_ZN9rocsparseL33bsr2csr_block_per_row_8_32_kernelILj1024ELj8E21rocsparse_complex_numIfEilEEv20rocsparse_direction_T3_S4_21rocsparse_index_base_PKT1_PKT2_PKS4_S4_S5_PS6_PS9_PS4_,@function
_ZN9rocsparseL33bsr2csr_block_per_row_8_32_kernelILj1024ELj8E21rocsparse_complex_numIfEilEEv20rocsparse_direction_T3_S4_21rocsparse_index_base_PKT1_PKT2_PKS4_S4_S5_PS6_PS9_PS4_: ; @_ZN9rocsparseL33bsr2csr_block_per_row_8_32_kernelILj1024ELj8E21rocsparse_complex_numIfEilEEv20rocsparse_direction_T3_S4_21rocsparse_index_base_PKT1_PKT2_PKS4_S4_S5_PS6_PS9_PS4_
; %bb.0:
	s_clause 0x1
	s_load_b32 s6, s[0:1], 0x40
	s_load_b64 s[10:11], s[0:1], 0x50
	s_bfe_u32 s2, ttmp6, 0x4000c
	s_and_b32 s3, ttmp6, 15
	s_add_co_i32 s2, s2, 1
	s_getreg_b32 s4, hwreg(HW_REG_IB_STS2, 6, 4)
	s_mul_i32 s2, ttmp9, s2
	s_mov_b32 s13, 0
	s_add_co_i32 s3, s3, s2
	s_cmp_eq_u32 s4, 0
	s_mov_b32 s2, exec_lo
	s_cselect_b32 s12, ttmp9, s3
	s_delay_alu instid0(SALU_CYCLE_1) | instskip(NEXT) | instid1(VALU_DEP_1)
	v_or_b32_e32 v1, s12, v0
	v_cmpx_eq_u32_e32 0, v1
	s_cbranch_execz .LBB189_2
; %bb.1:
	s_wait_kmcnt 0x0
	v_dual_mov_b32 v1, 0 :: v_dual_mov_b32 v2, s6
	global_store_b32 v1, v2, s[10:11]
.LBB189_2:
	s_wait_xcnt 0x0
	s_or_b32 exec_lo, exec_lo, s2
	v_dual_mov_b32 v3, 0 :: v_dual_bitop2_b32 v2, 7, v0 bitop3:0x40
	v_bfe_u32 v4, v0, 3, 3
	s_load_b64 s[2:3], s[0:1], 0x38
	s_mov_b32 s4, exec_lo
	s_delay_alu instid0(VALU_DEP_2) | instskip(NEXT) | instid1(VALU_DEP_1)
	v_mov_b32_e32 v5, v3
	v_max_i64 v[6:7], v[4:5], v[2:3]
	s_wait_kmcnt 0x0
	s_delay_alu instid0(VALU_DEP_1)
	v_cmpx_gt_i64_e64 s[2:3], v[6:7]
	s_cbranch_execz .LBB189_6
; %bb.3:
	s_clause 0x1
	s_load_b64 s[8:9], s[0:1], 0x28
	s_load_b32 s4, s[0:1], 0x18
	s_lshl_b64 s[14:15], s[12:13], 2
	v_lshrrev_b32_e32 v1, 6, v0
	s_mul_u64 s[12:13], s[2:3], s[12:13]
	s_delay_alu instid0(SALU_CYCLE_1) | instskip(NEXT) | instid1(SALU_CYCLE_1)
	s_lshl_b64 s[12:13], s[12:13], 2
	s_add_nc_u64 s[10:11], s[10:11], s[12:13]
	s_wait_kmcnt 0x0
	s_add_nc_u64 s[8:9], s[8:9], s[14:15]
	s_load_b64 s[14:15], s[8:9], 0x0
	s_wait_xcnt 0x0
	s_mul_u64 s[8:9], s[2:3], s[2:3]
	s_wait_kmcnt 0x0
	s_sub_co_i32 s7, s14, s4
	s_sub_co_i32 s16, s15, s4
	s_mul_i32 s15, s8, s7
	s_sub_co_i32 s5, s16, s7
	v_add_nc_u32_e32 v0, s7, v1
	s_mul_i32 s14, s2, s5
	s_delay_alu instid0(SALU_CYCLE_1) | instskip(NEXT) | instid1(SALU_CYCLE_1)
	s_add_co_i32 s17, s6, s14
	s_add_co_i32 s17, s17, s15
	s_delay_alu instid0(VALU_DEP_1)
	v_cmp_gt_i32_e32 vcc_lo, s16, v0
	v_mad_u32 v6, s14, v4, s17
	global_store_b32 v4, v6, s[10:11] offset:4 scale_offset
	s_wait_xcnt 0x0
	s_and_b32 exec_lo, exec_lo, vcc_lo
	s_cbranch_execz .LBB189_6
; %bb.4:
	v_mul_u64_e32 v[6:7], s[2:3], v[2:3]
	v_mul_u64_e32 v[8:9], s[2:3], v[4:5]
	s_clause 0x2
	s_load_b64 s[10:11], s[0:1], 0x48
	s_load_b64 s[18:19], s[0:1], 0x20
	s_load_b32 s17, s[0:1], 0x0
	v_mad_u32 v1, s2, s7, v1
	v_dual_mov_b32 v11, 0 :: v_dual_lshlrev_b32 v10, 3, v4
	s_clause 0x1
	s_load_b64 s[12:13], s[0:1], 0x30
	s_load_b64 s[14:15], s[0:1], 0x58
	s_delay_alu instid0(VALU_DEP_2) | instskip(SKIP_1) | instid1(SALU_CYCLE_1)
	v_mad_u32 v1, s5, v4, v1
	s_mov_b32 s5, 0
	s_mov_b32 s7, s5
	s_wait_xcnt 0x0
	s_mov_b32 s0, s5
	s_wait_kmcnt 0x0
	s_cmp_eq_u32 s17, 0
	s_cselect_b32 vcc_lo, -1, 0
	s_lshl_b32 s1, s2, 4
	v_lshl_add_u64 v[6:7], v[6:7], 3, s[18:19]
	v_lshl_add_u64 v[4:5], v[8:9], 3, s[18:19]
	s_delay_alu instid0(VALU_DEP_2) | instskip(SKIP_1) | instid1(VALU_DEP_1)
	v_add_nc_u64_e32 v[6:7], v[6:7], v[10:11]
	v_lshlrev_b32_e32 v10, 3, v2
	v_add_nc_u64_e32 v[8:9], v[4:5], v[10:11]
	v_mad_u32 v5, s2, v1, v2
	v_add_nc_u64_e32 v[2:3], s[6:7], v[2:3]
	s_mov_b32 s6, s5
	s_delay_alu instid0(VALU_DEP_3) | instskip(NEXT) | instid1(VALU_DEP_4)
	v_dual_mov_b32 v4, v11 :: v_dual_cndmask_b32 v6, v6, v8, vcc_lo
	v_cndmask_b32_e32 v7, v7, v9, vcc_lo
.LBB189_5:                              ; =>This Inner Loop Header: Depth=1
	v_ashrrev_i32_e32 v1, 31, v0
	global_load_b64 v[8:9], v0, s[12:13] scale_offset
	v_ashrrev_i64 v[14:15], 29, v[4:5]
	v_add_nc_u64_e32 v[4:5], s[0:1], v[4:5]
	v_mul_u64_e32 v[10:11], s[8:9], v[0:1]
	s_wait_xcnt 0x0
	v_add_nc_u32_e32 v0, 16, v0
	s_delay_alu instid0(VALU_DEP_1) | instskip(SKIP_1) | instid1(VALU_DEP_3)
	v_cmp_le_i32_e32 vcc_lo, s16, v0
	s_or_b32 s6, vcc_lo, s6
	v_lshl_add_u64 v[10:11], v[10:11], 3, v[6:7]
	global_load_b64 v[10:11], v[10:11], off
	s_wait_loadcnt 0x1
	v_sub_nc_u64_e64 v[8:9], v[8:9], s[4:5]
	s_delay_alu instid0(VALU_DEP_1) | instskip(NEXT) | instid1(VALU_DEP_1)
	v_mad_nc_u64_u32 v[12:13], v8, s2, v[2:3]
	v_mad_u32 v1, v9, s2, v13
	s_delay_alu instid0(VALU_DEP_1)
	v_mad_u32 v13, v8, s3, v1
	v_add_nc_u64_e32 v[8:9], s[14:15], v[14:15]
	v_add_nc_u64_e32 v[14:15], s[10:11], v[14:15]
	global_store_b64 v[8:9], v[12:13], off
	s_wait_loadcnt 0x0
	global_store_b64 v[14:15], v[10:11], off
	s_wait_xcnt 0x0
	s_and_not1_b32 exec_lo, exec_lo, s6
	s_cbranch_execnz .LBB189_5
.LBB189_6:
	s_endpgm
	.section	.rodata,"a",@progbits
	.p2align	6, 0x0
	.amdhsa_kernel _ZN9rocsparseL33bsr2csr_block_per_row_8_32_kernelILj1024ELj8E21rocsparse_complex_numIfEilEEv20rocsparse_direction_T3_S4_21rocsparse_index_base_PKT1_PKT2_PKS4_S4_S5_PS6_PS9_PS4_
		.amdhsa_group_segment_fixed_size 0
		.amdhsa_private_segment_fixed_size 0
		.amdhsa_kernarg_size 96
		.amdhsa_user_sgpr_count 2
		.amdhsa_user_sgpr_dispatch_ptr 0
		.amdhsa_user_sgpr_queue_ptr 0
		.amdhsa_user_sgpr_kernarg_segment_ptr 1
		.amdhsa_user_sgpr_dispatch_id 0
		.amdhsa_user_sgpr_kernarg_preload_length 0
		.amdhsa_user_sgpr_kernarg_preload_offset 0
		.amdhsa_user_sgpr_private_segment_size 0
		.amdhsa_wavefront_size32 1
		.amdhsa_uses_dynamic_stack 0
		.amdhsa_enable_private_segment 0
		.amdhsa_system_sgpr_workgroup_id_x 1
		.amdhsa_system_sgpr_workgroup_id_y 0
		.amdhsa_system_sgpr_workgroup_id_z 0
		.amdhsa_system_sgpr_workgroup_info 0
		.amdhsa_system_vgpr_workitem_id 0
		.amdhsa_next_free_vgpr 16
		.amdhsa_next_free_sgpr 20
		.amdhsa_named_barrier_count 0
		.amdhsa_reserve_vcc 1
		.amdhsa_float_round_mode_32 0
		.amdhsa_float_round_mode_16_64 0
		.amdhsa_float_denorm_mode_32 3
		.amdhsa_float_denorm_mode_16_64 3
		.amdhsa_fp16_overflow 0
		.amdhsa_memory_ordered 1
		.amdhsa_forward_progress 1
		.amdhsa_inst_pref_size 6
		.amdhsa_round_robin_scheduling 0
		.amdhsa_exception_fp_ieee_invalid_op 0
		.amdhsa_exception_fp_denorm_src 0
		.amdhsa_exception_fp_ieee_div_zero 0
		.amdhsa_exception_fp_ieee_overflow 0
		.amdhsa_exception_fp_ieee_underflow 0
		.amdhsa_exception_fp_ieee_inexact 0
		.amdhsa_exception_int_div_zero 0
	.end_amdhsa_kernel
	.section	.text._ZN9rocsparseL33bsr2csr_block_per_row_8_32_kernelILj1024ELj8E21rocsparse_complex_numIfEilEEv20rocsparse_direction_T3_S4_21rocsparse_index_base_PKT1_PKT2_PKS4_S4_S5_PS6_PS9_PS4_,"axG",@progbits,_ZN9rocsparseL33bsr2csr_block_per_row_8_32_kernelILj1024ELj8E21rocsparse_complex_numIfEilEEv20rocsparse_direction_T3_S4_21rocsparse_index_base_PKT1_PKT2_PKS4_S4_S5_PS6_PS9_PS4_,comdat
.Lfunc_end189:
	.size	_ZN9rocsparseL33bsr2csr_block_per_row_8_32_kernelILj1024ELj8E21rocsparse_complex_numIfEilEEv20rocsparse_direction_T3_S4_21rocsparse_index_base_PKT1_PKT2_PKS4_S4_S5_PS6_PS9_PS4_, .Lfunc_end189-_ZN9rocsparseL33bsr2csr_block_per_row_8_32_kernelILj1024ELj8E21rocsparse_complex_numIfEilEEv20rocsparse_direction_T3_S4_21rocsparse_index_base_PKT1_PKT2_PKS4_S4_S5_PS6_PS9_PS4_
                                        ; -- End function
	.set _ZN9rocsparseL33bsr2csr_block_per_row_8_32_kernelILj1024ELj8E21rocsparse_complex_numIfEilEEv20rocsparse_direction_T3_S4_21rocsparse_index_base_PKT1_PKT2_PKS4_S4_S5_PS6_PS9_PS4_.num_vgpr, 16
	.set _ZN9rocsparseL33bsr2csr_block_per_row_8_32_kernelILj1024ELj8E21rocsparse_complex_numIfEilEEv20rocsparse_direction_T3_S4_21rocsparse_index_base_PKT1_PKT2_PKS4_S4_S5_PS6_PS9_PS4_.num_agpr, 0
	.set _ZN9rocsparseL33bsr2csr_block_per_row_8_32_kernelILj1024ELj8E21rocsparse_complex_numIfEilEEv20rocsparse_direction_T3_S4_21rocsparse_index_base_PKT1_PKT2_PKS4_S4_S5_PS6_PS9_PS4_.numbered_sgpr, 20
	.set _ZN9rocsparseL33bsr2csr_block_per_row_8_32_kernelILj1024ELj8E21rocsparse_complex_numIfEilEEv20rocsparse_direction_T3_S4_21rocsparse_index_base_PKT1_PKT2_PKS4_S4_S5_PS6_PS9_PS4_.num_named_barrier, 0
	.set _ZN9rocsparseL33bsr2csr_block_per_row_8_32_kernelILj1024ELj8E21rocsparse_complex_numIfEilEEv20rocsparse_direction_T3_S4_21rocsparse_index_base_PKT1_PKT2_PKS4_S4_S5_PS6_PS9_PS4_.private_seg_size, 0
	.set _ZN9rocsparseL33bsr2csr_block_per_row_8_32_kernelILj1024ELj8E21rocsparse_complex_numIfEilEEv20rocsparse_direction_T3_S4_21rocsparse_index_base_PKT1_PKT2_PKS4_S4_S5_PS6_PS9_PS4_.uses_vcc, 1
	.set _ZN9rocsparseL33bsr2csr_block_per_row_8_32_kernelILj1024ELj8E21rocsparse_complex_numIfEilEEv20rocsparse_direction_T3_S4_21rocsparse_index_base_PKT1_PKT2_PKS4_S4_S5_PS6_PS9_PS4_.uses_flat_scratch, 0
	.set _ZN9rocsparseL33bsr2csr_block_per_row_8_32_kernelILj1024ELj8E21rocsparse_complex_numIfEilEEv20rocsparse_direction_T3_S4_21rocsparse_index_base_PKT1_PKT2_PKS4_S4_S5_PS6_PS9_PS4_.has_dyn_sized_stack, 0
	.set _ZN9rocsparseL33bsr2csr_block_per_row_8_32_kernelILj1024ELj8E21rocsparse_complex_numIfEilEEv20rocsparse_direction_T3_S4_21rocsparse_index_base_PKT1_PKT2_PKS4_S4_S5_PS6_PS9_PS4_.has_recursion, 0
	.set _ZN9rocsparseL33bsr2csr_block_per_row_8_32_kernelILj1024ELj8E21rocsparse_complex_numIfEilEEv20rocsparse_direction_T3_S4_21rocsparse_index_base_PKT1_PKT2_PKS4_S4_S5_PS6_PS9_PS4_.has_indirect_call, 0
	.section	.AMDGPU.csdata,"",@progbits
; Kernel info:
; codeLenInByte = 680
; TotalNumSgprs: 22
; NumVgprs: 16
; ScratchSize: 0
; MemoryBound: 0
; FloatMode: 240
; IeeeMode: 1
; LDSByteSize: 0 bytes/workgroup (compile time only)
; SGPRBlocks: 0
; VGPRBlocks: 0
; NumSGPRsForWavesPerEU: 22
; NumVGPRsForWavesPerEU: 16
; NamedBarCnt: 0
; Occupancy: 16
; WaveLimiterHint : 0
; COMPUTE_PGM_RSRC2:SCRATCH_EN: 0
; COMPUTE_PGM_RSRC2:USER_SGPR: 2
; COMPUTE_PGM_RSRC2:TRAP_HANDLER: 0
; COMPUTE_PGM_RSRC2:TGID_X_EN: 1
; COMPUTE_PGM_RSRC2:TGID_Y_EN: 0
; COMPUTE_PGM_RSRC2:TGID_Z_EN: 0
; COMPUTE_PGM_RSRC2:TIDIG_COMP_CNT: 0
	.section	.text._ZN9rocsparseL33bsr2csr_block_per_row_8_32_kernelILj1024ELj16E21rocsparse_complex_numIfEilEEv20rocsparse_direction_T3_S4_21rocsparse_index_base_PKT1_PKT2_PKS4_S4_S5_PS6_PS9_PS4_,"axG",@progbits,_ZN9rocsparseL33bsr2csr_block_per_row_8_32_kernelILj1024ELj16E21rocsparse_complex_numIfEilEEv20rocsparse_direction_T3_S4_21rocsparse_index_base_PKT1_PKT2_PKS4_S4_S5_PS6_PS9_PS4_,comdat
	.globl	_ZN9rocsparseL33bsr2csr_block_per_row_8_32_kernelILj1024ELj16E21rocsparse_complex_numIfEilEEv20rocsparse_direction_T3_S4_21rocsparse_index_base_PKT1_PKT2_PKS4_S4_S5_PS6_PS9_PS4_ ; -- Begin function _ZN9rocsparseL33bsr2csr_block_per_row_8_32_kernelILj1024ELj16E21rocsparse_complex_numIfEilEEv20rocsparse_direction_T3_S4_21rocsparse_index_base_PKT1_PKT2_PKS4_S4_S5_PS6_PS9_PS4_
	.p2align	8
	.type	_ZN9rocsparseL33bsr2csr_block_per_row_8_32_kernelILj1024ELj16E21rocsparse_complex_numIfEilEEv20rocsparse_direction_T3_S4_21rocsparse_index_base_PKT1_PKT2_PKS4_S4_S5_PS6_PS9_PS4_,@function
_ZN9rocsparseL33bsr2csr_block_per_row_8_32_kernelILj1024ELj16E21rocsparse_complex_numIfEilEEv20rocsparse_direction_T3_S4_21rocsparse_index_base_PKT1_PKT2_PKS4_S4_S5_PS6_PS9_PS4_: ; @_ZN9rocsparseL33bsr2csr_block_per_row_8_32_kernelILj1024ELj16E21rocsparse_complex_numIfEilEEv20rocsparse_direction_T3_S4_21rocsparse_index_base_PKT1_PKT2_PKS4_S4_S5_PS6_PS9_PS4_
; %bb.0:
	s_clause 0x1
	s_load_b32 s6, s[0:1], 0x40
	s_load_b64 s[10:11], s[0:1], 0x50
	s_bfe_u32 s2, ttmp6, 0x4000c
	s_and_b32 s3, ttmp6, 15
	s_add_co_i32 s2, s2, 1
	s_getreg_b32 s4, hwreg(HW_REG_IB_STS2, 6, 4)
	s_mul_i32 s2, ttmp9, s2
	s_mov_b32 s13, 0
	s_add_co_i32 s3, s3, s2
	s_cmp_eq_u32 s4, 0
	s_mov_b32 s2, exec_lo
	s_cselect_b32 s12, ttmp9, s3
	s_delay_alu instid0(SALU_CYCLE_1) | instskip(NEXT) | instid1(VALU_DEP_1)
	v_or_b32_e32 v1, s12, v0
	v_cmpx_eq_u32_e32 0, v1
	s_cbranch_execz .LBB190_2
; %bb.1:
	s_wait_kmcnt 0x0
	v_dual_mov_b32 v1, 0 :: v_dual_mov_b32 v2, s6
	global_store_b32 v1, v2, s[10:11]
.LBB190_2:
	s_wait_xcnt 0x0
	s_or_b32 exec_lo, exec_lo, s2
	v_dual_mov_b32 v3, 0 :: v_dual_bitop2_b32 v2, 15, v0 bitop3:0x40
	v_bfe_u32 v4, v0, 4, 4
	s_load_b64 s[2:3], s[0:1], 0x38
	s_mov_b32 s4, exec_lo
	s_delay_alu instid0(VALU_DEP_2) | instskip(NEXT) | instid1(VALU_DEP_1)
	v_mov_b32_e32 v5, v3
	v_max_i64 v[6:7], v[4:5], v[2:3]
	s_wait_kmcnt 0x0
	s_delay_alu instid0(VALU_DEP_1)
	v_cmpx_gt_i64_e64 s[2:3], v[6:7]
	s_cbranch_execz .LBB190_6
; %bb.3:
	s_clause 0x1
	s_load_b64 s[8:9], s[0:1], 0x28
	s_load_b32 s4, s[0:1], 0x18
	s_lshl_b64 s[14:15], s[12:13], 2
	v_lshrrev_b32_e32 v1, 8, v0
	s_mul_u64 s[12:13], s[2:3], s[12:13]
	s_delay_alu instid0(SALU_CYCLE_1) | instskip(NEXT) | instid1(SALU_CYCLE_1)
	s_lshl_b64 s[12:13], s[12:13], 2
	s_add_nc_u64 s[10:11], s[10:11], s[12:13]
	s_wait_kmcnt 0x0
	s_add_nc_u64 s[8:9], s[8:9], s[14:15]
	s_load_b64 s[14:15], s[8:9], 0x0
	s_wait_xcnt 0x0
	s_mul_u64 s[8:9], s[2:3], s[2:3]
	s_wait_kmcnt 0x0
	s_sub_co_i32 s7, s14, s4
	s_sub_co_i32 s16, s15, s4
	s_mul_i32 s15, s8, s7
	s_sub_co_i32 s5, s16, s7
	v_add_nc_u32_e32 v0, s7, v1
	s_mul_i32 s14, s2, s5
	s_delay_alu instid0(SALU_CYCLE_1) | instskip(NEXT) | instid1(SALU_CYCLE_1)
	s_add_co_i32 s17, s6, s14
	s_add_co_i32 s17, s17, s15
	s_delay_alu instid0(VALU_DEP_1)
	v_cmp_gt_i32_e32 vcc_lo, s16, v0
	v_mad_u32 v6, s14, v4, s17
	global_store_b32 v4, v6, s[10:11] offset:4 scale_offset
	s_wait_xcnt 0x0
	s_and_b32 exec_lo, exec_lo, vcc_lo
	s_cbranch_execz .LBB190_6
; %bb.4:
	v_mul_u64_e32 v[6:7], s[2:3], v[2:3]
	v_mul_u64_e32 v[8:9], s[2:3], v[4:5]
	s_clause 0x2
	s_load_b64 s[10:11], s[0:1], 0x48
	s_load_b64 s[18:19], s[0:1], 0x20
	s_load_b32 s17, s[0:1], 0x0
	v_mad_u32 v1, s2, s7, v1
	v_dual_mov_b32 v11, 0 :: v_dual_lshlrev_b32 v10, 3, v4
	s_clause 0x1
	s_load_b64 s[12:13], s[0:1], 0x30
	s_load_b64 s[14:15], s[0:1], 0x58
	s_delay_alu instid0(VALU_DEP_2) | instskip(SKIP_1) | instid1(SALU_CYCLE_1)
	v_mad_u32 v1, s5, v4, v1
	s_mov_b32 s5, 0
	s_mov_b32 s7, s5
	s_wait_xcnt 0x0
	s_mov_b32 s0, s5
	s_wait_kmcnt 0x0
	s_cmp_eq_u32 s17, 0
	s_cselect_b32 vcc_lo, -1, 0
	s_lshl_b32 s1, s2, 2
	v_lshl_add_u64 v[6:7], v[6:7], 3, s[18:19]
	v_lshl_add_u64 v[4:5], v[8:9], 3, s[18:19]
	s_delay_alu instid0(VALU_DEP_2) | instskip(SKIP_1) | instid1(VALU_DEP_1)
	v_add_nc_u64_e32 v[6:7], v[6:7], v[10:11]
	v_lshlrev_b32_e32 v10, 3, v2
	v_add_nc_u64_e32 v[8:9], v[4:5], v[10:11]
	v_mad_u32 v5, s2, v1, v2
	v_add_nc_u64_e32 v[2:3], s[6:7], v[2:3]
	s_mov_b32 s6, s5
	s_delay_alu instid0(VALU_DEP_3) | instskip(NEXT) | instid1(VALU_DEP_4)
	v_dual_mov_b32 v4, v11 :: v_dual_cndmask_b32 v6, v6, v8, vcc_lo
	v_cndmask_b32_e32 v7, v7, v9, vcc_lo
.LBB190_5:                              ; =>This Inner Loop Header: Depth=1
	v_ashrrev_i32_e32 v1, 31, v0
	global_load_b64 v[8:9], v0, s[12:13] scale_offset
	v_ashrrev_i64 v[14:15], 29, v[4:5]
	v_add_nc_u64_e32 v[4:5], s[0:1], v[4:5]
	v_mul_u64_e32 v[10:11], s[8:9], v[0:1]
	s_wait_xcnt 0x0
	v_add_nc_u32_e32 v0, 4, v0
	s_delay_alu instid0(VALU_DEP_1) | instskip(SKIP_1) | instid1(VALU_DEP_3)
	v_cmp_le_i32_e32 vcc_lo, s16, v0
	s_or_b32 s6, vcc_lo, s6
	v_lshl_add_u64 v[10:11], v[10:11], 3, v[6:7]
	global_load_b64 v[10:11], v[10:11], off
	s_wait_loadcnt 0x1
	v_sub_nc_u64_e64 v[8:9], v[8:9], s[4:5]
	s_delay_alu instid0(VALU_DEP_1) | instskip(NEXT) | instid1(VALU_DEP_1)
	v_mad_nc_u64_u32 v[12:13], v8, s2, v[2:3]
	v_mad_u32 v1, v9, s2, v13
	s_delay_alu instid0(VALU_DEP_1)
	v_mad_u32 v13, v8, s3, v1
	v_add_nc_u64_e32 v[8:9], s[14:15], v[14:15]
	v_add_nc_u64_e32 v[14:15], s[10:11], v[14:15]
	global_store_b64 v[8:9], v[12:13], off
	s_wait_loadcnt 0x0
	global_store_b64 v[14:15], v[10:11], off
	s_wait_xcnt 0x0
	s_and_not1_b32 exec_lo, exec_lo, s6
	s_cbranch_execnz .LBB190_5
.LBB190_6:
	s_endpgm
	.section	.rodata,"a",@progbits
	.p2align	6, 0x0
	.amdhsa_kernel _ZN9rocsparseL33bsr2csr_block_per_row_8_32_kernelILj1024ELj16E21rocsparse_complex_numIfEilEEv20rocsparse_direction_T3_S4_21rocsparse_index_base_PKT1_PKT2_PKS4_S4_S5_PS6_PS9_PS4_
		.amdhsa_group_segment_fixed_size 0
		.amdhsa_private_segment_fixed_size 0
		.amdhsa_kernarg_size 96
		.amdhsa_user_sgpr_count 2
		.amdhsa_user_sgpr_dispatch_ptr 0
		.amdhsa_user_sgpr_queue_ptr 0
		.amdhsa_user_sgpr_kernarg_segment_ptr 1
		.amdhsa_user_sgpr_dispatch_id 0
		.amdhsa_user_sgpr_kernarg_preload_length 0
		.amdhsa_user_sgpr_kernarg_preload_offset 0
		.amdhsa_user_sgpr_private_segment_size 0
		.amdhsa_wavefront_size32 1
		.amdhsa_uses_dynamic_stack 0
		.amdhsa_enable_private_segment 0
		.amdhsa_system_sgpr_workgroup_id_x 1
		.amdhsa_system_sgpr_workgroup_id_y 0
		.amdhsa_system_sgpr_workgroup_id_z 0
		.amdhsa_system_sgpr_workgroup_info 0
		.amdhsa_system_vgpr_workitem_id 0
		.amdhsa_next_free_vgpr 16
		.amdhsa_next_free_sgpr 20
		.amdhsa_named_barrier_count 0
		.amdhsa_reserve_vcc 1
		.amdhsa_float_round_mode_32 0
		.amdhsa_float_round_mode_16_64 0
		.amdhsa_float_denorm_mode_32 3
		.amdhsa_float_denorm_mode_16_64 3
		.amdhsa_fp16_overflow 0
		.amdhsa_memory_ordered 1
		.amdhsa_forward_progress 1
		.amdhsa_inst_pref_size 6
		.amdhsa_round_robin_scheduling 0
		.amdhsa_exception_fp_ieee_invalid_op 0
		.amdhsa_exception_fp_denorm_src 0
		.amdhsa_exception_fp_ieee_div_zero 0
		.amdhsa_exception_fp_ieee_overflow 0
		.amdhsa_exception_fp_ieee_underflow 0
		.amdhsa_exception_fp_ieee_inexact 0
		.amdhsa_exception_int_div_zero 0
	.end_amdhsa_kernel
	.section	.text._ZN9rocsparseL33bsr2csr_block_per_row_8_32_kernelILj1024ELj16E21rocsparse_complex_numIfEilEEv20rocsparse_direction_T3_S4_21rocsparse_index_base_PKT1_PKT2_PKS4_S4_S5_PS6_PS9_PS4_,"axG",@progbits,_ZN9rocsparseL33bsr2csr_block_per_row_8_32_kernelILj1024ELj16E21rocsparse_complex_numIfEilEEv20rocsparse_direction_T3_S4_21rocsparse_index_base_PKT1_PKT2_PKS4_S4_S5_PS6_PS9_PS4_,comdat
.Lfunc_end190:
	.size	_ZN9rocsparseL33bsr2csr_block_per_row_8_32_kernelILj1024ELj16E21rocsparse_complex_numIfEilEEv20rocsparse_direction_T3_S4_21rocsparse_index_base_PKT1_PKT2_PKS4_S4_S5_PS6_PS9_PS4_, .Lfunc_end190-_ZN9rocsparseL33bsr2csr_block_per_row_8_32_kernelILj1024ELj16E21rocsparse_complex_numIfEilEEv20rocsparse_direction_T3_S4_21rocsparse_index_base_PKT1_PKT2_PKS4_S4_S5_PS6_PS9_PS4_
                                        ; -- End function
	.set _ZN9rocsparseL33bsr2csr_block_per_row_8_32_kernelILj1024ELj16E21rocsparse_complex_numIfEilEEv20rocsparse_direction_T3_S4_21rocsparse_index_base_PKT1_PKT2_PKS4_S4_S5_PS6_PS9_PS4_.num_vgpr, 16
	.set _ZN9rocsparseL33bsr2csr_block_per_row_8_32_kernelILj1024ELj16E21rocsparse_complex_numIfEilEEv20rocsparse_direction_T3_S4_21rocsparse_index_base_PKT1_PKT2_PKS4_S4_S5_PS6_PS9_PS4_.num_agpr, 0
	.set _ZN9rocsparseL33bsr2csr_block_per_row_8_32_kernelILj1024ELj16E21rocsparse_complex_numIfEilEEv20rocsparse_direction_T3_S4_21rocsparse_index_base_PKT1_PKT2_PKS4_S4_S5_PS6_PS9_PS4_.numbered_sgpr, 20
	.set _ZN9rocsparseL33bsr2csr_block_per_row_8_32_kernelILj1024ELj16E21rocsparse_complex_numIfEilEEv20rocsparse_direction_T3_S4_21rocsparse_index_base_PKT1_PKT2_PKS4_S4_S5_PS6_PS9_PS4_.num_named_barrier, 0
	.set _ZN9rocsparseL33bsr2csr_block_per_row_8_32_kernelILj1024ELj16E21rocsparse_complex_numIfEilEEv20rocsparse_direction_T3_S4_21rocsparse_index_base_PKT1_PKT2_PKS4_S4_S5_PS6_PS9_PS4_.private_seg_size, 0
	.set _ZN9rocsparseL33bsr2csr_block_per_row_8_32_kernelILj1024ELj16E21rocsparse_complex_numIfEilEEv20rocsparse_direction_T3_S4_21rocsparse_index_base_PKT1_PKT2_PKS4_S4_S5_PS6_PS9_PS4_.uses_vcc, 1
	.set _ZN9rocsparseL33bsr2csr_block_per_row_8_32_kernelILj1024ELj16E21rocsparse_complex_numIfEilEEv20rocsparse_direction_T3_S4_21rocsparse_index_base_PKT1_PKT2_PKS4_S4_S5_PS6_PS9_PS4_.uses_flat_scratch, 0
	.set _ZN9rocsparseL33bsr2csr_block_per_row_8_32_kernelILj1024ELj16E21rocsparse_complex_numIfEilEEv20rocsparse_direction_T3_S4_21rocsparse_index_base_PKT1_PKT2_PKS4_S4_S5_PS6_PS9_PS4_.has_dyn_sized_stack, 0
	.set _ZN9rocsparseL33bsr2csr_block_per_row_8_32_kernelILj1024ELj16E21rocsparse_complex_numIfEilEEv20rocsparse_direction_T3_S4_21rocsparse_index_base_PKT1_PKT2_PKS4_S4_S5_PS6_PS9_PS4_.has_recursion, 0
	.set _ZN9rocsparseL33bsr2csr_block_per_row_8_32_kernelILj1024ELj16E21rocsparse_complex_numIfEilEEv20rocsparse_direction_T3_S4_21rocsparse_index_base_PKT1_PKT2_PKS4_S4_S5_PS6_PS9_PS4_.has_indirect_call, 0
	.section	.AMDGPU.csdata,"",@progbits
; Kernel info:
; codeLenInByte = 680
; TotalNumSgprs: 22
; NumVgprs: 16
; ScratchSize: 0
; MemoryBound: 0
; FloatMode: 240
; IeeeMode: 1
; LDSByteSize: 0 bytes/workgroup (compile time only)
; SGPRBlocks: 0
; VGPRBlocks: 0
; NumSGPRsForWavesPerEU: 22
; NumVGPRsForWavesPerEU: 16
; NamedBarCnt: 0
; Occupancy: 16
; WaveLimiterHint : 0
; COMPUTE_PGM_RSRC2:SCRATCH_EN: 0
; COMPUTE_PGM_RSRC2:USER_SGPR: 2
; COMPUTE_PGM_RSRC2:TRAP_HANDLER: 0
; COMPUTE_PGM_RSRC2:TGID_X_EN: 1
; COMPUTE_PGM_RSRC2:TGID_Y_EN: 0
; COMPUTE_PGM_RSRC2:TGID_Z_EN: 0
; COMPUTE_PGM_RSRC2:TIDIG_COMP_CNT: 0
	.section	.text._ZN9rocsparseL33bsr2csr_block_per_row_8_32_kernelILj1024ELj32E21rocsparse_complex_numIfEilEEv20rocsparse_direction_T3_S4_21rocsparse_index_base_PKT1_PKT2_PKS4_S4_S5_PS6_PS9_PS4_,"axG",@progbits,_ZN9rocsparseL33bsr2csr_block_per_row_8_32_kernelILj1024ELj32E21rocsparse_complex_numIfEilEEv20rocsparse_direction_T3_S4_21rocsparse_index_base_PKT1_PKT2_PKS4_S4_S5_PS6_PS9_PS4_,comdat
	.globl	_ZN9rocsparseL33bsr2csr_block_per_row_8_32_kernelILj1024ELj32E21rocsparse_complex_numIfEilEEv20rocsparse_direction_T3_S4_21rocsparse_index_base_PKT1_PKT2_PKS4_S4_S5_PS6_PS9_PS4_ ; -- Begin function _ZN9rocsparseL33bsr2csr_block_per_row_8_32_kernelILj1024ELj32E21rocsparse_complex_numIfEilEEv20rocsparse_direction_T3_S4_21rocsparse_index_base_PKT1_PKT2_PKS4_S4_S5_PS6_PS9_PS4_
	.p2align	8
	.type	_ZN9rocsparseL33bsr2csr_block_per_row_8_32_kernelILj1024ELj32E21rocsparse_complex_numIfEilEEv20rocsparse_direction_T3_S4_21rocsparse_index_base_PKT1_PKT2_PKS4_S4_S5_PS6_PS9_PS4_,@function
_ZN9rocsparseL33bsr2csr_block_per_row_8_32_kernelILj1024ELj32E21rocsparse_complex_numIfEilEEv20rocsparse_direction_T3_S4_21rocsparse_index_base_PKT1_PKT2_PKS4_S4_S5_PS6_PS9_PS4_: ; @_ZN9rocsparseL33bsr2csr_block_per_row_8_32_kernelILj1024ELj32E21rocsparse_complex_numIfEilEEv20rocsparse_direction_T3_S4_21rocsparse_index_base_PKT1_PKT2_PKS4_S4_S5_PS6_PS9_PS4_
; %bb.0:
	s_clause 0x1
	s_load_b32 s8, s[0:1], 0x40
	s_load_b64 s[10:11], s[0:1], 0x50
	s_bfe_u32 s2, ttmp6, 0x4000c
	s_and_b32 s3, ttmp6, 15
	s_add_co_i32 s2, s2, 1
	s_getreg_b32 s4, hwreg(HW_REG_IB_STS2, 6, 4)
	s_mul_i32 s2, ttmp9, s2
	s_mov_b32 s15, 0
	s_add_co_i32 s3, s3, s2
	s_cmp_eq_u32 s4, 0
	s_mov_b32 s2, exec_lo
	s_cselect_b32 s14, ttmp9, s3
	s_delay_alu instid0(SALU_CYCLE_1) | instskip(NEXT) | instid1(VALU_DEP_1)
	v_or_b32_e32 v1, s14, v0
	v_cmpx_eq_u32_e32 0, v1
	s_cbranch_execz .LBB191_2
; %bb.1:
	s_wait_kmcnt 0x0
	v_dual_mov_b32 v1, 0 :: v_dual_mov_b32 v2, s8
	global_store_b32 v1, v2, s[10:11]
.LBB191_2:
	s_wait_xcnt 0x0
	s_or_b32 exec_lo, exec_lo, s2
	v_dual_mov_b32 v3, 0 :: v_dual_bitop2_b32 v2, 31, v0 bitop3:0x40
	v_lshrrev_b32_e32 v0, 5, v0
	s_load_b64 s[2:3], s[0:1], 0x38
	s_mov_b32 s4, exec_lo
	s_delay_alu instid0(VALU_DEP_2) | instskip(NEXT) | instid1(VALU_DEP_1)
	v_mov_b32_e32 v1, v3
	v_max_i64 v[4:5], v[0:1], v[2:3]
	s_wait_kmcnt 0x0
	s_delay_alu instid0(VALU_DEP_1)
	v_cmpx_gt_i64_e64 s[2:3], v[4:5]
	s_cbranch_execz .LBB191_6
; %bb.3:
	s_clause 0x1
	s_load_b64 s[6:7], s[0:1], 0x28
	s_load_b32 s4, s[0:1], 0x18
	s_lshl_b64 s[12:13], s[14:15], 2
	s_mul_u64 s[14:15], s[2:3], s[14:15]
	s_delay_alu instid0(SALU_CYCLE_1) | instskip(NEXT) | instid1(SALU_CYCLE_1)
	s_lshl_b64 s[14:15], s[14:15], 2
	s_add_nc_u64 s[10:11], s[10:11], s[14:15]
	s_wait_kmcnt 0x0
	s_add_nc_u64 s[6:7], s[6:7], s[12:13]
	s_mul_u64 s[12:13], s[2:3], s[2:3]
	s_load_b64 s[18:19], s[6:7], 0x0
	s_wait_kmcnt 0x0
	s_sub_co_i32 s6, s18, s4
	s_sub_co_i32 s16, s19, s4
	s_mul_i32 s9, s12, s6
	s_sub_co_i32 s5, s16, s6
	s_delay_alu instid0(SALU_CYCLE_1) | instskip(NEXT) | instid1(SALU_CYCLE_1)
	s_mul_i32 s7, s2, s5
	s_add_co_i32 s17, s8, s7
	s_delay_alu instid0(SALU_CYCLE_1)
	s_add_co_i32 s17, s17, s9
	s_cmp_ge_i32 s18, s19
	v_mad_u32 v4, s7, v0, s17
	global_store_b32 v0, v4, s[10:11] offset:4 scale_offset
	s_cbranch_scc1 .LBB191_6
; %bb.4:
	s_wait_xcnt 0x0
	v_mul_u64_e32 v[4:5], s[2:3], v[2:3]
	v_mul_u64_e32 v[6:7], s[2:3], v[0:1]
	s_clause 0x3
	s_load_b64 s[14:15], s[0:1], 0x20
	s_load_b64 s[18:19], s[0:1], 0x30
	;; [unrolled: 1-line block ×3, first 2 shown]
	s_load_b32 s7, s[0:1], 0x0
	v_mul_lo_u32 v10, v0, s5
	v_dual_mov_b32 v9, 0 :: v_dual_lshlrev_b32 v8, 3, v0
	s_wait_xcnt 0x0
	s_load_b64 s[0:1], s[0:1], 0x58
	s_mov_b32 s5, 0
	s_delay_alu instid0(SALU_CYCLE_1) | instskip(NEXT) | instid1(VALU_DEP_2)
	s_mov_b32 s9, s5
	v_mad_u32 v10, s2, s6, v10
	s_wait_kmcnt 0x0
	s_cmp_eq_u32 s7, 0
	s_cselect_b32 vcc_lo, -1, 0
	s_ashr_i32 s7, s6, 31
	s_delay_alu instid0(SALU_CYCLE_1) | instskip(SKIP_4) | instid1(VALU_DEP_2)
	s_lshl_b64 s[20:21], s[6:7], 3
	v_lshl_add_u64 v[0:1], v[4:5], 3, s[14:15]
	v_lshl_add_u64 v[4:5], v[6:7], 3, s[14:15]
	s_mul_u64 s[14:15], s[12:13], s[6:7]
	s_lshl_b64 s[12:13], s[12:13], 3
	v_add_nc_u64_e32 v[6:7], v[0:1], v[8:9]
	v_lshlrev_b32_e32 v8, 3, v2
	v_add_nc_u64_e32 v[0:1], s[8:9], v[2:3]
	v_mad_u32 v3, s2, v10, v2
	s_mov_b32 s8, s5
	s_mov_b32 s9, s2
	v_add_nc_u64_e32 v[4:5], v[4:5], v[8:9]
	s_delay_alu instid0(VALU_DEP_1) | instskip(NEXT) | instid1(VALU_DEP_2)
	v_dual_mov_b32 v2, v9 :: v_dual_cndmask_b32 v4, v6, v4, vcc_lo
	v_cndmask_b32_e32 v5, v7, v5, vcc_lo
	s_delay_alu instid0(VALU_DEP_1)
	v_lshl_add_u64 v[4:5], s[14:15], 3, v[4:5]
	s_add_nc_u64 s[14:15], s[18:19], s[20:21]
.LBB191_5:                              ; =>This Inner Loop Header: Depth=1
	global_load_b64 v[6:7], v[4:5], off
	s_load_b64 s[18:19], s[14:15], 0x0
	v_ashrrev_i64 v[10:11], 29, v[2:3]
	v_add_nc_u64_e32 v[2:3], s[8:9], v[2:3]
	v_add_nc_u64_e32 v[4:5], s[12:13], v[4:5]
	s_add_co_i32 s6, s6, 1
	s_wait_xcnt 0x0
	s_add_nc_u64 s[14:15], s[14:15], 8
	s_cmp_lt_i32 s6, s16
	v_add_nc_u64_e32 v[12:13], s[0:1], v[10:11]
	v_add_nc_u64_e32 v[10:11], s[10:11], v[10:11]
	s_wait_kmcnt 0x0
	s_sub_nc_u64 s[18:19], s[18:19], s[4:5]
	s_delay_alu instid0(SALU_CYCLE_1)
	v_mad_nc_u64_u32 v[8:9], s18, s2, v[0:1]
	s_mul_i32 s7, s19, s2
	s_mul_i32 s17, s18, s3
	s_delay_alu instid0(VALU_DEP_1) | instid1(SALU_CYCLE_1)
	v_add3_u32 v9, s17, s7, v9
	global_store_b64 v[12:13], v[8:9], off
	s_wait_loadcnt 0x0
	global_store_b64 v[10:11], v[6:7], off
	s_cbranch_scc1 .LBB191_5
.LBB191_6:
	s_endpgm
	.section	.rodata,"a",@progbits
	.p2align	6, 0x0
	.amdhsa_kernel _ZN9rocsparseL33bsr2csr_block_per_row_8_32_kernelILj1024ELj32E21rocsparse_complex_numIfEilEEv20rocsparse_direction_T3_S4_21rocsparse_index_base_PKT1_PKT2_PKS4_S4_S5_PS6_PS9_PS4_
		.amdhsa_group_segment_fixed_size 0
		.amdhsa_private_segment_fixed_size 0
		.amdhsa_kernarg_size 96
		.amdhsa_user_sgpr_count 2
		.amdhsa_user_sgpr_dispatch_ptr 0
		.amdhsa_user_sgpr_queue_ptr 0
		.amdhsa_user_sgpr_kernarg_segment_ptr 1
		.amdhsa_user_sgpr_dispatch_id 0
		.amdhsa_user_sgpr_kernarg_preload_length 0
		.amdhsa_user_sgpr_kernarg_preload_offset 0
		.amdhsa_user_sgpr_private_segment_size 0
		.amdhsa_wavefront_size32 1
		.amdhsa_uses_dynamic_stack 0
		.amdhsa_enable_private_segment 0
		.amdhsa_system_sgpr_workgroup_id_x 1
		.amdhsa_system_sgpr_workgroup_id_y 0
		.amdhsa_system_sgpr_workgroup_id_z 0
		.amdhsa_system_sgpr_workgroup_info 0
		.amdhsa_system_vgpr_workitem_id 0
		.amdhsa_next_free_vgpr 14
		.amdhsa_next_free_sgpr 22
		.amdhsa_named_barrier_count 0
		.amdhsa_reserve_vcc 1
		.amdhsa_float_round_mode_32 0
		.amdhsa_float_round_mode_16_64 0
		.amdhsa_float_denorm_mode_32 3
		.amdhsa_float_denorm_mode_16_64 3
		.amdhsa_fp16_overflow 0
		.amdhsa_memory_ordered 1
		.amdhsa_forward_progress 1
		.amdhsa_inst_pref_size 6
		.amdhsa_round_robin_scheduling 0
		.amdhsa_exception_fp_ieee_invalid_op 0
		.amdhsa_exception_fp_denorm_src 0
		.amdhsa_exception_fp_ieee_div_zero 0
		.amdhsa_exception_fp_ieee_overflow 0
		.amdhsa_exception_fp_ieee_underflow 0
		.amdhsa_exception_fp_ieee_inexact 0
		.amdhsa_exception_int_div_zero 0
	.end_amdhsa_kernel
	.section	.text._ZN9rocsparseL33bsr2csr_block_per_row_8_32_kernelILj1024ELj32E21rocsparse_complex_numIfEilEEv20rocsparse_direction_T3_S4_21rocsparse_index_base_PKT1_PKT2_PKS4_S4_S5_PS6_PS9_PS4_,"axG",@progbits,_ZN9rocsparseL33bsr2csr_block_per_row_8_32_kernelILj1024ELj32E21rocsparse_complex_numIfEilEEv20rocsparse_direction_T3_S4_21rocsparse_index_base_PKT1_PKT2_PKS4_S4_S5_PS6_PS9_PS4_,comdat
.Lfunc_end191:
	.size	_ZN9rocsparseL33bsr2csr_block_per_row_8_32_kernelILj1024ELj32E21rocsparse_complex_numIfEilEEv20rocsparse_direction_T3_S4_21rocsparse_index_base_PKT1_PKT2_PKS4_S4_S5_PS6_PS9_PS4_, .Lfunc_end191-_ZN9rocsparseL33bsr2csr_block_per_row_8_32_kernelILj1024ELj32E21rocsparse_complex_numIfEilEEv20rocsparse_direction_T3_S4_21rocsparse_index_base_PKT1_PKT2_PKS4_S4_S5_PS6_PS9_PS4_
                                        ; -- End function
	.set _ZN9rocsparseL33bsr2csr_block_per_row_8_32_kernelILj1024ELj32E21rocsparse_complex_numIfEilEEv20rocsparse_direction_T3_S4_21rocsparse_index_base_PKT1_PKT2_PKS4_S4_S5_PS6_PS9_PS4_.num_vgpr, 14
	.set _ZN9rocsparseL33bsr2csr_block_per_row_8_32_kernelILj1024ELj32E21rocsparse_complex_numIfEilEEv20rocsparse_direction_T3_S4_21rocsparse_index_base_PKT1_PKT2_PKS4_S4_S5_PS6_PS9_PS4_.num_agpr, 0
	.set _ZN9rocsparseL33bsr2csr_block_per_row_8_32_kernelILj1024ELj32E21rocsparse_complex_numIfEilEEv20rocsparse_direction_T3_S4_21rocsparse_index_base_PKT1_PKT2_PKS4_S4_S5_PS6_PS9_PS4_.numbered_sgpr, 22
	.set _ZN9rocsparseL33bsr2csr_block_per_row_8_32_kernelILj1024ELj32E21rocsparse_complex_numIfEilEEv20rocsparse_direction_T3_S4_21rocsparse_index_base_PKT1_PKT2_PKS4_S4_S5_PS6_PS9_PS4_.num_named_barrier, 0
	.set _ZN9rocsparseL33bsr2csr_block_per_row_8_32_kernelILj1024ELj32E21rocsparse_complex_numIfEilEEv20rocsparse_direction_T3_S4_21rocsparse_index_base_PKT1_PKT2_PKS4_S4_S5_PS6_PS9_PS4_.private_seg_size, 0
	.set _ZN9rocsparseL33bsr2csr_block_per_row_8_32_kernelILj1024ELj32E21rocsparse_complex_numIfEilEEv20rocsparse_direction_T3_S4_21rocsparse_index_base_PKT1_PKT2_PKS4_S4_S5_PS6_PS9_PS4_.uses_vcc, 1
	.set _ZN9rocsparseL33bsr2csr_block_per_row_8_32_kernelILj1024ELj32E21rocsparse_complex_numIfEilEEv20rocsparse_direction_T3_S4_21rocsparse_index_base_PKT1_PKT2_PKS4_S4_S5_PS6_PS9_PS4_.uses_flat_scratch, 0
	.set _ZN9rocsparseL33bsr2csr_block_per_row_8_32_kernelILj1024ELj32E21rocsparse_complex_numIfEilEEv20rocsparse_direction_T3_S4_21rocsparse_index_base_PKT1_PKT2_PKS4_S4_S5_PS6_PS9_PS4_.has_dyn_sized_stack, 0
	.set _ZN9rocsparseL33bsr2csr_block_per_row_8_32_kernelILj1024ELj32E21rocsparse_complex_numIfEilEEv20rocsparse_direction_T3_S4_21rocsparse_index_base_PKT1_PKT2_PKS4_S4_S5_PS6_PS9_PS4_.has_recursion, 0
	.set _ZN9rocsparseL33bsr2csr_block_per_row_8_32_kernelILj1024ELj32E21rocsparse_complex_numIfEilEEv20rocsparse_direction_T3_S4_21rocsparse_index_base_PKT1_PKT2_PKS4_S4_S5_PS6_PS9_PS4_.has_indirect_call, 0
	.section	.AMDGPU.csdata,"",@progbits
; Kernel info:
; codeLenInByte = 652
; TotalNumSgprs: 24
; NumVgprs: 14
; ScratchSize: 0
; MemoryBound: 0
; FloatMode: 240
; IeeeMode: 1
; LDSByteSize: 0 bytes/workgroup (compile time only)
; SGPRBlocks: 0
; VGPRBlocks: 0
; NumSGPRsForWavesPerEU: 24
; NumVGPRsForWavesPerEU: 14
; NamedBarCnt: 0
; Occupancy: 16
; WaveLimiterHint : 0
; COMPUTE_PGM_RSRC2:SCRATCH_EN: 0
; COMPUTE_PGM_RSRC2:USER_SGPR: 2
; COMPUTE_PGM_RSRC2:TRAP_HANDLER: 0
; COMPUTE_PGM_RSRC2:TGID_X_EN: 1
; COMPUTE_PGM_RSRC2:TGID_Y_EN: 0
; COMPUTE_PGM_RSRC2:TGID_Z_EN: 0
; COMPUTE_PGM_RSRC2:TIDIG_COMP_CNT: 0
	.section	.text._ZN9rocsparseL35bsr2csr_block_per_row_33_256_kernelILj1024ELj64ELj32E21rocsparse_complex_numIfEilEEv20rocsparse_direction_T4_S4_21rocsparse_index_base_PKT2_PKT3_PKS4_S4_S5_PS6_PS9_PS4_,"axG",@progbits,_ZN9rocsparseL35bsr2csr_block_per_row_33_256_kernelILj1024ELj64ELj32E21rocsparse_complex_numIfEilEEv20rocsparse_direction_T4_S4_21rocsparse_index_base_PKT2_PKT3_PKS4_S4_S5_PS6_PS9_PS4_,comdat
	.globl	_ZN9rocsparseL35bsr2csr_block_per_row_33_256_kernelILj1024ELj64ELj32E21rocsparse_complex_numIfEilEEv20rocsparse_direction_T4_S4_21rocsparse_index_base_PKT2_PKT3_PKS4_S4_S5_PS6_PS9_PS4_ ; -- Begin function _ZN9rocsparseL35bsr2csr_block_per_row_33_256_kernelILj1024ELj64ELj32E21rocsparse_complex_numIfEilEEv20rocsparse_direction_T4_S4_21rocsparse_index_base_PKT2_PKT3_PKS4_S4_S5_PS6_PS9_PS4_
	.p2align	8
	.type	_ZN9rocsparseL35bsr2csr_block_per_row_33_256_kernelILj1024ELj64ELj32E21rocsparse_complex_numIfEilEEv20rocsparse_direction_T4_S4_21rocsparse_index_base_PKT2_PKT3_PKS4_S4_S5_PS6_PS9_PS4_,@function
_ZN9rocsparseL35bsr2csr_block_per_row_33_256_kernelILj1024ELj64ELj32E21rocsparse_complex_numIfEilEEv20rocsparse_direction_T4_S4_21rocsparse_index_base_PKT2_PKT3_PKS4_S4_S5_PS6_PS9_PS4_: ; @_ZN9rocsparseL35bsr2csr_block_per_row_33_256_kernelILj1024ELj64ELj32E21rocsparse_complex_numIfEilEEv20rocsparse_direction_T4_S4_21rocsparse_index_base_PKT2_PKT3_PKS4_S4_S5_PS6_PS9_PS4_
; %bb.0:
	s_load_b64 s[8:9], s[0:1], 0x28
	s_bfe_u32 s2, ttmp6, 0x4000c
	s_and_b32 s3, ttmp6, 15
	s_add_co_i32 s2, s2, 1
	s_getreg_b32 s4, hwreg(HW_REG_IB_STS2, 6, 4)
	s_mul_i32 s2, ttmp9, s2
	s_mov_b32 s5, 0
	s_add_co_i32 s3, s3, s2
	s_cmp_eq_u32 s4, 0
	s_clause 0x1
	s_load_b32 s6, s[0:1], 0x40
	s_load_b64 s[14:15], s[0:1], 0x50
	s_cselect_b32 s2, ttmp9, s3
	s_mov_b32 s3, s5
	v_or_b32_e32 v1, s2, v0
	s_lshl_b64 s[10:11], s[2:3], 2
	s_mov_b32 s4, exec_lo
	s_wait_kmcnt 0x0
	s_add_nc_u64 s[8:9], s[8:9], s[10:11]
	s_load_b64 s[12:13], s[8:9], 0x0
	v_cmpx_eq_u32_e32 0, v1
	s_cbranch_execz .LBB192_2
; %bb.1:
	v_dual_mov_b32 v1, 0 :: v_dual_mov_b32 v2, s6
	global_store_b32 v1, v2, s[14:15]
.LBB192_2:
	s_wait_xcnt 0x0
	s_or_b32 exec_lo, exec_lo, s4
	s_clause 0x1
	s_load_b32 s8, s[0:1], 0x18
	s_load_b64 s[10:11], s[0:1], 0x38
	v_dual_mov_b32 v13, 0 :: v_dual_lshrrev_b32 v12, 5, v0
	s_mov_b32 s17, s5
	s_wait_kmcnt 0x0
	s_sub_co_i32 s4, s12, s8
	s_sub_co_i32 s24, s13, s8
	s_mul_u64 s[26:27], s[10:11], s[2:3]
	v_cmp_gt_i64_e64 s2, s[10:11], v[12:13]
	s_sub_co_i32 s16, s24, s4
	s_mul_u64 s[18:19], s[10:11], s[10:11]
	s_mul_u64 s[22:23], s[10:11], s[16:17]
	s_lshl_b64 s[26:27], s[26:27], 2
	s_mul_u64 s[20:21], s[18:19], s[4:5]
	s_add_co_i32 s5, s6, s22
	s_add_nc_u64 s[14:15], s[14:15], s[26:27]
	s_and_saveexec_b32 s3, s2
	s_cbranch_execz .LBB192_4
; %bb.3:
	s_add_co_i32 s7, s5, s20
	s_delay_alu instid0(SALU_CYCLE_1)
	v_mad_u32 v1, v12, s22, s7
	global_store_b32 v12, v1, s[14:15] offset:4 scale_offset
.LBB192_4:
	s_wait_xcnt 0x0
	s_or_b32 exec_lo, exec_lo, s3
	v_dual_mov_b32 v3, v13 :: v_dual_bitop2_b32 v2, 32, v12 bitop3:0x54
	s_delay_alu instid0(VALU_DEP_1)
	v_cmp_gt_i64_e64 s3, s[10:11], v[2:3]
	s_and_saveexec_b32 s7, s3
	s_cbranch_execz .LBB192_6
; %bb.5:
	s_add_co_i32 s5, s5, s20
	s_delay_alu instid0(SALU_CYCLE_1)
	v_mad_u32 v1, v2, s22, s5
	global_store_b32 v12, v1, s[14:15] offset:132 scale_offset
.LBB192_6:
	s_wait_xcnt 0x0
	s_or_b32 exec_lo, exec_lo, s7
	s_cmp_lt_i32 s12, s13
	s_cbranch_scc0 .LBB192_17
; %bb.7:
	s_clause 0x2
	s_load_b64 s[20:21], s[0:1], 0x30
	s_load_b64 s[12:13], s[0:1], 0x48
	s_load_b32 s5, s[0:1], 0x0
	v_dual_mov_b32 v1, 0 :: v_dual_bitop2_b32 v0, 31, v0 bitop3:0x40
	v_lshlrev_b32_e32 v8, 3, v12
	s_mul_i32 s7, s10, s4
	s_mov_b32 s9, 0
	s_delay_alu instid0(VALU_DEP_2)
	v_dual_mov_b32 v9, v1 :: v_dual_lshlrev_b32 v4, 3, v0
	v_mov_b32_e32 v5, v1
	v_mad_u32 v13, v2, s16, s7
	v_mad_u32 v12, v12, s16, s7
	v_dual_mov_b32 v11, v1 :: v_dual_bitop2_b32 v10, 32, v0 bitop3:0x54
	s_mov_b32 s7, s9
	s_load_b64 s[16:17], s[0:1], 0x58
	v_mov_b32_e32 v14, v1
	s_wait_kmcnt 0x0
	s_cmp_eq_u32 s5, 0
	s_delay_alu instid0(VALU_DEP_4) | instskip(SKIP_2) | instid1(VALU_DEP_4)
	v_mul_lo_u32 v13, s10, v13
	s_cselect_b32 vcc_lo, -1, 0
	s_ashr_i32 s5, s4, 31
	v_mul_lo_u32 v15, s10, v12
	s_mul_u64 s[14:15], s[10:11], s[4:5]
	v_mov_b32_e32 v12, v1
	s_lshl_b64 s[14:15], s[14:15], 3
	s_lshl_b64 s[18:19], s[18:19], 3
	v_add_nc_u64_e32 v[16:17], s[14:15], v[8:9]
	v_add_nc_u64_e32 v[18:19], s[14:15], v[4:5]
	s_load_b64 s[14:15], s[0:1], 0x20
	s_wait_xcnt 0x0
	v_cmp_gt_i64_e64 s0, s[10:11], v[0:1]
	v_cmp_gt_i64_e64 s1, s[10:11], v[10:11]
	s_delay_alu instid0(VALU_DEP_4) | instskip(NEXT) | instid1(VALU_DEP_4)
	v_add_nc_u64_e32 v[20:21], 0x100, v[16:17]
	v_add_nc_u64_e32 v[22:23], 0x100, v[18:19]
	v_mad_nc_u64_u32 v[2:3], s10, v16, v[4:5]
	s_and_b32 s22, s2, s0
	s_and_b32 s23, s2, s1
	;; [unrolled: 1-line block ×4, first 2 shown]
	v_mad_nc_u64_u32 v[4:5], s10, v20, v[4:5]
	v_mad_nc_u64_u32 v[6:7], s10, v22, v[8:9]
	;; [unrolled: 1-line block ×3, first 2 shown]
	s_lshl_b64 s[2:3], s[4:5], 3
	s_mov_b32 s0, s9
	s_mov_b32 s1, s10
	v_mad_u32 v3, s11, v16, v3
	v_mov_b32_e32 v16, v1
	s_add_nc_u64 s[2:3], s[20:21], s[2:3]
	v_mad_u32 v5, s11, v20, v5
	v_mad_u32 v7, s11, v22, v7
	;; [unrolled: 1-line block ×4, first 2 shown]
	v_mov_b32_e32 v17, v0
	v_mad_u32 v5, s10, v21, v5
	v_mad_u32 v7, s10, v23, v7
	;; [unrolled: 1-line block ×3, first 2 shown]
	s_branch .LBB192_9
.LBB192_8:                              ;   in Loop: Header=BB192_9 Depth=1
	s_wait_xcnt 0x0
	s_or_b32 exec_lo, exec_lo, s5
	v_add_nc_u64_e32 v[16:17], s[0:1], v[16:17]
	s_add_co_i32 s4, s4, 1
	s_add_nc_u64 s[2:3], s[2:3], 8
	s_cmp_ge_i32 s4, s24
	s_add_nc_u64 s[14:15], s[14:15], s[18:19]
	s_cbranch_scc1 .LBB192_17
.LBB192_9:                              ; =>This Inner Loop Header: Depth=1
	s_load_b64 s[20:21], s[2:3], 0x0
	v_add_nc_u64_e32 v[26:27], v[14:15], v[16:17]
	s_wait_kmcnt 0x0
	v_add_nc_u64_e32 v[28:29], s[14:15], v[2:3]
	s_delay_alu instid0(VALU_DEP_3) | instskip(SKIP_1) | instid1(SALU_CYCLE_1)
	v_add_nc_u64_e32 v[24:25], s[14:15], v[8:9]
	s_sub_nc_u64 s[20:21], s[20:21], s[8:9]
	s_mul_u64 s[20:21], s[20:21], s[10:11]
	s_delay_alu instid0(SALU_CYCLE_1) | instskip(NEXT) | instid1(SALU_CYCLE_1)
	s_add_nc_u64 s[20:21], s[20:21], s[6:7]
	v_add_nc_u64_e32 v[20:21], s[20:21], v[0:1]
	s_and_saveexec_b32 s5, s22
	s_cbranch_execz .LBB192_11
; %bb.10:                               ;   in Loop: Header=BB192_9 Depth=1
	v_dual_cndmask_b32 v19, v25, v29 :: v_dual_cndmask_b32 v18, v24, v28
	v_ashrrev_i64 v[22:23], 29, v[26:27]
	global_load_b64 v[18:19], v[18:19], off
	v_add_nc_u64_e32 v[30:31], s[16:17], v[22:23]
	v_add_nc_u64_e32 v[22:23], s[12:13], v[22:23]
	global_store_b64 v[30:31], v[20:21], off
	s_wait_loadcnt 0x0
	global_store_b64 v[22:23], v[18:19], off
.LBB192_11:                             ;   in Loop: Header=BB192_9 Depth=1
	s_wait_xcnt 0x0
	s_or_b32 exec_lo, exec_lo, s5
	v_add_nc_u64_e32 v[18:19], s[20:21], v[10:11]
	v_add_nc_u64_e32 v[22:23], s[14:15], v[6:7]
	s_and_saveexec_b32 s5, s23
	s_cbranch_execz .LBB192_13
; %bb.12:                               ;   in Loop: Header=BB192_9 Depth=1
	v_add_nc_u64_e32 v[28:29], 0x100, v[28:29]
	v_add_nc_u32_e32 v27, 32, v27
	s_delay_alu instid0(VALU_DEP_1) | instskip(NEXT) | instid1(VALU_DEP_3)
	v_ashrrev_i64 v[26:27], 29, v[26:27]
	v_dual_cndmask_b32 v29, v23, v29 :: v_dual_cndmask_b32 v28, v22, v28
	global_load_b64 v[28:29], v[28:29], off
	v_add_nc_u64_e32 v[30:31], s[16:17], v[26:27]
	v_add_nc_u64_e32 v[26:27], s[12:13], v[26:27]
	global_store_b64 v[30:31], v[18:19], off
	s_wait_loadcnt 0x0
	global_store_b64 v[26:27], v[28:29], off
.LBB192_13:                             ;   in Loop: Header=BB192_9 Depth=1
	s_wait_xcnt 0x0
	s_or_b32 exec_lo, exec_lo, s5
	v_add_nc_u64_e32 v[26:27], v[12:13], v[16:17]
	v_add_nc_u64_e32 v[28:29], s[14:15], v[4:5]
	s_and_saveexec_b32 s5, s25
	s_cbranch_execz .LBB192_15
; %bb.14:                               ;   in Loop: Header=BB192_9 Depth=1
	v_add_nc_u64_e32 v[24:25], 0x100, v[24:25]
	s_delay_alu instid0(VALU_DEP_3) | instskip(NEXT) | instid1(VALU_DEP_2)
	v_ashrrev_i64 v[30:31], 29, v[26:27]
	v_dual_cndmask_b32 v25, v25, v29 :: v_dual_cndmask_b32 v24, v24, v28
	s_delay_alu instid0(VALU_DEP_2)
	v_add_nc_u64_e32 v[32:33], s[16:17], v[30:31]
	v_add_nc_u64_e32 v[30:31], s[12:13], v[30:31]
	global_load_b64 v[24:25], v[24:25], off
	global_store_b64 v[32:33], v[20:21], off
	s_wait_loadcnt 0x0
	global_store_b64 v[30:31], v[24:25], off
.LBB192_15:                             ;   in Loop: Header=BB192_9 Depth=1
	s_wait_xcnt 0x0
	s_or_b32 exec_lo, exec_lo, s5
	s_and_saveexec_b32 s5, s26
	s_cbranch_execz .LBB192_8
; %bb.16:                               ;   in Loop: Header=BB192_9 Depth=1
	v_dual_cndmask_b32 v21, v23, v29 :: v_dual_cndmask_b32 v20, v22, v28
	v_add_nc_u32_e32 v27, 32, v27
	global_load_b64 v[20:21], v[20:21], off offset:256
	v_ashrrev_i64 v[22:23], 29, v[26:27]
	s_delay_alu instid0(VALU_DEP_1)
	v_add_nc_u64_e32 v[24:25], s[16:17], v[22:23]
	v_add_nc_u64_e32 v[22:23], s[12:13], v[22:23]
	global_store_b64 v[24:25], v[18:19], off
	s_wait_loadcnt 0x0
	global_store_b64 v[22:23], v[20:21], off
	s_branch .LBB192_8
.LBB192_17:
	s_endpgm
	.section	.rodata,"a",@progbits
	.p2align	6, 0x0
	.amdhsa_kernel _ZN9rocsparseL35bsr2csr_block_per_row_33_256_kernelILj1024ELj64ELj32E21rocsparse_complex_numIfEilEEv20rocsparse_direction_T4_S4_21rocsparse_index_base_PKT2_PKT3_PKS4_S4_S5_PS6_PS9_PS4_
		.amdhsa_group_segment_fixed_size 0
		.amdhsa_private_segment_fixed_size 0
		.amdhsa_kernarg_size 96
		.amdhsa_user_sgpr_count 2
		.amdhsa_user_sgpr_dispatch_ptr 0
		.amdhsa_user_sgpr_queue_ptr 0
		.amdhsa_user_sgpr_kernarg_segment_ptr 1
		.amdhsa_user_sgpr_dispatch_id 0
		.amdhsa_user_sgpr_kernarg_preload_length 0
		.amdhsa_user_sgpr_kernarg_preload_offset 0
		.amdhsa_user_sgpr_private_segment_size 0
		.amdhsa_wavefront_size32 1
		.amdhsa_uses_dynamic_stack 0
		.amdhsa_enable_private_segment 0
		.amdhsa_system_sgpr_workgroup_id_x 1
		.amdhsa_system_sgpr_workgroup_id_y 0
		.amdhsa_system_sgpr_workgroup_id_z 0
		.amdhsa_system_sgpr_workgroup_info 0
		.amdhsa_system_vgpr_workitem_id 0
		.amdhsa_next_free_vgpr 34
		.amdhsa_next_free_sgpr 28
		.amdhsa_named_barrier_count 0
		.amdhsa_reserve_vcc 1
		.amdhsa_float_round_mode_32 0
		.amdhsa_float_round_mode_16_64 0
		.amdhsa_float_denorm_mode_32 3
		.amdhsa_float_denorm_mode_16_64 3
		.amdhsa_fp16_overflow 0
		.amdhsa_memory_ordered 1
		.amdhsa_forward_progress 1
		.amdhsa_inst_pref_size 10
		.amdhsa_round_robin_scheduling 0
		.amdhsa_exception_fp_ieee_invalid_op 0
		.amdhsa_exception_fp_denorm_src 0
		.amdhsa_exception_fp_ieee_div_zero 0
		.amdhsa_exception_fp_ieee_overflow 0
		.amdhsa_exception_fp_ieee_underflow 0
		.amdhsa_exception_fp_ieee_inexact 0
		.amdhsa_exception_int_div_zero 0
	.end_amdhsa_kernel
	.section	.text._ZN9rocsparseL35bsr2csr_block_per_row_33_256_kernelILj1024ELj64ELj32E21rocsparse_complex_numIfEilEEv20rocsparse_direction_T4_S4_21rocsparse_index_base_PKT2_PKT3_PKS4_S4_S5_PS6_PS9_PS4_,"axG",@progbits,_ZN9rocsparseL35bsr2csr_block_per_row_33_256_kernelILj1024ELj64ELj32E21rocsparse_complex_numIfEilEEv20rocsparse_direction_T4_S4_21rocsparse_index_base_PKT2_PKT3_PKS4_S4_S5_PS6_PS9_PS4_,comdat
.Lfunc_end192:
	.size	_ZN9rocsparseL35bsr2csr_block_per_row_33_256_kernelILj1024ELj64ELj32E21rocsparse_complex_numIfEilEEv20rocsparse_direction_T4_S4_21rocsparse_index_base_PKT2_PKT3_PKS4_S4_S5_PS6_PS9_PS4_, .Lfunc_end192-_ZN9rocsparseL35bsr2csr_block_per_row_33_256_kernelILj1024ELj64ELj32E21rocsparse_complex_numIfEilEEv20rocsparse_direction_T4_S4_21rocsparse_index_base_PKT2_PKT3_PKS4_S4_S5_PS6_PS9_PS4_
                                        ; -- End function
	.set _ZN9rocsparseL35bsr2csr_block_per_row_33_256_kernelILj1024ELj64ELj32E21rocsparse_complex_numIfEilEEv20rocsparse_direction_T4_S4_21rocsparse_index_base_PKT2_PKT3_PKS4_S4_S5_PS6_PS9_PS4_.num_vgpr, 34
	.set _ZN9rocsparseL35bsr2csr_block_per_row_33_256_kernelILj1024ELj64ELj32E21rocsparse_complex_numIfEilEEv20rocsparse_direction_T4_S4_21rocsparse_index_base_PKT2_PKT3_PKS4_S4_S5_PS6_PS9_PS4_.num_agpr, 0
	.set _ZN9rocsparseL35bsr2csr_block_per_row_33_256_kernelILj1024ELj64ELj32E21rocsparse_complex_numIfEilEEv20rocsparse_direction_T4_S4_21rocsparse_index_base_PKT2_PKT3_PKS4_S4_S5_PS6_PS9_PS4_.numbered_sgpr, 28
	.set _ZN9rocsparseL35bsr2csr_block_per_row_33_256_kernelILj1024ELj64ELj32E21rocsparse_complex_numIfEilEEv20rocsparse_direction_T4_S4_21rocsparse_index_base_PKT2_PKT3_PKS4_S4_S5_PS6_PS9_PS4_.num_named_barrier, 0
	.set _ZN9rocsparseL35bsr2csr_block_per_row_33_256_kernelILj1024ELj64ELj32E21rocsparse_complex_numIfEilEEv20rocsparse_direction_T4_S4_21rocsparse_index_base_PKT2_PKT3_PKS4_S4_S5_PS6_PS9_PS4_.private_seg_size, 0
	.set _ZN9rocsparseL35bsr2csr_block_per_row_33_256_kernelILj1024ELj64ELj32E21rocsparse_complex_numIfEilEEv20rocsparse_direction_T4_S4_21rocsparse_index_base_PKT2_PKT3_PKS4_S4_S5_PS6_PS9_PS4_.uses_vcc, 1
	.set _ZN9rocsparseL35bsr2csr_block_per_row_33_256_kernelILj1024ELj64ELj32E21rocsparse_complex_numIfEilEEv20rocsparse_direction_T4_S4_21rocsparse_index_base_PKT2_PKT3_PKS4_S4_S5_PS6_PS9_PS4_.uses_flat_scratch, 0
	.set _ZN9rocsparseL35bsr2csr_block_per_row_33_256_kernelILj1024ELj64ELj32E21rocsparse_complex_numIfEilEEv20rocsparse_direction_T4_S4_21rocsparse_index_base_PKT2_PKT3_PKS4_S4_S5_PS6_PS9_PS4_.has_dyn_sized_stack, 0
	.set _ZN9rocsparseL35bsr2csr_block_per_row_33_256_kernelILj1024ELj64ELj32E21rocsparse_complex_numIfEilEEv20rocsparse_direction_T4_S4_21rocsparse_index_base_PKT2_PKT3_PKS4_S4_S5_PS6_PS9_PS4_.has_recursion, 0
	.set _ZN9rocsparseL35bsr2csr_block_per_row_33_256_kernelILj1024ELj64ELj32E21rocsparse_complex_numIfEilEEv20rocsparse_direction_T4_S4_21rocsparse_index_base_PKT2_PKT3_PKS4_S4_S5_PS6_PS9_PS4_.has_indirect_call, 0
	.section	.AMDGPU.csdata,"",@progbits
; Kernel info:
; codeLenInByte = 1156
; TotalNumSgprs: 30
; NumVgprs: 34
; ScratchSize: 0
; MemoryBound: 0
; FloatMode: 240
; IeeeMode: 1
; LDSByteSize: 0 bytes/workgroup (compile time only)
; SGPRBlocks: 0
; VGPRBlocks: 2
; NumSGPRsForWavesPerEU: 30
; NumVGPRsForWavesPerEU: 34
; NamedBarCnt: 0
; Occupancy: 16
; WaveLimiterHint : 1
; COMPUTE_PGM_RSRC2:SCRATCH_EN: 0
; COMPUTE_PGM_RSRC2:USER_SGPR: 2
; COMPUTE_PGM_RSRC2:TRAP_HANDLER: 0
; COMPUTE_PGM_RSRC2:TGID_X_EN: 1
; COMPUTE_PGM_RSRC2:TGID_Y_EN: 0
; COMPUTE_PGM_RSRC2:TGID_Z_EN: 0
; COMPUTE_PGM_RSRC2:TIDIG_COMP_CNT: 0
	.section	.text._ZN9rocsparseL35bsr2csr_block_per_row_33_256_kernelILj1024ELj128ELj32E21rocsparse_complex_numIfEilEEv20rocsparse_direction_T4_S4_21rocsparse_index_base_PKT2_PKT3_PKS4_S4_S5_PS6_PS9_PS4_,"axG",@progbits,_ZN9rocsparseL35bsr2csr_block_per_row_33_256_kernelILj1024ELj128ELj32E21rocsparse_complex_numIfEilEEv20rocsparse_direction_T4_S4_21rocsparse_index_base_PKT2_PKT3_PKS4_S4_S5_PS6_PS9_PS4_,comdat
	.globl	_ZN9rocsparseL35bsr2csr_block_per_row_33_256_kernelILj1024ELj128ELj32E21rocsparse_complex_numIfEilEEv20rocsparse_direction_T4_S4_21rocsparse_index_base_PKT2_PKT3_PKS4_S4_S5_PS6_PS9_PS4_ ; -- Begin function _ZN9rocsparseL35bsr2csr_block_per_row_33_256_kernelILj1024ELj128ELj32E21rocsparse_complex_numIfEilEEv20rocsparse_direction_T4_S4_21rocsparse_index_base_PKT2_PKT3_PKS4_S4_S5_PS6_PS9_PS4_
	.p2align	8
	.type	_ZN9rocsparseL35bsr2csr_block_per_row_33_256_kernelILj1024ELj128ELj32E21rocsparse_complex_numIfEilEEv20rocsparse_direction_T4_S4_21rocsparse_index_base_PKT2_PKT3_PKS4_S4_S5_PS6_PS9_PS4_,@function
_ZN9rocsparseL35bsr2csr_block_per_row_33_256_kernelILj1024ELj128ELj32E21rocsparse_complex_numIfEilEEv20rocsparse_direction_T4_S4_21rocsparse_index_base_PKT2_PKT3_PKS4_S4_S5_PS6_PS9_PS4_: ; @_ZN9rocsparseL35bsr2csr_block_per_row_33_256_kernelILj1024ELj128ELj32E21rocsparse_complex_numIfEilEEv20rocsparse_direction_T4_S4_21rocsparse_index_base_PKT2_PKT3_PKS4_S4_S5_PS6_PS9_PS4_
; %bb.0:
	s_load_b64 s[6:7], s[0:1], 0x28
	s_bfe_u32 s2, ttmp6, 0x4000c
	s_and_b32 s3, ttmp6, 15
	s_add_co_i32 s2, s2, 1
	s_getreg_b32 s4, hwreg(HW_REG_IB_STS2, 6, 4)
	s_mul_i32 s2, ttmp9, s2
	s_mov_b32 s9, 0
	s_add_co_i32 s3, s3, s2
	s_cmp_eq_u32 s4, 0
	s_clause 0x1
	s_load_b32 s10, s[0:1], 0x40
	s_load_b64 s[4:5], s[0:1], 0x50
	s_cselect_b32 s2, ttmp9, s3
	s_mov_b32 s3, s9
	v_or_b32_e32 v1, s2, v0
	s_lshl_b64 s[12:13], s[2:3], 2
	s_mov_b32 s8, exec_lo
	s_wait_kmcnt 0x0
	s_add_nc_u64 s[12:13], s[6:7], s[12:13]
	s_load_b64 s[6:7], s[12:13], 0x0
	v_cmpx_eq_u32_e32 0, v1
	s_cbranch_execz .LBB193_2
; %bb.1:
	v_dual_mov_b32 v1, 0 :: v_dual_mov_b32 v2, s10
	global_store_b32 v1, v2, s[4:5]
.LBB193_2:
	s_wait_xcnt 0x0
	s_or_b32 exec_lo, exec_lo, s8
	s_clause 0x1
	s_load_b32 s12, s[0:1], 0x18
	s_load_b64 s[14:15], s[0:1], 0x38
	v_dual_mov_b32 v11, 0 :: v_dual_lshrrev_b32 v10, 5, v0
	s_mov_b32 s25, s9
	s_wait_kmcnt 0x0
	s_sub_co_i32 s8, s6, s12
	s_sub_co_i32 s28, s7, s12
	s_mul_u64 s[20:21], s[14:15], s[2:3]
	v_cmp_gt_i64_e64 s3, s[14:15], v[10:11]
	s_sub_co_i32 s24, s28, s8
	s_mul_u64 s[22:23], s[14:15], s[14:15]
	s_mul_u64 s[18:19], s[14:15], s[24:25]
	s_lshl_b64 s[20:21], s[20:21], 2
	s_mul_u64 s[16:17], s[22:23], s[8:9]
	s_add_co_i32 s9, s10, s18
	s_add_nc_u64 s[20:21], s[4:5], s[20:21]
	s_and_saveexec_b32 s2, s3
	s_cbranch_execz .LBB193_4
; %bb.3:
	s_add_co_i32 s4, s9, s16
	s_delay_alu instid0(SALU_CYCLE_1)
	v_mad_u32 v1, v10, s18, s4
	global_store_b32 v10, v1, s[20:21] offset:4 scale_offset
.LBB193_4:
	s_wait_xcnt 0x0
	s_or_b32 exec_lo, exec_lo, s2
	v_dual_mov_b32 v29, v11 :: v_dual_bitop2_b32 v28, 32, v10 bitop3:0x54
	s_delay_alu instid0(VALU_DEP_1)
	v_cmp_gt_i64_e64 s4, s[14:15], v[28:29]
	s_and_saveexec_b32 s2, s4
	s_cbranch_execz .LBB193_6
; %bb.5:
	s_add_co_i32 s5, s9, s16
	s_delay_alu instid0(SALU_CYCLE_1)
	v_mad_u32 v1, v28, s18, s5
	global_store_b32 v10, v1, s[20:21] offset:132 scale_offset
.LBB193_6:
	s_wait_xcnt 0x0
	s_or_b32 exec_lo, exec_lo, s2
	v_dual_mov_b32 v31, v11 :: v_dual_bitop2_b32 v30, 64, v10 bitop3:0x54
	s_delay_alu instid0(VALU_DEP_1)
	v_cmp_gt_i64_e64 s5, s[14:15], v[30:31]
	s_and_saveexec_b32 s2, s5
	s_cbranch_execz .LBB193_8
; %bb.7:
	s_add_co_i32 s11, s9, s16
	s_delay_alu instid0(SALU_CYCLE_1)
	v_mad_u32 v1, v30, s18, s11
	global_store_b32 v10, v1, s[20:21] offset:260 scale_offset
.LBB193_8:
	s_wait_xcnt 0x0
	s_or_b32 exec_lo, exec_lo, s2
	v_or_b32_e32 v8, 0x60, v10
	v_mov_b32_e32 v9, v11
	s_delay_alu instid0(VALU_DEP_1)
	v_cmp_gt_i64_e64 s2, s[14:15], v[8:9]
	s_and_saveexec_b32 s11, s2
	s_cbranch_execz .LBB193_10
; %bb.9:
	s_add_co_i32 s9, s9, s16
	s_delay_alu instid0(SALU_CYCLE_1)
	v_mad_u32 v1, v8, s18, s9
	global_store_b32 v10, v1, s[20:21] offset:388 scale_offset
.LBB193_10:
	s_wait_xcnt 0x0
	s_or_b32 exec_lo, exec_lo, s11
	s_cmp_lt_i32 s6, s7
	s_cbranch_scc0 .LBB193_45
; %bb.11:
	s_clause 0x2
	s_load_b64 s[26:27], s[0:1], 0x30
	s_load_b64 s[16:17], s[0:1], 0x48
	s_load_b32 s9, s[0:1], 0x0
	v_dual_mov_b32 v1, 0 :: v_dual_bitop2_b32 v0, 31, v0 bitop3:0x40
	s_clause 0x1
	s_load_b64 s[18:19], s[0:1], 0x20
	s_load_b64 s[20:21], s[0:1], 0x58
	s_mov_b32 s13, 0
	v_dual_lshlrev_b32 v26, 3, v10 :: v_dual_bitop2_b32 v2, 32, v0 bitop3:0x54
	v_dual_mov_b32 v3, v1 :: v_dual_bitop2_b32 v4, 64, v0 bitop3:0x54
	v_mov_b32_e32 v5, v1
	v_or_b32_e32 v6, 0x60, v0
	v_mov_b32_e32 v7, v1
	s_wait_xcnt 0x0
	v_cmp_gt_i64_e64 s0, s[14:15], v[0:1]
	v_cmp_gt_i64_e64 s1, s[14:15], v[2:3]
	;; [unrolled: 1-line block ×3, first 2 shown]
	v_dual_mov_b32 v27, v1 :: v_dual_lshlrev_b32 v18, 3, v0
	v_cmp_gt_i64_e64 s7, s[14:15], v[6:7]
	v_dual_mov_b32 v19, v1 :: v_dual_mov_b32 v9, v0
	s_wait_kmcnt 0x0
	s_cmp_eq_u32 s9, 0
	v_mov_b32_e32 v32, v1
	s_cselect_b32 vcc_lo, -1, 0
	s_ashr_i32 s9, s8, 31
	s_and_b32 s33, s4, s0
	s_and_b32 s34, s4, s1
	;; [unrolled: 1-line block ×8, first 2 shown]
	s_mul_u64 s[4:5], s[14:15], s[8:9]
	s_and_b32 s25, s3, s0
	s_and_b32 s41, s2, s0
	s_mul_i32 s0, s14, s8
	s_lshl_b64 s[4:5], s[4:5], 3
	v_mad_u32 v11, v8, s24, s0
	v_add_nc_u64_e32 v[34:35], s[4:5], v[26:27]
	v_mov_b32_e32 v8, v1
	v_add_nc_u64_e32 v[36:37], s[4:5], v[18:19]
	v_mad_u32 v29, v30, s24, s0
	v_mad_u32 v28, v28, s24, s0
	;; [unrolled: 1-line block ×3, first 2 shown]
	v_mov_b32_e32 v30, v1
	v_add_nc_u64_e32 v[38:39], 0x300, v[34:35]
	v_add_nc_u64_e32 v[40:41], 0x200, v[34:35]
	;; [unrolled: 1-line block ×6, first 2 shown]
	v_mad_u32 v11, s14, v11, 0x60
	v_mad_nc_u64_u32 v[12:13], s14, v38, v[18:19]
	v_mad_nc_u64_u32 v[14:15], s14, v40, v[18:19]
	;; [unrolled: 1-line block ×8, first 2 shown]
	v_mul_lo_u32 v29, s14, v29
	v_mul_lo_u32 v31, s14, v28
	;; [unrolled: 1-line block ×3, first 2 shown]
	v_mad_u32 v13, s15, v38, v13
	v_mad_u32 v15, s15, v40, v15
	;; [unrolled: 1-line block ×8, first 2 shown]
	v_dual_mov_b32 v10, v1 :: v_dual_mov_b32 v28, v1
	s_and_b32 s29, s3, s1
	v_mad_u32 v13, s14, v39, v13
	v_mad_u32 v15, s14, v41, v15
	;; [unrolled: 1-line block ×8, first 2 shown]
	s_and_b32 s30, s3, s6
	s_and_b32 s31, s3, s7
	;; [unrolled: 1-line block ×5, first 2 shown]
	s_lshl_b64 s[2:3], s[8:9], 3
	s_mov_b32 s11, s13
	s_mov_b32 s0, s13
	;; [unrolled: 1-line block ×3, first 2 shown]
	s_add_nc_u64 s[2:3], s[26:27], s[2:3]
	s_lshl_b64 s[4:5], s[22:23], 3
	s_branch .LBB193_13
.LBB193_12:                             ;   in Loop: Header=BB193_13 Depth=1
	s_wait_xcnt 0x0
	s_or_b32 exec_lo, exec_lo, s6
	v_add_nc_u64_e32 v[10:11], s[0:1], v[10:11]
	v_add_nc_u64_e32 v[28:29], s[0:1], v[28:29]
	;; [unrolled: 1-line block ×4, first 2 shown]
	s_add_co_i32 s8, s8, 1
	s_add_nc_u64 s[2:3], s[2:3], 8
	s_cmp_ge_i32 s8, s28
	s_add_nc_u64 s[18:19], s[18:19], s[4:5]
	s_cbranch_scc1 .LBB193_45
.LBB193_13:                             ; =>This Inner Loop Header: Depth=1
	s_load_b64 s[6:7], s[2:3], 0x0
	v_add_nc_u64_e32 v[50:51], v[8:9], v[32:33]
	v_add_nc_u64_e32 v[52:53], s[18:19], v[18:19]
	;; [unrolled: 1-line block ×3, first 2 shown]
	s_wait_kmcnt 0x0
	s_sub_nc_u64 s[6:7], s[6:7], s[12:13]
	s_delay_alu instid0(SALU_CYCLE_1) | instskip(NEXT) | instid1(SALU_CYCLE_1)
	s_mul_u64 s[6:7], s[6:7], s[14:15]
	s_add_nc_u64 s[6:7], s[6:7], s[10:11]
	s_delay_alu instid0(SALU_CYCLE_1)
	v_add_nc_u64_e32 v[38:39], s[6:7], v[0:1]
	s_and_saveexec_b32 s9, s25
	s_cbranch_execz .LBB193_15
; %bb.14:                               ;   in Loop: Header=BB193_13 Depth=1
	v_dual_cndmask_b32 v35, v49, v53 :: v_dual_cndmask_b32 v34, v48, v52
	v_ashrrev_i64 v[36:37], 29, v[50:51]
	global_load_b64 v[34:35], v[34:35], off
	v_add_nc_u64_e32 v[40:41], s[20:21], v[36:37]
	v_add_nc_u64_e32 v[36:37], s[16:17], v[36:37]
	global_store_b64 v[40:41], v[38:39], off
	s_wait_loadcnt 0x0
	global_store_b64 v[36:37], v[34:35], off
.LBB193_15:                             ;   in Loop: Header=BB193_13 Depth=1
	s_wait_xcnt 0x0
	s_or_b32 exec_lo, exec_lo, s9
	v_add_nc_u64_e32 v[34:35], s[6:7], v[2:3]
	v_add_nc_u64_e32 v[42:43], s[18:19], v[24:25]
	s_and_saveexec_b32 s9, s29
	s_cbranch_execz .LBB193_17
; %bb.16:                               ;   in Loop: Header=BB193_13 Depth=1
	v_add_nc_u64_e32 v[36:37], 0x100, v[52:53]
	v_dual_mov_b32 v40, v50 :: v_dual_add_nc_u32 v41, 32, v51
	s_delay_alu instid0(VALU_DEP_1) | instskip(NEXT) | instid1(VALU_DEP_3)
	v_ashrrev_i64 v[40:41], 29, v[40:41]
	v_dual_cndmask_b32 v37, v43, v37 :: v_dual_cndmask_b32 v36, v42, v36
	global_load_b64 v[36:37], v[36:37], off
	v_add_nc_u64_e32 v[44:45], s[20:21], v[40:41]
	v_add_nc_u64_e32 v[40:41], s[16:17], v[40:41]
	global_store_b64 v[44:45], v[34:35], off
	s_wait_loadcnt 0x0
	global_store_b64 v[40:41], v[36:37], off
.LBB193_17:                             ;   in Loop: Header=BB193_13 Depth=1
	s_wait_xcnt 0x0
	s_or_b32 exec_lo, exec_lo, s9
	v_add_nc_u64_e32 v[36:37], s[6:7], v[4:5]
	v_add_nc_u64_e32 v[44:45], s[18:19], v[22:23]
	s_and_saveexec_b32 s9, s30
	s_cbranch_execz .LBB193_19
; %bb.18:                               ;   in Loop: Header=BB193_13 Depth=1
	v_add_nc_u64_e32 v[40:41], 0x200, v[52:53]
	v_dual_mov_b32 v46, v50 :: v_dual_add_nc_u32 v47, 64, v51
	s_delay_alu instid0(VALU_DEP_1) | instskip(NEXT) | instid1(VALU_DEP_3)
	v_ashrrev_i64 v[46:47], 29, v[46:47]
	v_dual_cndmask_b32 v41, v45, v41 :: v_dual_cndmask_b32 v40, v44, v40
	global_load_b64 v[40:41], v[40:41], off
	v_add_nc_u64_e32 v[54:55], s[20:21], v[46:47]
	v_add_nc_u64_e32 v[46:47], s[16:17], v[46:47]
	global_store_b64 v[54:55], v[36:37], off
	s_wait_loadcnt 0x0
	global_store_b64 v[46:47], v[40:41], off
.LBB193_19:                             ;   in Loop: Header=BB193_13 Depth=1
	s_wait_xcnt 0x0
	s_or_b32 exec_lo, exec_lo, s9
	v_add_nc_u64_e32 v[40:41], s[6:7], v[6:7]
	v_add_nc_u64_e32 v[46:47], s[18:19], v[20:21]
	s_and_saveexec_b32 s6, s31
	s_cbranch_execz .LBB193_21
; %bb.20:                               ;   in Loop: Header=BB193_13 Depth=1
	v_add_nc_u64_e32 v[52:53], 0x300, v[52:53]
	v_add_nc_u32_e32 v51, 0x60, v51
	s_delay_alu instid0(VALU_DEP_1) | instskip(NEXT) | instid1(VALU_DEP_3)
	v_ashrrev_i64 v[50:51], 29, v[50:51]
	v_dual_cndmask_b32 v53, v47, v53 :: v_dual_cndmask_b32 v52, v46, v52
	global_load_b64 v[52:53], v[52:53], off
	v_add_nc_u64_e32 v[54:55], s[20:21], v[50:51]
	v_add_nc_u64_e32 v[50:51], s[16:17], v[50:51]
	global_store_b64 v[54:55], v[40:41], off
	s_wait_loadcnt 0x0
	global_store_b64 v[50:51], v[52:53], off
.LBB193_21:                             ;   in Loop: Header=BB193_13 Depth=1
	s_wait_xcnt 0x0
	s_or_b32 exec_lo, exec_lo, s6
	v_add_nc_u64_e32 v[50:51], v[8:9], v[30:31]
	v_add_nc_u64_e32 v[52:53], s[18:19], v[16:17]
	s_and_saveexec_b32 s6, s33
	s_cbranch_execnz .LBB193_35
; %bb.22:                               ;   in Loop: Header=BB193_13 Depth=1
	s_or_b32 exec_lo, exec_lo, s6
	s_and_saveexec_b32 s6, s34
	s_cbranch_execnz .LBB193_36
.LBB193_23:                             ;   in Loop: Header=BB193_13 Depth=1
	s_or_b32 exec_lo, exec_lo, s6
	s_and_saveexec_b32 s6, s35
	s_cbranch_execnz .LBB193_37
.LBB193_24:                             ;   in Loop: Header=BB193_13 Depth=1
	s_or_b32 exec_lo, exec_lo, s6
	s_and_saveexec_b32 s6, s36
	s_cbranch_execz .LBB193_26
.LBB193_25:                             ;   in Loop: Header=BB193_13 Depth=1
	v_add_nc_u64_e32 v[52:53], 0x300, v[52:53]
	v_add_nc_u64_e32 v[54:55], 0x100, v[46:47]
	v_add_nc_u32_e32 v51, 0x60, v51
	s_delay_alu instid0(VALU_DEP_1) | instskip(NEXT) | instid1(VALU_DEP_3)
	v_ashrrev_i64 v[50:51], 29, v[50:51]
	v_dual_cndmask_b32 v53, v55, v53 :: v_dual_cndmask_b32 v52, v54, v52
	global_load_b64 v[52:53], v[52:53], off
	v_add_nc_u64_e32 v[54:55], s[20:21], v[50:51]
	v_add_nc_u64_e32 v[50:51], s[16:17], v[50:51]
	global_store_b64 v[54:55], v[40:41], off
	s_wait_loadcnt 0x0
	global_store_b64 v[50:51], v[52:53], off
.LBB193_26:                             ;   in Loop: Header=BB193_13 Depth=1
	s_wait_xcnt 0x0
	s_or_b32 exec_lo, exec_lo, s6
	v_add_nc_u64_e32 v[50:51], v[8:9], v[28:29]
	v_add_nc_u64_e32 v[52:53], s[18:19], v[14:15]
	s_and_saveexec_b32 s6, s37
	s_cbranch_execnz .LBB193_38
; %bb.27:                               ;   in Loop: Header=BB193_13 Depth=1
	s_or_b32 exec_lo, exec_lo, s6
	s_and_saveexec_b32 s6, s38
	s_cbranch_execnz .LBB193_39
.LBB193_28:                             ;   in Loop: Header=BB193_13 Depth=1
	s_or_b32 exec_lo, exec_lo, s6
	s_and_saveexec_b32 s6, s39
	s_cbranch_execnz .LBB193_40
.LBB193_29:                             ;   in Loop: Header=BB193_13 Depth=1
	s_or_b32 exec_lo, exec_lo, s6
	s_and_saveexec_b32 s6, s40
	s_cbranch_execz .LBB193_31
.LBB193_30:                             ;   in Loop: Header=BB193_13 Depth=1
	v_add_nc_u64_e32 v[52:53], 0x300, v[52:53]
	v_add_nc_u64_e32 v[54:55], 0x200, v[46:47]
	v_add_nc_u32_e32 v51, 0x60, v51
	s_delay_alu instid0(VALU_DEP_1) | instskip(NEXT) | instid1(VALU_DEP_3)
	v_ashrrev_i64 v[50:51], 29, v[50:51]
	v_dual_cndmask_b32 v53, v55, v53 :: v_dual_cndmask_b32 v52, v54, v52
	global_load_b64 v[52:53], v[52:53], off
	v_add_nc_u64_e32 v[54:55], s[20:21], v[50:51]
	v_add_nc_u64_e32 v[50:51], s[16:17], v[50:51]
	global_store_b64 v[54:55], v[40:41], off
	s_wait_loadcnt 0x0
	global_store_b64 v[50:51], v[52:53], off
.LBB193_31:                             ;   in Loop: Header=BB193_13 Depth=1
	s_wait_xcnt 0x0
	s_or_b32 exec_lo, exec_lo, s6
	v_add_nc_u64_e32 v[50:51], v[8:9], v[10:11]
	v_add_nc_u64_e32 v[52:53], s[18:19], v[12:13]
	s_and_saveexec_b32 s6, s41
	s_cbranch_execnz .LBB193_41
; %bb.32:                               ;   in Loop: Header=BB193_13 Depth=1
	s_or_b32 exec_lo, exec_lo, s6
	s_and_saveexec_b32 s6, s42
	s_cbranch_execnz .LBB193_42
.LBB193_33:                             ;   in Loop: Header=BB193_13 Depth=1
	s_or_b32 exec_lo, exec_lo, s6
	s_and_saveexec_b32 s6, s43
	s_cbranch_execnz .LBB193_43
.LBB193_34:                             ;   in Loop: Header=BB193_13 Depth=1
	s_or_b32 exec_lo, exec_lo, s6
	s_and_saveexec_b32 s6, s44
	s_cbranch_execz .LBB193_12
	s_branch .LBB193_44
.LBB193_35:                             ;   in Loop: Header=BB193_13 Depth=1
	v_add_nc_u64_e32 v[54:55], 0x100, v[48:49]
	s_delay_alu instid0(VALU_DEP_3) | instskip(NEXT) | instid1(VALU_DEP_2)
	v_ashrrev_i64 v[56:57], 29, v[50:51]
	v_dual_cndmask_b32 v55, v55, v53 :: v_dual_cndmask_b32 v54, v54, v52
	s_delay_alu instid0(VALU_DEP_2)
	v_add_nc_u64_e32 v[58:59], s[20:21], v[56:57]
	v_add_nc_u64_e32 v[56:57], s[16:17], v[56:57]
	global_load_b64 v[54:55], v[54:55], off
	global_store_b64 v[58:59], v[38:39], off
	s_wait_loadcnt 0x0
	global_store_b64 v[56:57], v[54:55], off
	s_wait_xcnt 0x0
	s_or_b32 exec_lo, exec_lo, s6
	s_and_saveexec_b32 s6, s34
	s_cbranch_execz .LBB193_23
.LBB193_36:                             ;   in Loop: Header=BB193_13 Depth=1
	s_delay_alu instid0(VALU_DEP_1) | instskip(SKIP_3) | instid1(VALU_DEP_1)
	v_dual_cndmask_b32 v55, v43, v53 :: v_dual_cndmask_b32 v54, v42, v52
	v_dual_mov_b32 v56, v50 :: v_dual_add_nc_u32 v57, 32, v51
	global_load_b64 v[54:55], v[54:55], off offset:256
	v_ashrrev_i64 v[56:57], 29, v[56:57]
	v_add_nc_u64_e32 v[58:59], s[20:21], v[56:57]
	v_add_nc_u64_e32 v[56:57], s[16:17], v[56:57]
	global_store_b64 v[58:59], v[34:35], off
	s_wait_loadcnt 0x0
	global_store_b64 v[56:57], v[54:55], off
	s_wait_xcnt 0x0
	s_or_b32 exec_lo, exec_lo, s6
	s_and_saveexec_b32 s6, s35
	s_cbranch_execz .LBB193_24
.LBB193_37:                             ;   in Loop: Header=BB193_13 Depth=1
	v_add_nc_u64_e32 v[54:55], 0x200, v[52:53]
	v_add_nc_u64_e32 v[56:57], 0x100, v[44:45]
	s_delay_alu instid0(VALU_DEP_1) | instskip(SKIP_3) | instid1(VALU_DEP_1)
	v_dual_cndmask_b32 v55, v57, v55 :: v_dual_cndmask_b32 v54, v56, v54
	v_dual_mov_b32 v56, v50 :: v_dual_add_nc_u32 v57, 64, v51
	global_load_b64 v[54:55], v[54:55], off
	v_ashrrev_i64 v[56:57], 29, v[56:57]
	v_add_nc_u64_e32 v[58:59], s[20:21], v[56:57]
	v_add_nc_u64_e32 v[56:57], s[16:17], v[56:57]
	global_store_b64 v[58:59], v[36:37], off
	s_wait_loadcnt 0x0
	global_store_b64 v[56:57], v[54:55], off
	s_wait_xcnt 0x0
	s_or_b32 exec_lo, exec_lo, s6
	s_and_saveexec_b32 s6, s36
	s_cbranch_execnz .LBB193_25
	s_branch .LBB193_26
.LBB193_38:                             ;   in Loop: Header=BB193_13 Depth=1
	v_add_nc_u64_e32 v[54:55], 0x200, v[48:49]
	s_delay_alu instid0(VALU_DEP_3) | instskip(NEXT) | instid1(VALU_DEP_2)
	v_ashrrev_i64 v[56:57], 29, v[50:51]
	v_dual_cndmask_b32 v55, v55, v53 :: v_dual_cndmask_b32 v54, v54, v52
	s_delay_alu instid0(VALU_DEP_2)
	v_add_nc_u64_e32 v[58:59], s[20:21], v[56:57]
	v_add_nc_u64_e32 v[56:57], s[16:17], v[56:57]
	global_load_b64 v[54:55], v[54:55], off
	global_store_b64 v[58:59], v[38:39], off
	s_wait_loadcnt 0x0
	global_store_b64 v[56:57], v[54:55], off
	s_wait_xcnt 0x0
	s_or_b32 exec_lo, exec_lo, s6
	s_and_saveexec_b32 s6, s38
	s_cbranch_execz .LBB193_28
.LBB193_39:                             ;   in Loop: Header=BB193_13 Depth=1
	s_delay_alu instid0(VALU_DEP_1) | instskip(SKIP_1) | instid1(VALU_DEP_1)
	v_add_nc_u64_e32 v[54:55], 0x100, v[52:53]
	v_add_nc_u64_e32 v[56:57], 0x200, v[42:43]
	v_dual_cndmask_b32 v55, v57, v55 :: v_dual_cndmask_b32 v54, v56, v54
	v_dual_mov_b32 v56, v50 :: v_dual_add_nc_u32 v57, 32, v51
	global_load_b64 v[54:55], v[54:55], off
	v_ashrrev_i64 v[56:57], 29, v[56:57]
	s_delay_alu instid0(VALU_DEP_1)
	v_add_nc_u64_e32 v[58:59], s[20:21], v[56:57]
	v_add_nc_u64_e32 v[56:57], s[16:17], v[56:57]
	global_store_b64 v[58:59], v[34:35], off
	s_wait_loadcnt 0x0
	global_store_b64 v[56:57], v[54:55], off
	s_wait_xcnt 0x0
	s_or_b32 exec_lo, exec_lo, s6
	s_and_saveexec_b32 s6, s39
	s_cbranch_execz .LBB193_29
.LBB193_40:                             ;   in Loop: Header=BB193_13 Depth=1
	v_dual_cndmask_b32 v55, v45, v53 :: v_dual_cndmask_b32 v54, v44, v52
	v_dual_mov_b32 v56, v50 :: v_dual_add_nc_u32 v57, 64, v51
	global_load_b64 v[54:55], v[54:55], off offset:512
	v_ashrrev_i64 v[56:57], 29, v[56:57]
	s_delay_alu instid0(VALU_DEP_1)
	v_add_nc_u64_e32 v[58:59], s[20:21], v[56:57]
	v_add_nc_u64_e32 v[56:57], s[16:17], v[56:57]
	global_store_b64 v[58:59], v[36:37], off
	s_wait_loadcnt 0x0
	global_store_b64 v[56:57], v[54:55], off
	s_wait_xcnt 0x0
	s_or_b32 exec_lo, exec_lo, s6
	s_and_saveexec_b32 s6, s40
	s_cbranch_execnz .LBB193_30
	s_branch .LBB193_31
.LBB193_41:                             ;   in Loop: Header=BB193_13 Depth=1
	v_add_nc_u64_e32 v[48:49], 0x300, v[48:49]
	s_delay_alu instid0(VALU_DEP_3) | instskip(NEXT) | instid1(VALU_DEP_1)
	v_dual_mov_b32 v54, v50 :: v_dual_add_nc_u32 v55, 0xffffffa0, v51
	v_ashrrev_i64 v[54:55], 29, v[54:55]
	s_delay_alu instid0(VALU_DEP_3)
	v_dual_cndmask_b32 v49, v49, v53 :: v_dual_cndmask_b32 v48, v48, v52
	global_load_b64 v[48:49], v[48:49], off
	v_add_nc_u64_e32 v[56:57], s[20:21], v[54:55]
	v_add_nc_u64_e32 v[54:55], s[16:17], v[54:55]
	global_store_b64 v[56:57], v[38:39], off
	s_wait_loadcnt 0x0
	global_store_b64 v[54:55], v[48:49], off
	s_wait_xcnt 0x0
	s_or_b32 exec_lo, exec_lo, s6
	s_and_saveexec_b32 s6, s42
	s_cbranch_execz .LBB193_33
.LBB193_42:                             ;   in Loop: Header=BB193_13 Depth=1
	s_delay_alu instid0(VALU_DEP_1) | instskip(SKIP_1) | instid1(VALU_DEP_1)
	v_add_nc_u64_e32 v[38:39], 0x100, v[52:53]
	v_add_nc_u64_e32 v[42:43], 0x300, v[42:43]
	v_dual_cndmask_b32 v39, v43, v39 :: v_dual_cndmask_b32 v38, v42, v38
	v_subrev_nc_u32_e32 v43, 64, v51
	v_mov_b32_e32 v42, v50
	global_load_b64 v[38:39], v[38:39], off
	v_ashrrev_i64 v[42:43], 29, v[42:43]
	s_delay_alu instid0(VALU_DEP_1)
	v_add_nc_u64_e32 v[48:49], s[20:21], v[42:43]
	v_add_nc_u64_e32 v[42:43], s[16:17], v[42:43]
	global_store_b64 v[48:49], v[34:35], off
	s_wait_loadcnt 0x0
	global_store_b64 v[42:43], v[38:39], off
	s_wait_xcnt 0x0
	s_or_b32 exec_lo, exec_lo, s6
	s_and_saveexec_b32 s6, s43
	s_cbranch_execz .LBB193_34
.LBB193_43:                             ;   in Loop: Header=BB193_13 Depth=1
	v_add_nc_u64_e32 v[34:35], 0x200, v[52:53]
	v_add_nc_u64_e32 v[38:39], 0x300, v[44:45]
	s_delay_alu instid0(VALU_DEP_1) | instskip(SKIP_4) | instid1(VALU_DEP_1)
	v_dual_cndmask_b32 v35, v39, v35 :: v_dual_cndmask_b32 v34, v38, v34
	v_subrev_nc_u32_e32 v39, 32, v51
	v_mov_b32_e32 v38, v50
	global_load_b64 v[34:35], v[34:35], off
	v_ashrrev_i64 v[38:39], 29, v[38:39]
	v_add_nc_u64_e32 v[42:43], s[20:21], v[38:39]
	v_add_nc_u64_e32 v[38:39], s[16:17], v[38:39]
	global_store_b64 v[42:43], v[36:37], off
	s_wait_loadcnt 0x0
	global_store_b64 v[38:39], v[34:35], off
	s_wait_xcnt 0x0
	s_or_b32 exec_lo, exec_lo, s6
	s_and_saveexec_b32 s6, s44
	s_cbranch_execz .LBB193_12
.LBB193_44:                             ;   in Loop: Header=BB193_13 Depth=1
	v_dual_cndmask_b32 v35, v47, v53 :: v_dual_cndmask_b32 v34, v46, v52
	v_ashrrev_i64 v[36:37], 29, v[50:51]
	global_load_b64 v[34:35], v[34:35], off offset:768
	v_add_nc_u64_e32 v[38:39], s[20:21], v[36:37]
	v_add_nc_u64_e32 v[36:37], s[16:17], v[36:37]
	global_store_b64 v[38:39], v[40:41], off
	s_wait_loadcnt 0x0
	global_store_b64 v[36:37], v[34:35], off
	s_branch .LBB193_12
.LBB193_45:
	s_endpgm
	.section	.rodata,"a",@progbits
	.p2align	6, 0x0
	.amdhsa_kernel _ZN9rocsparseL35bsr2csr_block_per_row_33_256_kernelILj1024ELj128ELj32E21rocsparse_complex_numIfEilEEv20rocsparse_direction_T4_S4_21rocsparse_index_base_PKT2_PKT3_PKS4_S4_S5_PS6_PS9_PS4_
		.amdhsa_group_segment_fixed_size 0
		.amdhsa_private_segment_fixed_size 0
		.amdhsa_kernarg_size 96
		.amdhsa_user_sgpr_count 2
		.amdhsa_user_sgpr_dispatch_ptr 0
		.amdhsa_user_sgpr_queue_ptr 0
		.amdhsa_user_sgpr_kernarg_segment_ptr 1
		.amdhsa_user_sgpr_dispatch_id 0
		.amdhsa_user_sgpr_kernarg_preload_length 0
		.amdhsa_user_sgpr_kernarg_preload_offset 0
		.amdhsa_user_sgpr_private_segment_size 0
		.amdhsa_wavefront_size32 1
		.amdhsa_uses_dynamic_stack 0
		.amdhsa_enable_private_segment 0
		.amdhsa_system_sgpr_workgroup_id_x 1
		.amdhsa_system_sgpr_workgroup_id_y 0
		.amdhsa_system_sgpr_workgroup_id_z 0
		.amdhsa_system_sgpr_workgroup_info 0
		.amdhsa_system_vgpr_workitem_id 0
		.amdhsa_next_free_vgpr 60
		.amdhsa_next_free_sgpr 45
		.amdhsa_named_barrier_count 0
		.amdhsa_reserve_vcc 1
		.amdhsa_float_round_mode_32 0
		.amdhsa_float_round_mode_16_64 0
		.amdhsa_float_denorm_mode_32 3
		.amdhsa_float_denorm_mode_16_64 3
		.amdhsa_fp16_overflow 0
		.amdhsa_memory_ordered 1
		.amdhsa_forward_progress 1
		.amdhsa_inst_pref_size 24
		.amdhsa_round_robin_scheduling 0
		.amdhsa_exception_fp_ieee_invalid_op 0
		.amdhsa_exception_fp_denorm_src 0
		.amdhsa_exception_fp_ieee_div_zero 0
		.amdhsa_exception_fp_ieee_overflow 0
		.amdhsa_exception_fp_ieee_underflow 0
		.amdhsa_exception_fp_ieee_inexact 0
		.amdhsa_exception_int_div_zero 0
	.end_amdhsa_kernel
	.section	.text._ZN9rocsparseL35bsr2csr_block_per_row_33_256_kernelILj1024ELj128ELj32E21rocsparse_complex_numIfEilEEv20rocsparse_direction_T4_S4_21rocsparse_index_base_PKT2_PKT3_PKS4_S4_S5_PS6_PS9_PS4_,"axG",@progbits,_ZN9rocsparseL35bsr2csr_block_per_row_33_256_kernelILj1024ELj128ELj32E21rocsparse_complex_numIfEilEEv20rocsparse_direction_T4_S4_21rocsparse_index_base_PKT2_PKT3_PKS4_S4_S5_PS6_PS9_PS4_,comdat
.Lfunc_end193:
	.size	_ZN9rocsparseL35bsr2csr_block_per_row_33_256_kernelILj1024ELj128ELj32E21rocsparse_complex_numIfEilEEv20rocsparse_direction_T4_S4_21rocsparse_index_base_PKT2_PKT3_PKS4_S4_S5_PS6_PS9_PS4_, .Lfunc_end193-_ZN9rocsparseL35bsr2csr_block_per_row_33_256_kernelILj1024ELj128ELj32E21rocsparse_complex_numIfEilEEv20rocsparse_direction_T4_S4_21rocsparse_index_base_PKT2_PKT3_PKS4_S4_S5_PS6_PS9_PS4_
                                        ; -- End function
	.set _ZN9rocsparseL35bsr2csr_block_per_row_33_256_kernelILj1024ELj128ELj32E21rocsparse_complex_numIfEilEEv20rocsparse_direction_T4_S4_21rocsparse_index_base_PKT2_PKT3_PKS4_S4_S5_PS6_PS9_PS4_.num_vgpr, 60
	.set _ZN9rocsparseL35bsr2csr_block_per_row_33_256_kernelILj1024ELj128ELj32E21rocsparse_complex_numIfEilEEv20rocsparse_direction_T4_S4_21rocsparse_index_base_PKT2_PKT3_PKS4_S4_S5_PS6_PS9_PS4_.num_agpr, 0
	.set _ZN9rocsparseL35bsr2csr_block_per_row_33_256_kernelILj1024ELj128ELj32E21rocsparse_complex_numIfEilEEv20rocsparse_direction_T4_S4_21rocsparse_index_base_PKT2_PKT3_PKS4_S4_S5_PS6_PS9_PS4_.numbered_sgpr, 45
	.set _ZN9rocsparseL35bsr2csr_block_per_row_33_256_kernelILj1024ELj128ELj32E21rocsparse_complex_numIfEilEEv20rocsparse_direction_T4_S4_21rocsparse_index_base_PKT2_PKT3_PKS4_S4_S5_PS6_PS9_PS4_.num_named_barrier, 0
	.set _ZN9rocsparseL35bsr2csr_block_per_row_33_256_kernelILj1024ELj128ELj32E21rocsparse_complex_numIfEilEEv20rocsparse_direction_T4_S4_21rocsparse_index_base_PKT2_PKT3_PKS4_S4_S5_PS6_PS9_PS4_.private_seg_size, 0
	.set _ZN9rocsparseL35bsr2csr_block_per_row_33_256_kernelILj1024ELj128ELj32E21rocsparse_complex_numIfEilEEv20rocsparse_direction_T4_S4_21rocsparse_index_base_PKT2_PKT3_PKS4_S4_S5_PS6_PS9_PS4_.uses_vcc, 1
	.set _ZN9rocsparseL35bsr2csr_block_per_row_33_256_kernelILj1024ELj128ELj32E21rocsparse_complex_numIfEilEEv20rocsparse_direction_T4_S4_21rocsparse_index_base_PKT2_PKT3_PKS4_S4_S5_PS6_PS9_PS4_.uses_flat_scratch, 0
	.set _ZN9rocsparseL35bsr2csr_block_per_row_33_256_kernelILj1024ELj128ELj32E21rocsparse_complex_numIfEilEEv20rocsparse_direction_T4_S4_21rocsparse_index_base_PKT2_PKT3_PKS4_S4_S5_PS6_PS9_PS4_.has_dyn_sized_stack, 0
	.set _ZN9rocsparseL35bsr2csr_block_per_row_33_256_kernelILj1024ELj128ELj32E21rocsparse_complex_numIfEilEEv20rocsparse_direction_T4_S4_21rocsparse_index_base_PKT2_PKT3_PKS4_S4_S5_PS6_PS9_PS4_.has_recursion, 0
	.set _ZN9rocsparseL35bsr2csr_block_per_row_33_256_kernelILj1024ELj128ELj32E21rocsparse_complex_numIfEilEEv20rocsparse_direction_T4_S4_21rocsparse_index_base_PKT2_PKT3_PKS4_S4_S5_PS6_PS9_PS4_.has_indirect_call, 0
	.section	.AMDGPU.csdata,"",@progbits
; Kernel info:
; codeLenInByte = 2956
; TotalNumSgprs: 47
; NumVgprs: 60
; ScratchSize: 0
; MemoryBound: 0
; FloatMode: 240
; IeeeMode: 1
; LDSByteSize: 0 bytes/workgroup (compile time only)
; SGPRBlocks: 0
; VGPRBlocks: 3
; NumSGPRsForWavesPerEU: 47
; NumVGPRsForWavesPerEU: 60
; NamedBarCnt: 0
; Occupancy: 16
; WaveLimiterHint : 1
; COMPUTE_PGM_RSRC2:SCRATCH_EN: 0
; COMPUTE_PGM_RSRC2:USER_SGPR: 2
; COMPUTE_PGM_RSRC2:TRAP_HANDLER: 0
; COMPUTE_PGM_RSRC2:TGID_X_EN: 1
; COMPUTE_PGM_RSRC2:TGID_Y_EN: 0
; COMPUTE_PGM_RSRC2:TGID_Z_EN: 0
; COMPUTE_PGM_RSRC2:TIDIG_COMP_CNT: 0
	.section	.text._ZN9rocsparseL35bsr2csr_block_per_row_33_256_kernelILj1024ELj256ELj32E21rocsparse_complex_numIfEilEEv20rocsparse_direction_T4_S4_21rocsparse_index_base_PKT2_PKT3_PKS4_S4_S5_PS6_PS9_PS4_,"axG",@progbits,_ZN9rocsparseL35bsr2csr_block_per_row_33_256_kernelILj1024ELj256ELj32E21rocsparse_complex_numIfEilEEv20rocsparse_direction_T4_S4_21rocsparse_index_base_PKT2_PKT3_PKS4_S4_S5_PS6_PS9_PS4_,comdat
	.globl	_ZN9rocsparseL35bsr2csr_block_per_row_33_256_kernelILj1024ELj256ELj32E21rocsparse_complex_numIfEilEEv20rocsparse_direction_T4_S4_21rocsparse_index_base_PKT2_PKT3_PKS4_S4_S5_PS6_PS9_PS4_ ; -- Begin function _ZN9rocsparseL35bsr2csr_block_per_row_33_256_kernelILj1024ELj256ELj32E21rocsparse_complex_numIfEilEEv20rocsparse_direction_T4_S4_21rocsparse_index_base_PKT2_PKT3_PKS4_S4_S5_PS6_PS9_PS4_
	.p2align	8
	.type	_ZN9rocsparseL35bsr2csr_block_per_row_33_256_kernelILj1024ELj256ELj32E21rocsparse_complex_numIfEilEEv20rocsparse_direction_T4_S4_21rocsparse_index_base_PKT2_PKT3_PKS4_S4_S5_PS6_PS9_PS4_,@function
_ZN9rocsparseL35bsr2csr_block_per_row_33_256_kernelILj1024ELj256ELj32E21rocsparse_complex_numIfEilEEv20rocsparse_direction_T4_S4_21rocsparse_index_base_PKT2_PKT3_PKS4_S4_S5_PS6_PS9_PS4_: ; @_ZN9rocsparseL35bsr2csr_block_per_row_33_256_kernelILj1024ELj256ELj32E21rocsparse_complex_numIfEilEEv20rocsparse_direction_T4_S4_21rocsparse_index_base_PKT2_PKT3_PKS4_S4_S5_PS6_PS9_PS4_
; %bb.0:
	s_load_b64 s[6:7], s[0:1], 0x28
	s_bfe_u32 s2, ttmp6, 0x4000c
	s_and_b32 s3, ttmp6, 15
	s_add_co_i32 s2, s2, 1
	s_getreg_b32 s4, hwreg(HW_REG_IB_STS2, 6, 4)
	s_mul_i32 s2, ttmp9, s2
	s_mov_b32 s17, 0
	s_add_co_i32 s3, s3, s2
	s_cmp_eq_u32 s4, 0
	s_clause 0x1
	s_load_b32 s18, s[0:1], 0x40
	s_load_b64 s[4:5], s[0:1], 0x50
	s_cselect_b32 s2, ttmp9, s3
	s_mov_b32 s3, s17
	v_or_b32_e32 v1, s2, v0
	s_lshl_b64 s[8:9], s[2:3], 2
	s_wait_kmcnt 0x0
	s_add_nc_u64 s[6:7], s[6:7], s[8:9]
	s_load_b64 s[10:11], s[6:7], 0x0
	s_wait_xcnt 0x0
	s_mov_b32 s6, exec_lo
	v_cmpx_eq_u32_e32 0, v1
	s_cbranch_execz .LBB194_2
; %bb.1:
	v_dual_mov_b32 v1, 0 :: v_dual_mov_b32 v2, s18
	global_store_b32 v1, v2, s[4:5]
.LBB194_2:
	s_wait_xcnt 0x0
	s_or_b32 exec_lo, exec_lo, s6
	s_clause 0x1
	s_load_b32 s20, s[0:1], 0x18
	s_load_b64 s[22:23], s[0:1], 0x38
	v_dual_mov_b32 v51, 0 :: v_dual_lshrrev_b32 v50, 5, v0
	s_mov_b32 s35, s17
	s_wait_kmcnt 0x0
	s_sub_co_i32 s16, s10, s20
	s_sub_co_i32 s33, s11, s20
	s_mul_u64 s[6:7], s[22:23], s[2:3]
	v_cmp_gt_i64_e64 s2, s[22:23], v[50:51]
	s_sub_co_i32 s34, s33, s16
	s_mul_u64 s[30:31], s[22:23], s[22:23]
	s_mul_u64 s[14:15], s[22:23], s[34:35]
	s_lshl_b64 s[6:7], s[6:7], 2
	s_mul_u64 s[12:13], s[30:31], s[16:17]
	s_add_co_i32 s13, s18, s14
	s_add_nc_u64 s[24:25], s[4:5], s[6:7]
	s_and_saveexec_b32 s3, s2
	s_cbranch_execz .LBB194_4
; %bb.3:
	s_add_co_i32 s4, s13, s12
	s_delay_alu instid0(SALU_CYCLE_1)
	v_mad_u32 v1, v50, s14, s4
	global_store_b32 v50, v1, s[24:25] offset:4 scale_offset
.LBB194_4:
	s_wait_xcnt 0x0
	s_or_b32 exec_lo, exec_lo, s3
	v_dual_mov_b32 v53, v51 :: v_dual_bitop2_b32 v52, 32, v50 bitop3:0x54
	s_delay_alu instid0(VALU_DEP_1)
	v_cmp_gt_i64_e64 s3, s[22:23], v[52:53]
	s_and_saveexec_b32 s4, s3
	s_cbranch_execz .LBB194_6
; %bb.5:
	s_add_co_i32 s5, s13, s12
	s_delay_alu instid0(SALU_CYCLE_1)
	v_mad_u32 v1, v52, s14, s5
	global_store_b32 v50, v1, s[24:25] offset:132 scale_offset
.LBB194_6:
	s_wait_xcnt 0x0
	s_or_b32 exec_lo, exec_lo, s4
	v_dual_mov_b32 v49, v51 :: v_dual_bitop2_b32 v48, 64, v50 bitop3:0x54
	s_delay_alu instid0(VALU_DEP_1)
	v_cmp_gt_i64_e64 s4, s[22:23], v[48:49]
	s_and_saveexec_b32 s5, s4
	s_cbranch_execz .LBB194_8
; %bb.7:
	s_add_co_i32 s6, s13, s12
	s_delay_alu instid0(SALU_CYCLE_1)
	v_mad_u32 v1, v48, s14, s6
	global_store_b32 v50, v1, s[24:25] offset:260 scale_offset
.LBB194_8:
	s_wait_xcnt 0x0
	s_or_b32 exec_lo, exec_lo, s5
	v_or_b32_e32 v54, 0x60, v50
	v_mov_b32_e32 v55, v51
	s_delay_alu instid0(VALU_DEP_1)
	v_cmp_gt_i64_e64 s5, s[22:23], v[54:55]
	s_and_saveexec_b32 s6, s5
	s_cbranch_execz .LBB194_10
; %bb.9:
	s_add_co_i32 s7, s13, s12
	s_delay_alu instid0(SALU_CYCLE_1)
	v_mad_u32 v1, v54, s14, s7
	global_store_b32 v50, v1, s[24:25] offset:388 scale_offset
.LBB194_10:
	s_wait_xcnt 0x0
	s_or_b32 exec_lo, exec_lo, s6
	v_or_b32_e32 v46, 0x80, v50
	v_mov_b32_e32 v47, v51
	;; [unrolled: 14-line block ×5, first 2 shown]
	s_delay_alu instid0(VALU_DEP_1)
	v_cmp_gt_i64_e64 s9, s[22:23], v[58:59]
	s_and_saveexec_b32 s15, s9
	s_cbranch_execz .LBB194_18
; %bb.17:
	s_add_co_i32 s13, s13, s12
	s_delay_alu instid0(SALU_CYCLE_1)
	v_mad_u32 v1, v58, s14, s13
	global_store_b32 v50, v1, s[24:25] offset:900 scale_offset
.LBB194_18:
	s_wait_xcnt 0x0
	s_or_b32 exec_lo, exec_lo, s15
	s_cmp_lt_i32 s10, s11
	s_cbranch_scc0 .LBB194_149
; %bb.19:
	s_clause 0x2
	s_load_b32 s10, s[0:1], 0x0
	s_load_b64 s[36:37], s[0:1], 0x30
	s_load_b64 s[28:29], s[0:1], 0x58
	v_dual_mov_b32 v1, 0 :: v_dual_lshlrev_b32 v32, 3, v50
	v_and_b32_e32 v0, 31, v0
	s_mul_i32 s94, s22, s16
	s_clause 0x1
	s_load_b64 s[24:25], s[0:1], 0x48
	s_load_b64 s[26:27], s[0:1], 0x20
	v_dual_mov_b32 v33, v1 :: v_dual_mov_b32 v19, v1
	v_lshlrev_b32_e32 v18, 3, v0
	v_mad_u32 v51, v58, s34, s94
	v_mad_u32 v53, v44, s34, s94
	;; [unrolled: 1-line block ×5, first 2 shown]
	v_or_b32_e32 v44, 0xc0, v0
	v_or_b32_e32 v46, 0xe0, v0
	v_mov_b32_e32 v47, v1
	s_wait_xcnt 0x0
	v_cmp_gt_i64_e64 s0, s[22:23], v[0:1]
	s_wait_kmcnt 0x0
	s_cmp_eq_u32 s10, 0
	v_mov_b32_e32 v49, v0
	s_cselect_b32 vcc_lo, -1, 0
	s_ashr_i32 s17, s16, 31
	v_mul_lo_u32 v51, s22, v51
	s_mul_u64 s[10:11], s[22:23], s[16:17]
	v_mul_lo_u32 v53, s22, v53
	s_lshl_b64 s[10:11], s[10:11], 3
	v_mul_lo_u32 v55, s22, v55
	v_add_nc_u64_e32 v[30:31], s[10:11], v[32:33]
	v_add_nc_u64_e32 v[34:35], s[10:11], v[18:19]
	v_mul_lo_u32 v57, s22, v56
	v_mul_lo_u32 v59, s22, v58
	v_dual_mov_b32 v56, v1 :: v_dual_mov_b32 v58, v1
	s_mov_b32 s21, 0
	v_mad_nc_u64_u32 v[2:3], s22, v30, v[18:19]
	v_add_nc_u64_e32 v[36:37], 0x700, v[30:31]
	v_add_nc_u64_e32 v[38:39], 0x600, v[30:31]
	;; [unrolled: 1-line block ×10, first 2 shown]
	v_mad_u32 v3, s23, v30, v3
	v_add_nc_u64_e32 v[72:73], 0x400, v[34:35]
	v_add_nc_u64_e32 v[74:75], 0x500, v[34:35]
	;; [unrolled: 1-line block ×4, first 2 shown]
	v_mad_nc_u64_u32 v[4:5], s22, v34, v[32:33]
	v_mad_nc_u64_u32 v[6:7], s22, v36, v[18:19]
	v_mad_nc_u64_u32 v[8:9], s22, v38, v[18:19]
	v_mad_nc_u64_u32 v[10:11], s22, v40, v[18:19]
	v_mad_nc_u64_u32 v[12:13], s22, v42, v[18:19]
	v_mad_nc_u64_u32 v[14:15], s22, v60, v[18:19]
	v_mad_nc_u64_u32 v[16:17], s22, v62, v[18:19]
	v_mad_nc_u64_u32 v[18:19], s22, v64, v[18:19]
	v_mad_nc_u64_u32 v[20:21], s22, v66, v[32:33]
	v_mad_nc_u64_u32 v[22:23], s22, v68, v[32:33]
	v_mad_nc_u64_u32 v[24:25], s22, v70, v[32:33]
	v_mad_nc_u64_u32 v[26:27], s22, v72, v[32:33]
	v_mad_nc_u64_u32 v[28:29], s22, v74, v[32:33]
	v_mad_u32 v3, s22, v31, v3
	v_mad_nc_u64_u32 v[30:31], s22, v76, v[32:33]
	v_mad_nc_u64_u32 v[32:33], s22, v78, v[32:33]
	v_mad_u32 v5, s23, v34, v5
	v_mad_u32 v7, s23, v36, v7
	;; [unrolled: 1-line block ×23, first 2 shown]
	v_dual_mov_b32 v35, v1 :: v_dual_bitop2_b32 v34, 32, v0 bitop3:0x54
	v_dual_mov_b32 v37, v1 :: v_dual_bitop2_b32 v36, 64, v0 bitop3:0x54
	v_or_b32_e32 v38, 0x60, v0
	v_dual_mov_b32 v39, v1 :: v_dual_mov_b32 v41, v1
	v_or_b32_e32 v40, 0x80, v0
	v_or_b32_e32 v42, 0xa0, v0
	v_dual_mov_b32 v43, v1 :: v_dual_mov_b32 v45, v1
	v_mad_u32 v15, s22, v61, v15
	v_mad_u32 v17, s22, v63, v17
	;; [unrolled: 1-line block ×8, first 2 shown]
	v_cmp_gt_i64_e64 s1, s[22:23], v[34:35]
	v_cmp_gt_i64_e64 s10, s[22:23], v[36:37]
	v_mad_u32 v31, s22, v77, v31
	v_mad_u32 v33, s22, v79, v33
	v_cmp_gt_i64_e64 s11, s[22:23], v[38:39]
	v_cmp_gt_i64_e64 s12, s[22:23], v[40:41]
	;; [unrolled: 1-line block ×4, first 2 shown]
	v_mov_b32_e32 v48, v1
	v_cmp_gt_i64_e64 s15, s[22:23], v[46:47]
	v_mul_lo_u32 v61, s22, v60
	v_mul_lo_u32 v63, s22, v62
	v_mul_lo_u32 v65, s22, v64
	v_dual_mov_b32 v50, v1 :: v_dual_mov_b32 v52, v1
	v_dual_mov_b32 v54, v1 :: v_dual_mov_b32 v60, v1
	;; [unrolled: 1-line block ×3, first 2 shown]
	s_and_b32 s35, s2, s0
	s_and_b32 s38, s2, s1
	;; [unrolled: 1-line block ×16, first 2 shown]
	s_lshl_b64 s[2:3], s[16:17], 3
	s_mov_b32 s19, s21
	s_and_b32 s53, s4, s0
	s_and_b32 s54, s4, s1
	s_and_b32 s55, s4, s10
	s_and_b32 s56, s4, s11
	s_and_b32 s57, s4, s12
	s_and_b32 s58, s4, s13
	s_and_b32 s59, s4, s14
	s_and_b32 s60, s4, s15
	s_and_b32 s61, s5, s0
	s_and_b32 s62, s5, s1
	s_and_b32 s63, s5, s10
	s_and_b32 s64, s5, s11
	s_and_b32 s65, s5, s12
	s_and_b32 s66, s5, s13
	s_and_b32 s67, s5, s14
	s_and_b32 s68, s5, s15
	s_and_b32 s69, s6, s0
	s_and_b32 s70, s6, s1
	s_and_b32 s71, s6, s10
	s_and_b32 s72, s6, s11
	s_and_b32 s73, s6, s12
	s_and_b32 s74, s6, s13
	s_and_b32 s75, s6, s14
	s_and_b32 s76, s6, s15
	s_and_b32 s77, s7, s0
	s_and_b32 s78, s7, s1
	s_and_b32 s79, s7, s10
	s_and_b32 s80, s7, s11
	s_and_b32 s81, s7, s12
	s_and_b32 s82, s7, s13
	s_and_b32 s83, s7, s14
	s_and_b32 s84, s7, s15
	s_and_b32 s85, s8, s0
	s_and_b32 s86, s8, s1
	s_and_b32 s87, s8, s10
	s_and_b32 s88, s8, s11
	s_and_b32 s89, s8, s12
	s_and_b32 s90, s8, s13
	s_and_b32 s91, s8, s14
	s_and_b32 s8, s8, s15
	s_and_b32 s92, s9, s0
	s_and_b32 s93, s9, s1
	s_and_b32 s10, s9, s10
	s_and_b32 s11, s9, s11
	s_and_b32 s12, s9, s12
	s_and_b32 s13, s9, s13
	s_and_b32 s14, s9, s14
	s_and_b32 s9, s9, s15
	s_mov_b32 s0, s21
	s_mov_b32 s1, s22
	s_add_nc_u64 s[2:3], s[36:37], s[2:3]
	s_lshl_b64 s[4:5], s[30:31], 3
	s_branch .LBB194_21
.LBB194_20:                             ;   in Loop: Header=BB194_21 Depth=1
	s_wait_xcnt 0x0
	s_or_b32 exec_lo, exec_lo, s6
	v_add_nc_u64_e32 v[50:51], s[0:1], v[50:51]
	v_add_nc_u64_e32 v[52:53], s[0:1], v[52:53]
	v_add_nc_u64_e32 v[54:55], s[0:1], v[54:55]
	v_add_nc_u64_e32 v[56:57], s[0:1], v[56:57]
	v_add_nc_u64_e32 v[58:59], s[0:1], v[58:59]
	v_add_nc_u64_e32 v[60:61], s[0:1], v[60:61]
	v_add_nc_u64_e32 v[62:63], s[0:1], v[62:63]
	v_add_nc_u64_e32 v[64:65], s[0:1], v[64:65]
	s_add_co_i32 s16, s16, 1
	s_add_nc_u64 s[2:3], s[2:3], 8
	s_cmp_ge_i32 s16, s33
	s_add_nc_u64 s[26:27], s[26:27], s[4:5]
	s_cbranch_scc1 .LBB194_149
.LBB194_21:                             ; =>This Inner Loop Header: Depth=1
	s_load_b64 s[6:7], s[2:3], 0x0
	v_add_nc_u64_e32 v[98:99], v[48:49], v[64:65]
	v_add_nc_u64_e32 v[100:101], s[26:27], v[2:3]
	;; [unrolled: 1-line block ×3, first 2 shown]
	s_wait_kmcnt 0x0
	s_sub_nc_u64 s[6:7], s[6:7], s[20:21]
	s_delay_alu instid0(SALU_CYCLE_1) | instskip(NEXT) | instid1(SALU_CYCLE_1)
	s_mul_u64 s[6:7], s[6:7], s[22:23]
	s_add_nc_u64 s[6:7], s[6:7], s[18:19]
	s_delay_alu instid0(SALU_CYCLE_1)
	v_add_nc_u64_e32 v[76:77], s[6:7], v[0:1]
	s_and_saveexec_b32 s15, s35
	s_cbranch_execz .LBB194_23
; %bb.22:                               ;   in Loop: Header=BB194_21 Depth=1
	v_dual_cndmask_b32 v67, v91, v101 :: v_dual_cndmask_b32 v66, v90, v100
	v_ashrrev_i64 v[68:69], 29, v[98:99]
	global_load_b64 v[66:67], v[66:67], off
	v_add_nc_u64_e32 v[70:71], s[28:29], v[68:69]
	v_add_nc_u64_e32 v[68:69], s[24:25], v[68:69]
	global_store_b64 v[70:71], v[76:77], off
	s_wait_loadcnt 0x0
	global_store_b64 v[68:69], v[66:67], off
.LBB194_23:                             ;   in Loop: Header=BB194_21 Depth=1
	s_wait_xcnt 0x0
	s_or_b32 exec_lo, exec_lo, s15
	v_add_nc_u64_e32 v[66:67], s[6:7], v[34:35]
	v_add_nc_u64_e32 v[82:83], s[26:27], v[20:21]
	s_and_saveexec_b32 s15, s38
	s_cbranch_execz .LBB194_25
; %bb.24:                               ;   in Loop: Header=BB194_21 Depth=1
	v_add_nc_u64_e32 v[68:69], 0x100, v[100:101]
	v_dual_mov_b32 v70, v98 :: v_dual_add_nc_u32 v71, 32, v99
	s_delay_alu instid0(VALU_DEP_1) | instskip(NEXT) | instid1(VALU_DEP_3)
	v_ashrrev_i64 v[70:71], 29, v[70:71]
	v_dual_cndmask_b32 v69, v83, v69 :: v_dual_cndmask_b32 v68, v82, v68
	global_load_b64 v[68:69], v[68:69], off
	v_add_nc_u64_e32 v[72:73], s[28:29], v[70:71]
	v_add_nc_u64_e32 v[70:71], s[24:25], v[70:71]
	global_store_b64 v[72:73], v[66:67], off
	s_wait_loadcnt 0x0
	global_store_b64 v[70:71], v[68:69], off
.LBB194_25:                             ;   in Loop: Header=BB194_21 Depth=1
	s_wait_xcnt 0x0
	s_or_b32 exec_lo, exec_lo, s15
	v_add_nc_u64_e32 v[68:69], s[6:7], v[36:37]
	v_add_nc_u64_e32 v[84:85], s[26:27], v[22:23]
	s_and_saveexec_b32 s15, s39
	s_cbranch_execz .LBB194_27
; %bb.26:                               ;   in Loop: Header=BB194_21 Depth=1
	v_add_nc_u64_e32 v[70:71], 0x200, v[100:101]
	v_dual_mov_b32 v72, v98 :: v_dual_add_nc_u32 v73, 64, v99
	s_delay_alu instid0(VALU_DEP_1) | instskip(NEXT) | instid1(VALU_DEP_3)
	v_ashrrev_i64 v[72:73], 29, v[72:73]
	v_dual_cndmask_b32 v71, v85, v71 :: v_dual_cndmask_b32 v70, v84, v70
	global_load_b64 v[70:71], v[70:71], off
	v_add_nc_u64_e32 v[74:75], s[28:29], v[72:73]
	v_add_nc_u64_e32 v[72:73], s[24:25], v[72:73]
	global_store_b64 v[74:75], v[68:69], off
	s_wait_loadcnt 0x0
	global_store_b64 v[72:73], v[70:71], off
.LBB194_27:                             ;   in Loop: Header=BB194_21 Depth=1
	;; [unrolled: 19-line block ×6, first 2 shown]
	s_wait_xcnt 0x0
	s_or_b32 exec_lo, exec_lo, s15
	v_add_nc_u64_e32 v[80:81], s[6:7], v[46:47]
	v_add_nc_u64_e32 v[96:97], s[26:27], v[32:33]
	s_and_saveexec_b32 s6, s44
	s_cbranch_execz .LBB194_37
; %bb.36:                               ;   in Loop: Header=BB194_21 Depth=1
	v_add_nc_u64_e32 v[100:101], 0x700, v[100:101]
	v_add_nc_u32_e32 v99, 0xe0, v99
	s_delay_alu instid0(VALU_DEP_1) | instskip(NEXT) | instid1(VALU_DEP_3)
	v_ashrrev_i64 v[98:99], 29, v[98:99]
	v_dual_cndmask_b32 v101, v97, v101 :: v_dual_cndmask_b32 v100, v96, v100
	global_load_b64 v[100:101], v[100:101], off
	v_add_nc_u64_e32 v[102:103], s[28:29], v[98:99]
	v_add_nc_u64_e32 v[98:99], s[24:25], v[98:99]
	global_store_b64 v[102:103], v[80:81], off
	s_wait_loadcnt 0x0
	global_store_b64 v[98:99], v[100:101], off
.LBB194_37:                             ;   in Loop: Header=BB194_21 Depth=1
	s_wait_xcnt 0x0
	s_or_b32 exec_lo, exec_lo, s6
	v_add_nc_u64_e32 v[98:99], v[48:49], v[62:63]
	v_add_nc_u64_e32 v[100:101], s[26:27], v[18:19]
	s_and_saveexec_b32 s6, s45
	s_cbranch_execnz .LBB194_99
; %bb.38:                               ;   in Loop: Header=BB194_21 Depth=1
	s_or_b32 exec_lo, exec_lo, s6
	s_and_saveexec_b32 s6, s46
	s_cbranch_execnz .LBB194_100
.LBB194_39:                             ;   in Loop: Header=BB194_21 Depth=1
	s_or_b32 exec_lo, exec_lo, s6
	s_and_saveexec_b32 s6, s47
	s_cbranch_execnz .LBB194_101
.LBB194_40:                             ;   in Loop: Header=BB194_21 Depth=1
	s_or_b32 exec_lo, exec_lo, s6
	s_and_saveexec_b32 s6, s48
	s_cbranch_execnz .LBB194_102
.LBB194_41:                             ;   in Loop: Header=BB194_21 Depth=1
	s_or_b32 exec_lo, exec_lo, s6
	s_and_saveexec_b32 s6, s49
	s_cbranch_execnz .LBB194_103
.LBB194_42:                             ;   in Loop: Header=BB194_21 Depth=1
	s_or_b32 exec_lo, exec_lo, s6
	s_and_saveexec_b32 s6, s50
	s_cbranch_execnz .LBB194_104
.LBB194_43:                             ;   in Loop: Header=BB194_21 Depth=1
	s_or_b32 exec_lo, exec_lo, s6
	s_and_saveexec_b32 s6, s51
	s_cbranch_execnz .LBB194_105
.LBB194_44:                             ;   in Loop: Header=BB194_21 Depth=1
	s_or_b32 exec_lo, exec_lo, s6
	s_and_saveexec_b32 s6, s52
	s_cbranch_execz .LBB194_46
.LBB194_45:                             ;   in Loop: Header=BB194_21 Depth=1
	v_add_nc_u64_e32 v[100:101], 0x700, v[100:101]
	v_add_nc_u64_e32 v[102:103], 0x100, v[96:97]
	v_add_nc_u32_e32 v99, 0xe0, v99
	s_delay_alu instid0(VALU_DEP_1) | instskip(NEXT) | instid1(VALU_DEP_3)
	v_ashrrev_i64 v[98:99], 29, v[98:99]
	v_dual_cndmask_b32 v101, v103, v101 :: v_dual_cndmask_b32 v100, v102, v100
	global_load_b64 v[100:101], v[100:101], off
	v_add_nc_u64_e32 v[102:103], s[28:29], v[98:99]
	v_add_nc_u64_e32 v[98:99], s[24:25], v[98:99]
	global_store_b64 v[102:103], v[80:81], off
	s_wait_loadcnt 0x0
	global_store_b64 v[98:99], v[100:101], off
.LBB194_46:                             ;   in Loop: Header=BB194_21 Depth=1
	s_wait_xcnt 0x0
	s_or_b32 exec_lo, exec_lo, s6
	v_add_nc_u64_e32 v[98:99], v[48:49], v[60:61]
	v_add_nc_u64_e32 v[100:101], s[26:27], v[16:17]
	s_and_saveexec_b32 s6, s53
	s_cbranch_execnz .LBB194_106
; %bb.47:                               ;   in Loop: Header=BB194_21 Depth=1
	s_or_b32 exec_lo, exec_lo, s6
	s_and_saveexec_b32 s6, s54
	s_cbranch_execnz .LBB194_107
.LBB194_48:                             ;   in Loop: Header=BB194_21 Depth=1
	s_or_b32 exec_lo, exec_lo, s6
	s_and_saveexec_b32 s6, s55
	s_cbranch_execnz .LBB194_108
.LBB194_49:                             ;   in Loop: Header=BB194_21 Depth=1
	s_or_b32 exec_lo, exec_lo, s6
	s_and_saveexec_b32 s6, s56
	s_cbranch_execnz .LBB194_109
.LBB194_50:                             ;   in Loop: Header=BB194_21 Depth=1
	s_or_b32 exec_lo, exec_lo, s6
	s_and_saveexec_b32 s6, s57
	s_cbranch_execnz .LBB194_110
.LBB194_51:                             ;   in Loop: Header=BB194_21 Depth=1
	s_or_b32 exec_lo, exec_lo, s6
	s_and_saveexec_b32 s6, s58
	s_cbranch_execnz .LBB194_111
.LBB194_52:                             ;   in Loop: Header=BB194_21 Depth=1
	s_or_b32 exec_lo, exec_lo, s6
	s_and_saveexec_b32 s6, s59
	s_cbranch_execnz .LBB194_112
.LBB194_53:                             ;   in Loop: Header=BB194_21 Depth=1
	s_or_b32 exec_lo, exec_lo, s6
	s_and_saveexec_b32 s6, s60
	s_cbranch_execz .LBB194_55
.LBB194_54:                             ;   in Loop: Header=BB194_21 Depth=1
	v_add_nc_u64_e32 v[100:101], 0x700, v[100:101]
	v_add_nc_u64_e32 v[102:103], 0x200, v[96:97]
	v_add_nc_u32_e32 v99, 0xe0, v99
	s_delay_alu instid0(VALU_DEP_1) | instskip(NEXT) | instid1(VALU_DEP_3)
	v_ashrrev_i64 v[98:99], 29, v[98:99]
	v_dual_cndmask_b32 v101, v103, v101 :: v_dual_cndmask_b32 v100, v102, v100
	global_load_b64 v[100:101], v[100:101], off
	v_add_nc_u64_e32 v[102:103], s[28:29], v[98:99]
	v_add_nc_u64_e32 v[98:99], s[24:25], v[98:99]
	global_store_b64 v[102:103], v[80:81], off
	s_wait_loadcnt 0x0
	global_store_b64 v[98:99], v[100:101], off
.LBB194_55:                             ;   in Loop: Header=BB194_21 Depth=1
	s_wait_xcnt 0x0
	s_or_b32 exec_lo, exec_lo, s6
	v_add_nc_u64_e32 v[98:99], v[48:49], v[58:59]
	v_add_nc_u64_e32 v[100:101], s[26:27], v[14:15]
	s_and_saveexec_b32 s6, s61
	s_cbranch_execnz .LBB194_113
; %bb.56:                               ;   in Loop: Header=BB194_21 Depth=1
	s_or_b32 exec_lo, exec_lo, s6
	s_and_saveexec_b32 s6, s62
	s_cbranch_execnz .LBB194_114
.LBB194_57:                             ;   in Loop: Header=BB194_21 Depth=1
	s_or_b32 exec_lo, exec_lo, s6
	s_and_saveexec_b32 s6, s63
	s_cbranch_execnz .LBB194_115
.LBB194_58:                             ;   in Loop: Header=BB194_21 Depth=1
	s_or_b32 exec_lo, exec_lo, s6
	s_and_saveexec_b32 s6, s64
	s_cbranch_execnz .LBB194_116
.LBB194_59:                             ;   in Loop: Header=BB194_21 Depth=1
	s_or_b32 exec_lo, exec_lo, s6
	s_and_saveexec_b32 s6, s65
	s_cbranch_execnz .LBB194_117
.LBB194_60:                             ;   in Loop: Header=BB194_21 Depth=1
	s_or_b32 exec_lo, exec_lo, s6
	s_and_saveexec_b32 s6, s66
	s_cbranch_execnz .LBB194_118
.LBB194_61:                             ;   in Loop: Header=BB194_21 Depth=1
	s_or_b32 exec_lo, exec_lo, s6
	s_and_saveexec_b32 s6, s67
	s_cbranch_execnz .LBB194_119
.LBB194_62:                             ;   in Loop: Header=BB194_21 Depth=1
	s_or_b32 exec_lo, exec_lo, s6
	s_and_saveexec_b32 s6, s68
	s_cbranch_execz .LBB194_64
.LBB194_63:                             ;   in Loop: Header=BB194_21 Depth=1
	v_add_nc_u64_e32 v[100:101], 0x700, v[100:101]
	v_add_nc_u64_e32 v[102:103], 0x300, v[96:97]
	v_add_nc_u32_e32 v99, 0xe0, v99
	s_delay_alu instid0(VALU_DEP_1) | instskip(NEXT) | instid1(VALU_DEP_3)
	v_ashrrev_i64 v[98:99], 29, v[98:99]
	v_dual_cndmask_b32 v101, v103, v101 :: v_dual_cndmask_b32 v100, v102, v100
	global_load_b64 v[100:101], v[100:101], off
	v_add_nc_u64_e32 v[102:103], s[28:29], v[98:99]
	v_add_nc_u64_e32 v[98:99], s[24:25], v[98:99]
	global_store_b64 v[102:103], v[80:81], off
	s_wait_loadcnt 0x0
	global_store_b64 v[98:99], v[100:101], off
.LBB194_64:                             ;   in Loop: Header=BB194_21 Depth=1
	s_wait_xcnt 0x0
	s_or_b32 exec_lo, exec_lo, s6
	v_add_nc_u64_e32 v[98:99], v[48:49], v[56:57]
	v_add_nc_u64_e32 v[100:101], s[26:27], v[12:13]
	s_and_saveexec_b32 s6, s69
	s_cbranch_execnz .LBB194_120
; %bb.65:                               ;   in Loop: Header=BB194_21 Depth=1
	s_or_b32 exec_lo, exec_lo, s6
	s_and_saveexec_b32 s6, s70
	s_cbranch_execnz .LBB194_121
.LBB194_66:                             ;   in Loop: Header=BB194_21 Depth=1
	s_or_b32 exec_lo, exec_lo, s6
	s_and_saveexec_b32 s6, s71
	s_cbranch_execnz .LBB194_122
.LBB194_67:                             ;   in Loop: Header=BB194_21 Depth=1
	s_or_b32 exec_lo, exec_lo, s6
	s_and_saveexec_b32 s6, s72
	s_cbranch_execnz .LBB194_123
.LBB194_68:                             ;   in Loop: Header=BB194_21 Depth=1
	s_or_b32 exec_lo, exec_lo, s6
	s_and_saveexec_b32 s6, s73
	s_cbranch_execnz .LBB194_124
.LBB194_69:                             ;   in Loop: Header=BB194_21 Depth=1
	s_or_b32 exec_lo, exec_lo, s6
	s_and_saveexec_b32 s6, s74
	s_cbranch_execnz .LBB194_125
.LBB194_70:                             ;   in Loop: Header=BB194_21 Depth=1
	s_or_b32 exec_lo, exec_lo, s6
	s_and_saveexec_b32 s6, s75
	s_cbranch_execnz .LBB194_126
.LBB194_71:                             ;   in Loop: Header=BB194_21 Depth=1
	s_or_b32 exec_lo, exec_lo, s6
	s_and_saveexec_b32 s6, s76
	s_cbranch_execz .LBB194_73
.LBB194_72:                             ;   in Loop: Header=BB194_21 Depth=1
	v_add_nc_u64_e32 v[100:101], 0x700, v[100:101]
	v_add_nc_u64_e32 v[102:103], 0x400, v[96:97]
	v_add_nc_u32_e32 v99, 0xe0, v99
	s_delay_alu instid0(VALU_DEP_1) | instskip(NEXT) | instid1(VALU_DEP_3)
	v_ashrrev_i64 v[98:99], 29, v[98:99]
	v_dual_cndmask_b32 v101, v103, v101 :: v_dual_cndmask_b32 v100, v102, v100
	global_load_b64 v[100:101], v[100:101], off
	v_add_nc_u64_e32 v[102:103], s[28:29], v[98:99]
	v_add_nc_u64_e32 v[98:99], s[24:25], v[98:99]
	global_store_b64 v[102:103], v[80:81], off
	s_wait_loadcnt 0x0
	global_store_b64 v[98:99], v[100:101], off
.LBB194_73:                             ;   in Loop: Header=BB194_21 Depth=1
	s_wait_xcnt 0x0
	s_or_b32 exec_lo, exec_lo, s6
	v_add_nc_u64_e32 v[98:99], v[48:49], v[54:55]
	v_add_nc_u64_e32 v[100:101], s[26:27], v[10:11]
	s_and_saveexec_b32 s6, s77
	s_cbranch_execnz .LBB194_127
; %bb.74:                               ;   in Loop: Header=BB194_21 Depth=1
	s_or_b32 exec_lo, exec_lo, s6
	s_and_saveexec_b32 s6, s78
	s_cbranch_execnz .LBB194_128
.LBB194_75:                             ;   in Loop: Header=BB194_21 Depth=1
	s_or_b32 exec_lo, exec_lo, s6
	s_and_saveexec_b32 s6, s79
	s_cbranch_execnz .LBB194_129
.LBB194_76:                             ;   in Loop: Header=BB194_21 Depth=1
	s_or_b32 exec_lo, exec_lo, s6
	s_and_saveexec_b32 s6, s80
	s_cbranch_execnz .LBB194_130
.LBB194_77:                             ;   in Loop: Header=BB194_21 Depth=1
	s_or_b32 exec_lo, exec_lo, s6
	s_and_saveexec_b32 s6, s81
	s_cbranch_execnz .LBB194_131
.LBB194_78:                             ;   in Loop: Header=BB194_21 Depth=1
	s_or_b32 exec_lo, exec_lo, s6
	s_and_saveexec_b32 s6, s82
	s_cbranch_execnz .LBB194_132
.LBB194_79:                             ;   in Loop: Header=BB194_21 Depth=1
	s_or_b32 exec_lo, exec_lo, s6
	s_and_saveexec_b32 s6, s83
	s_cbranch_execnz .LBB194_133
.LBB194_80:                             ;   in Loop: Header=BB194_21 Depth=1
	s_or_b32 exec_lo, exec_lo, s6
	s_and_saveexec_b32 s6, s84
	s_cbranch_execz .LBB194_82
.LBB194_81:                             ;   in Loop: Header=BB194_21 Depth=1
	v_add_nc_u64_e32 v[100:101], 0x700, v[100:101]
	v_add_nc_u64_e32 v[102:103], 0x500, v[96:97]
	v_add_nc_u32_e32 v99, 0xe0, v99
	s_delay_alu instid0(VALU_DEP_1) | instskip(NEXT) | instid1(VALU_DEP_3)
	v_ashrrev_i64 v[98:99], 29, v[98:99]
	v_dual_cndmask_b32 v101, v103, v101 :: v_dual_cndmask_b32 v100, v102, v100
	global_load_b64 v[100:101], v[100:101], off
	v_add_nc_u64_e32 v[102:103], s[28:29], v[98:99]
	v_add_nc_u64_e32 v[98:99], s[24:25], v[98:99]
	global_store_b64 v[102:103], v[80:81], off
	s_wait_loadcnt 0x0
	global_store_b64 v[98:99], v[100:101], off
.LBB194_82:                             ;   in Loop: Header=BB194_21 Depth=1
	s_wait_xcnt 0x0
	s_or_b32 exec_lo, exec_lo, s6
	v_add_nc_u64_e32 v[98:99], v[48:49], v[52:53]
	v_add_nc_u64_e32 v[100:101], s[26:27], v[8:9]
	s_and_saveexec_b32 s6, s85
	s_cbranch_execnz .LBB194_134
; %bb.83:                               ;   in Loop: Header=BB194_21 Depth=1
	s_or_b32 exec_lo, exec_lo, s6
	s_and_saveexec_b32 s6, s86
	s_cbranch_execnz .LBB194_135
.LBB194_84:                             ;   in Loop: Header=BB194_21 Depth=1
	s_or_b32 exec_lo, exec_lo, s6
	s_and_saveexec_b32 s6, s87
	s_cbranch_execnz .LBB194_136
.LBB194_85:                             ;   in Loop: Header=BB194_21 Depth=1
	s_or_b32 exec_lo, exec_lo, s6
	s_and_saveexec_b32 s6, s88
	s_cbranch_execnz .LBB194_137
.LBB194_86:                             ;   in Loop: Header=BB194_21 Depth=1
	s_or_b32 exec_lo, exec_lo, s6
	s_and_saveexec_b32 s6, s89
	s_cbranch_execnz .LBB194_138
.LBB194_87:                             ;   in Loop: Header=BB194_21 Depth=1
	s_or_b32 exec_lo, exec_lo, s6
	s_and_saveexec_b32 s6, s90
	s_cbranch_execnz .LBB194_139
.LBB194_88:                             ;   in Loop: Header=BB194_21 Depth=1
	s_or_b32 exec_lo, exec_lo, s6
	s_and_saveexec_b32 s6, s91
	s_cbranch_execnz .LBB194_140
.LBB194_89:                             ;   in Loop: Header=BB194_21 Depth=1
	s_or_b32 exec_lo, exec_lo, s6
	s_and_saveexec_b32 s6, s8
	s_cbranch_execz .LBB194_91
.LBB194_90:                             ;   in Loop: Header=BB194_21 Depth=1
	v_add_nc_u64_e32 v[100:101], 0x700, v[100:101]
	v_add_nc_u64_e32 v[102:103], 0x600, v[96:97]
	v_add_nc_u32_e32 v99, 0xe0, v99
	s_delay_alu instid0(VALU_DEP_1) | instskip(NEXT) | instid1(VALU_DEP_3)
	v_ashrrev_i64 v[98:99], 29, v[98:99]
	v_dual_cndmask_b32 v101, v103, v101 :: v_dual_cndmask_b32 v100, v102, v100
	global_load_b64 v[100:101], v[100:101], off
	v_add_nc_u64_e32 v[102:103], s[28:29], v[98:99]
	v_add_nc_u64_e32 v[98:99], s[24:25], v[98:99]
	global_store_b64 v[102:103], v[80:81], off
	s_wait_loadcnt 0x0
	global_store_b64 v[98:99], v[100:101], off
.LBB194_91:                             ;   in Loop: Header=BB194_21 Depth=1
	s_wait_xcnt 0x0
	s_or_b32 exec_lo, exec_lo, s6
	v_add_nc_u64_e32 v[98:99], v[48:49], v[50:51]
	v_add_nc_u64_e32 v[100:101], s[26:27], v[6:7]
	s_and_saveexec_b32 s6, s92
	s_cbranch_execnz .LBB194_141
; %bb.92:                               ;   in Loop: Header=BB194_21 Depth=1
	s_or_b32 exec_lo, exec_lo, s6
	s_and_saveexec_b32 s6, s93
	s_cbranch_execnz .LBB194_142
.LBB194_93:                             ;   in Loop: Header=BB194_21 Depth=1
	s_or_b32 exec_lo, exec_lo, s6
	s_and_saveexec_b32 s6, s10
	s_cbranch_execnz .LBB194_143
.LBB194_94:                             ;   in Loop: Header=BB194_21 Depth=1
	s_or_b32 exec_lo, exec_lo, s6
	s_and_saveexec_b32 s6, s11
	s_cbranch_execnz .LBB194_144
.LBB194_95:                             ;   in Loop: Header=BB194_21 Depth=1
	s_or_b32 exec_lo, exec_lo, s6
	s_and_saveexec_b32 s6, s12
	s_cbranch_execnz .LBB194_145
.LBB194_96:                             ;   in Loop: Header=BB194_21 Depth=1
	s_or_b32 exec_lo, exec_lo, s6
	s_and_saveexec_b32 s6, s13
	s_cbranch_execnz .LBB194_146
.LBB194_97:                             ;   in Loop: Header=BB194_21 Depth=1
	s_or_b32 exec_lo, exec_lo, s6
	s_and_saveexec_b32 s6, s14
	s_cbranch_execnz .LBB194_147
.LBB194_98:                             ;   in Loop: Header=BB194_21 Depth=1
	s_or_b32 exec_lo, exec_lo, s6
	s_and_saveexec_b32 s6, s9
	s_cbranch_execz .LBB194_20
	s_branch .LBB194_148
.LBB194_99:                             ;   in Loop: Header=BB194_21 Depth=1
	v_add_nc_u64_e32 v[102:103], 0x100, v[90:91]
	s_delay_alu instid0(VALU_DEP_3) | instskip(NEXT) | instid1(VALU_DEP_2)
	v_ashrrev_i64 v[104:105], 29, v[98:99]
	v_dual_cndmask_b32 v103, v103, v101 :: v_dual_cndmask_b32 v102, v102, v100
	s_delay_alu instid0(VALU_DEP_2)
	v_add_nc_u64_e32 v[106:107], s[28:29], v[104:105]
	v_add_nc_u64_e32 v[104:105], s[24:25], v[104:105]
	global_load_b64 v[102:103], v[102:103], off
	global_store_b64 v[106:107], v[76:77], off
	s_wait_loadcnt 0x0
	global_store_b64 v[104:105], v[102:103], off
	s_wait_xcnt 0x0
	s_or_b32 exec_lo, exec_lo, s6
	s_and_saveexec_b32 s6, s46
	s_cbranch_execz .LBB194_39
.LBB194_100:                            ;   in Loop: Header=BB194_21 Depth=1
	s_delay_alu instid0(VALU_DEP_1) | instskip(SKIP_3) | instid1(VALU_DEP_1)
	v_dual_cndmask_b32 v103, v83, v101 :: v_dual_cndmask_b32 v102, v82, v100
	v_dual_mov_b32 v104, v98 :: v_dual_add_nc_u32 v105, 32, v99
	global_load_b64 v[102:103], v[102:103], off offset:256
	v_ashrrev_i64 v[104:105], 29, v[104:105]
	v_add_nc_u64_e32 v[106:107], s[28:29], v[104:105]
	v_add_nc_u64_e32 v[104:105], s[24:25], v[104:105]
	global_store_b64 v[106:107], v[66:67], off
	s_wait_loadcnt 0x0
	global_store_b64 v[104:105], v[102:103], off
	s_wait_xcnt 0x0
	s_or_b32 exec_lo, exec_lo, s6
	s_and_saveexec_b32 s6, s47
	s_cbranch_execz .LBB194_40
.LBB194_101:                            ;   in Loop: Header=BB194_21 Depth=1
	v_add_nc_u64_e32 v[102:103], 0x200, v[100:101]
	v_add_nc_u64_e32 v[104:105], 0x100, v[84:85]
	s_delay_alu instid0(VALU_DEP_1) | instskip(SKIP_3) | instid1(VALU_DEP_1)
	v_dual_cndmask_b32 v103, v105, v103 :: v_dual_cndmask_b32 v102, v104, v102
	v_dual_mov_b32 v104, v98 :: v_dual_add_nc_u32 v105, 64, v99
	global_load_b64 v[102:103], v[102:103], off
	v_ashrrev_i64 v[104:105], 29, v[104:105]
	v_add_nc_u64_e32 v[106:107], s[28:29], v[104:105]
	v_add_nc_u64_e32 v[104:105], s[24:25], v[104:105]
	global_store_b64 v[106:107], v[68:69], off
	s_wait_loadcnt 0x0
	global_store_b64 v[104:105], v[102:103], off
	s_wait_xcnt 0x0
	s_or_b32 exec_lo, exec_lo, s6
	s_and_saveexec_b32 s6, s48
	s_cbranch_execz .LBB194_41
.LBB194_102:                            ;   in Loop: Header=BB194_21 Depth=1
	v_add_nc_u64_e32 v[102:103], 0x300, v[100:101]
	v_add_nc_u64_e32 v[104:105], 0x100, v[86:87]
	s_delay_alu instid0(VALU_DEP_1) | instskip(SKIP_3) | instid1(VALU_DEP_1)
	v_dual_cndmask_b32 v103, v105, v103 :: v_dual_cndmask_b32 v102, v104, v102
	v_dual_mov_b32 v104, v98 :: v_dual_add_nc_u32 v105, 0x60, v99
	global_load_b64 v[102:103], v[102:103], off
	v_ashrrev_i64 v[104:105], 29, v[104:105]
	v_add_nc_u64_e32 v[106:107], s[28:29], v[104:105]
	v_add_nc_u64_e32 v[104:105], s[24:25], v[104:105]
	global_store_b64 v[106:107], v[70:71], off
	s_wait_loadcnt 0x0
	global_store_b64 v[104:105], v[102:103], off
	s_wait_xcnt 0x0
	s_or_b32 exec_lo, exec_lo, s6
	s_and_saveexec_b32 s6, s49
	s_cbranch_execz .LBB194_42
.LBB194_103:                            ;   in Loop: Header=BB194_21 Depth=1
	v_add_nc_u64_e32 v[102:103], 0x400, v[100:101]
	v_add_nc_u64_e32 v[104:105], 0x100, v[88:89]
	s_delay_alu instid0(VALU_DEP_1) | instskip(SKIP_3) | instid1(VALU_DEP_1)
	v_dual_cndmask_b32 v103, v105, v103 :: v_dual_cndmask_b32 v102, v104, v102
	v_dual_mov_b32 v104, v98 :: v_dual_add_nc_u32 v105, 0x80, v99
	global_load_b64 v[102:103], v[102:103], off
	v_ashrrev_i64 v[104:105], 29, v[104:105]
	v_add_nc_u64_e32 v[106:107], s[28:29], v[104:105]
	v_add_nc_u64_e32 v[104:105], s[24:25], v[104:105]
	global_store_b64 v[106:107], v[72:73], off
	s_wait_loadcnt 0x0
	global_store_b64 v[104:105], v[102:103], off
	s_wait_xcnt 0x0
	s_or_b32 exec_lo, exec_lo, s6
	s_and_saveexec_b32 s6, s50
	s_cbranch_execz .LBB194_43
.LBB194_104:                            ;   in Loop: Header=BB194_21 Depth=1
	v_add_nc_u64_e32 v[102:103], 0x500, v[100:101]
	v_add_nc_u64_e32 v[104:105], 0x100, v[92:93]
	s_delay_alu instid0(VALU_DEP_1) | instskip(SKIP_3) | instid1(VALU_DEP_1)
	v_dual_cndmask_b32 v103, v105, v103 :: v_dual_cndmask_b32 v102, v104, v102
	v_dual_mov_b32 v104, v98 :: v_dual_add_nc_u32 v105, 0xa0, v99
	global_load_b64 v[102:103], v[102:103], off
	v_ashrrev_i64 v[104:105], 29, v[104:105]
	v_add_nc_u64_e32 v[106:107], s[28:29], v[104:105]
	v_add_nc_u64_e32 v[104:105], s[24:25], v[104:105]
	global_store_b64 v[106:107], v[74:75], off
	s_wait_loadcnt 0x0
	global_store_b64 v[104:105], v[102:103], off
	s_wait_xcnt 0x0
	s_or_b32 exec_lo, exec_lo, s6
	s_and_saveexec_b32 s6, s51
	s_cbranch_execz .LBB194_44
.LBB194_105:                            ;   in Loop: Header=BB194_21 Depth=1
	v_add_nc_u64_e32 v[102:103], 0x600, v[100:101]
	v_add_nc_u64_e32 v[104:105], 0x100, v[94:95]
	s_delay_alu instid0(VALU_DEP_1) | instskip(SKIP_3) | instid1(VALU_DEP_1)
	v_dual_cndmask_b32 v103, v105, v103 :: v_dual_cndmask_b32 v102, v104, v102
	v_dual_mov_b32 v104, v98 :: v_dual_add_nc_u32 v105, 0xc0, v99
	global_load_b64 v[102:103], v[102:103], off
	v_ashrrev_i64 v[104:105], 29, v[104:105]
	v_add_nc_u64_e32 v[106:107], s[28:29], v[104:105]
	v_add_nc_u64_e32 v[104:105], s[24:25], v[104:105]
	global_store_b64 v[106:107], v[78:79], off
	s_wait_loadcnt 0x0
	global_store_b64 v[104:105], v[102:103], off
	s_wait_xcnt 0x0
	s_or_b32 exec_lo, exec_lo, s6
	s_and_saveexec_b32 s6, s52
	s_cbranch_execnz .LBB194_45
	s_branch .LBB194_46
.LBB194_106:                            ;   in Loop: Header=BB194_21 Depth=1
	v_add_nc_u64_e32 v[102:103], 0x200, v[90:91]
	s_delay_alu instid0(VALU_DEP_3) | instskip(NEXT) | instid1(VALU_DEP_2)
	v_ashrrev_i64 v[104:105], 29, v[98:99]
	v_dual_cndmask_b32 v103, v103, v101 :: v_dual_cndmask_b32 v102, v102, v100
	s_delay_alu instid0(VALU_DEP_2)
	v_add_nc_u64_e32 v[106:107], s[28:29], v[104:105]
	v_add_nc_u64_e32 v[104:105], s[24:25], v[104:105]
	global_load_b64 v[102:103], v[102:103], off
	global_store_b64 v[106:107], v[76:77], off
	s_wait_loadcnt 0x0
	global_store_b64 v[104:105], v[102:103], off
	s_wait_xcnt 0x0
	s_or_b32 exec_lo, exec_lo, s6
	s_and_saveexec_b32 s6, s54
	s_cbranch_execz .LBB194_48
.LBB194_107:                            ;   in Loop: Header=BB194_21 Depth=1
	s_delay_alu instid0(VALU_DEP_1) | instskip(SKIP_1) | instid1(VALU_DEP_1)
	v_add_nc_u64_e32 v[102:103], 0x100, v[100:101]
	v_add_nc_u64_e32 v[104:105], 0x200, v[82:83]
	v_dual_cndmask_b32 v103, v105, v103 :: v_dual_cndmask_b32 v102, v104, v102
	v_dual_mov_b32 v104, v98 :: v_dual_add_nc_u32 v105, 32, v99
	global_load_b64 v[102:103], v[102:103], off
	v_ashrrev_i64 v[104:105], 29, v[104:105]
	s_delay_alu instid0(VALU_DEP_1)
	v_add_nc_u64_e32 v[106:107], s[28:29], v[104:105]
	v_add_nc_u64_e32 v[104:105], s[24:25], v[104:105]
	global_store_b64 v[106:107], v[66:67], off
	s_wait_loadcnt 0x0
	global_store_b64 v[104:105], v[102:103], off
	s_wait_xcnt 0x0
	s_or_b32 exec_lo, exec_lo, s6
	s_and_saveexec_b32 s6, s55
	s_cbranch_execz .LBB194_49
.LBB194_108:                            ;   in Loop: Header=BB194_21 Depth=1
	v_dual_cndmask_b32 v103, v85, v101 :: v_dual_cndmask_b32 v102, v84, v100
	v_dual_mov_b32 v104, v98 :: v_dual_add_nc_u32 v105, 64, v99
	global_load_b64 v[102:103], v[102:103], off offset:512
	v_ashrrev_i64 v[104:105], 29, v[104:105]
	s_delay_alu instid0(VALU_DEP_1)
	v_add_nc_u64_e32 v[106:107], s[28:29], v[104:105]
	v_add_nc_u64_e32 v[104:105], s[24:25], v[104:105]
	global_store_b64 v[106:107], v[68:69], off
	s_wait_loadcnt 0x0
	global_store_b64 v[104:105], v[102:103], off
	s_wait_xcnt 0x0
	s_or_b32 exec_lo, exec_lo, s6
	s_and_saveexec_b32 s6, s56
	s_cbranch_execz .LBB194_50
.LBB194_109:                            ;   in Loop: Header=BB194_21 Depth=1
	v_add_nc_u64_e32 v[102:103], 0x300, v[100:101]
	v_add_nc_u64_e32 v[104:105], 0x200, v[86:87]
	s_delay_alu instid0(VALU_DEP_1) | instskip(SKIP_3) | instid1(VALU_DEP_1)
	v_dual_cndmask_b32 v103, v105, v103 :: v_dual_cndmask_b32 v102, v104, v102
	v_dual_mov_b32 v104, v98 :: v_dual_add_nc_u32 v105, 0x60, v99
	global_load_b64 v[102:103], v[102:103], off
	v_ashrrev_i64 v[104:105], 29, v[104:105]
	v_add_nc_u64_e32 v[106:107], s[28:29], v[104:105]
	v_add_nc_u64_e32 v[104:105], s[24:25], v[104:105]
	global_store_b64 v[106:107], v[70:71], off
	s_wait_loadcnt 0x0
	global_store_b64 v[104:105], v[102:103], off
	s_wait_xcnt 0x0
	s_or_b32 exec_lo, exec_lo, s6
	s_and_saveexec_b32 s6, s57
	s_cbranch_execz .LBB194_51
.LBB194_110:                            ;   in Loop: Header=BB194_21 Depth=1
	v_add_nc_u64_e32 v[102:103], 0x400, v[100:101]
	v_add_nc_u64_e32 v[104:105], 0x200, v[88:89]
	s_delay_alu instid0(VALU_DEP_1) | instskip(SKIP_3) | instid1(VALU_DEP_1)
	v_dual_cndmask_b32 v103, v105, v103 :: v_dual_cndmask_b32 v102, v104, v102
	v_dual_mov_b32 v104, v98 :: v_dual_add_nc_u32 v105, 0x80, v99
	global_load_b64 v[102:103], v[102:103], off
	v_ashrrev_i64 v[104:105], 29, v[104:105]
	v_add_nc_u64_e32 v[106:107], s[28:29], v[104:105]
	v_add_nc_u64_e32 v[104:105], s[24:25], v[104:105]
	global_store_b64 v[106:107], v[72:73], off
	s_wait_loadcnt 0x0
	global_store_b64 v[104:105], v[102:103], off
	s_wait_xcnt 0x0
	s_or_b32 exec_lo, exec_lo, s6
	s_and_saveexec_b32 s6, s58
	s_cbranch_execz .LBB194_52
.LBB194_111:                            ;   in Loop: Header=BB194_21 Depth=1
	v_add_nc_u64_e32 v[102:103], 0x500, v[100:101]
	v_add_nc_u64_e32 v[104:105], 0x200, v[92:93]
	s_delay_alu instid0(VALU_DEP_1) | instskip(SKIP_3) | instid1(VALU_DEP_1)
	v_dual_cndmask_b32 v103, v105, v103 :: v_dual_cndmask_b32 v102, v104, v102
	v_dual_mov_b32 v104, v98 :: v_dual_add_nc_u32 v105, 0xa0, v99
	global_load_b64 v[102:103], v[102:103], off
	v_ashrrev_i64 v[104:105], 29, v[104:105]
	v_add_nc_u64_e32 v[106:107], s[28:29], v[104:105]
	v_add_nc_u64_e32 v[104:105], s[24:25], v[104:105]
	global_store_b64 v[106:107], v[74:75], off
	s_wait_loadcnt 0x0
	global_store_b64 v[104:105], v[102:103], off
	s_wait_xcnt 0x0
	s_or_b32 exec_lo, exec_lo, s6
	s_and_saveexec_b32 s6, s59
	s_cbranch_execz .LBB194_53
.LBB194_112:                            ;   in Loop: Header=BB194_21 Depth=1
	v_add_nc_u64_e32 v[102:103], 0x600, v[100:101]
	v_add_nc_u64_e32 v[104:105], 0x200, v[94:95]
	s_delay_alu instid0(VALU_DEP_1) | instskip(SKIP_3) | instid1(VALU_DEP_1)
	v_dual_cndmask_b32 v103, v105, v103 :: v_dual_cndmask_b32 v102, v104, v102
	v_dual_mov_b32 v104, v98 :: v_dual_add_nc_u32 v105, 0xc0, v99
	global_load_b64 v[102:103], v[102:103], off
	v_ashrrev_i64 v[104:105], 29, v[104:105]
	v_add_nc_u64_e32 v[106:107], s[28:29], v[104:105]
	v_add_nc_u64_e32 v[104:105], s[24:25], v[104:105]
	global_store_b64 v[106:107], v[78:79], off
	s_wait_loadcnt 0x0
	global_store_b64 v[104:105], v[102:103], off
	s_wait_xcnt 0x0
	s_or_b32 exec_lo, exec_lo, s6
	s_and_saveexec_b32 s6, s60
	s_cbranch_execnz .LBB194_54
	s_branch .LBB194_55
.LBB194_113:                            ;   in Loop: Header=BB194_21 Depth=1
	v_add_nc_u64_e32 v[102:103], 0x300, v[90:91]
	s_delay_alu instid0(VALU_DEP_3) | instskip(NEXT) | instid1(VALU_DEP_2)
	v_ashrrev_i64 v[104:105], 29, v[98:99]
	v_dual_cndmask_b32 v103, v103, v101 :: v_dual_cndmask_b32 v102, v102, v100
	s_delay_alu instid0(VALU_DEP_2)
	v_add_nc_u64_e32 v[106:107], s[28:29], v[104:105]
	v_add_nc_u64_e32 v[104:105], s[24:25], v[104:105]
	global_load_b64 v[102:103], v[102:103], off
	global_store_b64 v[106:107], v[76:77], off
	s_wait_loadcnt 0x0
	global_store_b64 v[104:105], v[102:103], off
	s_wait_xcnt 0x0
	s_or_b32 exec_lo, exec_lo, s6
	s_and_saveexec_b32 s6, s62
	s_cbranch_execz .LBB194_57
.LBB194_114:                            ;   in Loop: Header=BB194_21 Depth=1
	s_delay_alu instid0(VALU_DEP_1) | instskip(SKIP_1) | instid1(VALU_DEP_1)
	v_add_nc_u64_e32 v[102:103], 0x100, v[100:101]
	v_add_nc_u64_e32 v[104:105], 0x300, v[82:83]
	v_dual_cndmask_b32 v103, v105, v103 :: v_dual_cndmask_b32 v102, v104, v102
	v_dual_mov_b32 v104, v98 :: v_dual_add_nc_u32 v105, 32, v99
	global_load_b64 v[102:103], v[102:103], off
	v_ashrrev_i64 v[104:105], 29, v[104:105]
	s_delay_alu instid0(VALU_DEP_1)
	v_add_nc_u64_e32 v[106:107], s[28:29], v[104:105]
	v_add_nc_u64_e32 v[104:105], s[24:25], v[104:105]
	global_store_b64 v[106:107], v[66:67], off
	s_wait_loadcnt 0x0
	global_store_b64 v[104:105], v[102:103], off
	s_wait_xcnt 0x0
	s_or_b32 exec_lo, exec_lo, s6
	s_and_saveexec_b32 s6, s63
	s_cbranch_execz .LBB194_58
.LBB194_115:                            ;   in Loop: Header=BB194_21 Depth=1
	v_add_nc_u64_e32 v[102:103], 0x200, v[100:101]
	v_add_nc_u64_e32 v[104:105], 0x300, v[84:85]
	s_delay_alu instid0(VALU_DEP_1) | instskip(SKIP_3) | instid1(VALU_DEP_1)
	v_dual_cndmask_b32 v103, v105, v103 :: v_dual_cndmask_b32 v102, v104, v102
	v_dual_mov_b32 v104, v98 :: v_dual_add_nc_u32 v105, 64, v99
	global_load_b64 v[102:103], v[102:103], off
	v_ashrrev_i64 v[104:105], 29, v[104:105]
	v_add_nc_u64_e32 v[106:107], s[28:29], v[104:105]
	v_add_nc_u64_e32 v[104:105], s[24:25], v[104:105]
	global_store_b64 v[106:107], v[68:69], off
	s_wait_loadcnt 0x0
	global_store_b64 v[104:105], v[102:103], off
	s_wait_xcnt 0x0
	s_or_b32 exec_lo, exec_lo, s6
	s_and_saveexec_b32 s6, s64
	s_cbranch_execz .LBB194_59
.LBB194_116:                            ;   in Loop: Header=BB194_21 Depth=1
	v_dual_cndmask_b32 v103, v87, v101 :: v_dual_cndmask_b32 v102, v86, v100
	v_dual_mov_b32 v104, v98 :: v_dual_add_nc_u32 v105, 0x60, v99
	global_load_b64 v[102:103], v[102:103], off offset:768
	v_ashrrev_i64 v[104:105], 29, v[104:105]
	s_delay_alu instid0(VALU_DEP_1)
	v_add_nc_u64_e32 v[106:107], s[28:29], v[104:105]
	v_add_nc_u64_e32 v[104:105], s[24:25], v[104:105]
	global_store_b64 v[106:107], v[70:71], off
	s_wait_loadcnt 0x0
	global_store_b64 v[104:105], v[102:103], off
	s_wait_xcnt 0x0
	s_or_b32 exec_lo, exec_lo, s6
	s_and_saveexec_b32 s6, s65
	s_cbranch_execz .LBB194_60
.LBB194_117:                            ;   in Loop: Header=BB194_21 Depth=1
	v_add_nc_u64_e32 v[102:103], 0x400, v[100:101]
	v_add_nc_u64_e32 v[104:105], 0x300, v[88:89]
	s_delay_alu instid0(VALU_DEP_1) | instskip(SKIP_3) | instid1(VALU_DEP_1)
	v_dual_cndmask_b32 v103, v105, v103 :: v_dual_cndmask_b32 v102, v104, v102
	v_dual_mov_b32 v104, v98 :: v_dual_add_nc_u32 v105, 0x80, v99
	global_load_b64 v[102:103], v[102:103], off
	v_ashrrev_i64 v[104:105], 29, v[104:105]
	v_add_nc_u64_e32 v[106:107], s[28:29], v[104:105]
	v_add_nc_u64_e32 v[104:105], s[24:25], v[104:105]
	global_store_b64 v[106:107], v[72:73], off
	s_wait_loadcnt 0x0
	global_store_b64 v[104:105], v[102:103], off
	s_wait_xcnt 0x0
	s_or_b32 exec_lo, exec_lo, s6
	s_and_saveexec_b32 s6, s66
	s_cbranch_execz .LBB194_61
.LBB194_118:                            ;   in Loop: Header=BB194_21 Depth=1
	v_add_nc_u64_e32 v[102:103], 0x500, v[100:101]
	v_add_nc_u64_e32 v[104:105], 0x300, v[92:93]
	s_delay_alu instid0(VALU_DEP_1) | instskip(SKIP_3) | instid1(VALU_DEP_1)
	v_dual_cndmask_b32 v103, v105, v103 :: v_dual_cndmask_b32 v102, v104, v102
	v_dual_mov_b32 v104, v98 :: v_dual_add_nc_u32 v105, 0xa0, v99
	global_load_b64 v[102:103], v[102:103], off
	v_ashrrev_i64 v[104:105], 29, v[104:105]
	v_add_nc_u64_e32 v[106:107], s[28:29], v[104:105]
	v_add_nc_u64_e32 v[104:105], s[24:25], v[104:105]
	global_store_b64 v[106:107], v[74:75], off
	s_wait_loadcnt 0x0
	global_store_b64 v[104:105], v[102:103], off
	s_wait_xcnt 0x0
	s_or_b32 exec_lo, exec_lo, s6
	s_and_saveexec_b32 s6, s67
	s_cbranch_execz .LBB194_62
.LBB194_119:                            ;   in Loop: Header=BB194_21 Depth=1
	v_add_nc_u64_e32 v[102:103], 0x600, v[100:101]
	v_add_nc_u64_e32 v[104:105], 0x300, v[94:95]
	s_delay_alu instid0(VALU_DEP_1) | instskip(SKIP_3) | instid1(VALU_DEP_1)
	v_dual_cndmask_b32 v103, v105, v103 :: v_dual_cndmask_b32 v102, v104, v102
	v_dual_mov_b32 v104, v98 :: v_dual_add_nc_u32 v105, 0xc0, v99
	global_load_b64 v[102:103], v[102:103], off
	v_ashrrev_i64 v[104:105], 29, v[104:105]
	v_add_nc_u64_e32 v[106:107], s[28:29], v[104:105]
	v_add_nc_u64_e32 v[104:105], s[24:25], v[104:105]
	global_store_b64 v[106:107], v[78:79], off
	s_wait_loadcnt 0x0
	global_store_b64 v[104:105], v[102:103], off
	s_wait_xcnt 0x0
	s_or_b32 exec_lo, exec_lo, s6
	s_and_saveexec_b32 s6, s68
	s_cbranch_execnz .LBB194_63
	s_branch .LBB194_64
.LBB194_120:                            ;   in Loop: Header=BB194_21 Depth=1
	v_add_nc_u64_e32 v[102:103], 0x400, v[90:91]
	s_delay_alu instid0(VALU_DEP_3) | instskip(NEXT) | instid1(VALU_DEP_2)
	v_ashrrev_i64 v[104:105], 29, v[98:99]
	v_dual_cndmask_b32 v103, v103, v101 :: v_dual_cndmask_b32 v102, v102, v100
	s_delay_alu instid0(VALU_DEP_2)
	v_add_nc_u64_e32 v[106:107], s[28:29], v[104:105]
	v_add_nc_u64_e32 v[104:105], s[24:25], v[104:105]
	global_load_b64 v[102:103], v[102:103], off
	global_store_b64 v[106:107], v[76:77], off
	s_wait_loadcnt 0x0
	global_store_b64 v[104:105], v[102:103], off
	s_wait_xcnt 0x0
	s_or_b32 exec_lo, exec_lo, s6
	s_and_saveexec_b32 s6, s70
	s_cbranch_execz .LBB194_66
.LBB194_121:                            ;   in Loop: Header=BB194_21 Depth=1
	s_delay_alu instid0(VALU_DEP_1) | instskip(SKIP_1) | instid1(VALU_DEP_1)
	v_add_nc_u64_e32 v[102:103], 0x100, v[100:101]
	v_add_nc_u64_e32 v[104:105], 0x400, v[82:83]
	v_dual_cndmask_b32 v103, v105, v103 :: v_dual_cndmask_b32 v102, v104, v102
	v_dual_mov_b32 v104, v98 :: v_dual_add_nc_u32 v105, 32, v99
	global_load_b64 v[102:103], v[102:103], off
	v_ashrrev_i64 v[104:105], 29, v[104:105]
	s_delay_alu instid0(VALU_DEP_1)
	v_add_nc_u64_e32 v[106:107], s[28:29], v[104:105]
	v_add_nc_u64_e32 v[104:105], s[24:25], v[104:105]
	global_store_b64 v[106:107], v[66:67], off
	s_wait_loadcnt 0x0
	global_store_b64 v[104:105], v[102:103], off
	s_wait_xcnt 0x0
	s_or_b32 exec_lo, exec_lo, s6
	s_and_saveexec_b32 s6, s71
	s_cbranch_execz .LBB194_67
.LBB194_122:                            ;   in Loop: Header=BB194_21 Depth=1
	v_add_nc_u64_e32 v[102:103], 0x200, v[100:101]
	v_add_nc_u64_e32 v[104:105], 0x400, v[84:85]
	s_delay_alu instid0(VALU_DEP_1) | instskip(SKIP_3) | instid1(VALU_DEP_1)
	v_dual_cndmask_b32 v103, v105, v103 :: v_dual_cndmask_b32 v102, v104, v102
	v_dual_mov_b32 v104, v98 :: v_dual_add_nc_u32 v105, 64, v99
	global_load_b64 v[102:103], v[102:103], off
	v_ashrrev_i64 v[104:105], 29, v[104:105]
	v_add_nc_u64_e32 v[106:107], s[28:29], v[104:105]
	v_add_nc_u64_e32 v[104:105], s[24:25], v[104:105]
	global_store_b64 v[106:107], v[68:69], off
	s_wait_loadcnt 0x0
	global_store_b64 v[104:105], v[102:103], off
	s_wait_xcnt 0x0
	s_or_b32 exec_lo, exec_lo, s6
	s_and_saveexec_b32 s6, s72
	s_cbranch_execz .LBB194_68
.LBB194_123:                            ;   in Loop: Header=BB194_21 Depth=1
	v_add_nc_u64_e32 v[102:103], 0x300, v[100:101]
	v_add_nc_u64_e32 v[104:105], 0x400, v[86:87]
	s_delay_alu instid0(VALU_DEP_1) | instskip(SKIP_3) | instid1(VALU_DEP_1)
	v_dual_cndmask_b32 v103, v105, v103 :: v_dual_cndmask_b32 v102, v104, v102
	v_dual_mov_b32 v104, v98 :: v_dual_add_nc_u32 v105, 0x60, v99
	global_load_b64 v[102:103], v[102:103], off
	v_ashrrev_i64 v[104:105], 29, v[104:105]
	v_add_nc_u64_e32 v[106:107], s[28:29], v[104:105]
	v_add_nc_u64_e32 v[104:105], s[24:25], v[104:105]
	global_store_b64 v[106:107], v[70:71], off
	s_wait_loadcnt 0x0
	global_store_b64 v[104:105], v[102:103], off
	s_wait_xcnt 0x0
	s_or_b32 exec_lo, exec_lo, s6
	s_and_saveexec_b32 s6, s73
	s_cbranch_execz .LBB194_69
.LBB194_124:                            ;   in Loop: Header=BB194_21 Depth=1
	v_dual_cndmask_b32 v103, v89, v101 :: v_dual_cndmask_b32 v102, v88, v100
	v_dual_mov_b32 v104, v98 :: v_dual_add_nc_u32 v105, 0x80, v99
	global_load_b64 v[102:103], v[102:103], off offset:1024
	v_ashrrev_i64 v[104:105], 29, v[104:105]
	s_delay_alu instid0(VALU_DEP_1)
	v_add_nc_u64_e32 v[106:107], s[28:29], v[104:105]
	v_add_nc_u64_e32 v[104:105], s[24:25], v[104:105]
	global_store_b64 v[106:107], v[72:73], off
	s_wait_loadcnt 0x0
	global_store_b64 v[104:105], v[102:103], off
	s_wait_xcnt 0x0
	s_or_b32 exec_lo, exec_lo, s6
	s_and_saveexec_b32 s6, s74
	s_cbranch_execz .LBB194_70
.LBB194_125:                            ;   in Loop: Header=BB194_21 Depth=1
	v_add_nc_u64_e32 v[102:103], 0x500, v[100:101]
	v_add_nc_u64_e32 v[104:105], 0x400, v[92:93]
	s_delay_alu instid0(VALU_DEP_1) | instskip(SKIP_3) | instid1(VALU_DEP_1)
	v_dual_cndmask_b32 v103, v105, v103 :: v_dual_cndmask_b32 v102, v104, v102
	v_dual_mov_b32 v104, v98 :: v_dual_add_nc_u32 v105, 0xa0, v99
	global_load_b64 v[102:103], v[102:103], off
	v_ashrrev_i64 v[104:105], 29, v[104:105]
	v_add_nc_u64_e32 v[106:107], s[28:29], v[104:105]
	v_add_nc_u64_e32 v[104:105], s[24:25], v[104:105]
	global_store_b64 v[106:107], v[74:75], off
	s_wait_loadcnt 0x0
	global_store_b64 v[104:105], v[102:103], off
	s_wait_xcnt 0x0
	s_or_b32 exec_lo, exec_lo, s6
	s_and_saveexec_b32 s6, s75
	s_cbranch_execz .LBB194_71
.LBB194_126:                            ;   in Loop: Header=BB194_21 Depth=1
	v_add_nc_u64_e32 v[102:103], 0x600, v[100:101]
	v_add_nc_u64_e32 v[104:105], 0x400, v[94:95]
	s_delay_alu instid0(VALU_DEP_1) | instskip(SKIP_3) | instid1(VALU_DEP_1)
	v_dual_cndmask_b32 v103, v105, v103 :: v_dual_cndmask_b32 v102, v104, v102
	v_dual_mov_b32 v104, v98 :: v_dual_add_nc_u32 v105, 0xc0, v99
	global_load_b64 v[102:103], v[102:103], off
	v_ashrrev_i64 v[104:105], 29, v[104:105]
	v_add_nc_u64_e32 v[106:107], s[28:29], v[104:105]
	v_add_nc_u64_e32 v[104:105], s[24:25], v[104:105]
	global_store_b64 v[106:107], v[78:79], off
	s_wait_loadcnt 0x0
	global_store_b64 v[104:105], v[102:103], off
	s_wait_xcnt 0x0
	s_or_b32 exec_lo, exec_lo, s6
	s_and_saveexec_b32 s6, s76
	s_cbranch_execnz .LBB194_72
	s_branch .LBB194_73
.LBB194_127:                            ;   in Loop: Header=BB194_21 Depth=1
	v_add_nc_u64_e32 v[102:103], 0x500, v[90:91]
	s_delay_alu instid0(VALU_DEP_3) | instskip(NEXT) | instid1(VALU_DEP_2)
	v_ashrrev_i64 v[104:105], 29, v[98:99]
	v_dual_cndmask_b32 v103, v103, v101 :: v_dual_cndmask_b32 v102, v102, v100
	s_delay_alu instid0(VALU_DEP_2)
	v_add_nc_u64_e32 v[106:107], s[28:29], v[104:105]
	v_add_nc_u64_e32 v[104:105], s[24:25], v[104:105]
	global_load_b64 v[102:103], v[102:103], off
	global_store_b64 v[106:107], v[76:77], off
	s_wait_loadcnt 0x0
	global_store_b64 v[104:105], v[102:103], off
	s_wait_xcnt 0x0
	s_or_b32 exec_lo, exec_lo, s6
	s_and_saveexec_b32 s6, s78
	s_cbranch_execz .LBB194_75
.LBB194_128:                            ;   in Loop: Header=BB194_21 Depth=1
	s_delay_alu instid0(VALU_DEP_1) | instskip(SKIP_1) | instid1(VALU_DEP_1)
	v_add_nc_u64_e32 v[102:103], 0x100, v[100:101]
	v_add_nc_u64_e32 v[104:105], 0x500, v[82:83]
	v_dual_cndmask_b32 v103, v105, v103 :: v_dual_cndmask_b32 v102, v104, v102
	v_dual_mov_b32 v104, v98 :: v_dual_add_nc_u32 v105, 32, v99
	global_load_b64 v[102:103], v[102:103], off
	v_ashrrev_i64 v[104:105], 29, v[104:105]
	s_delay_alu instid0(VALU_DEP_1)
	v_add_nc_u64_e32 v[106:107], s[28:29], v[104:105]
	v_add_nc_u64_e32 v[104:105], s[24:25], v[104:105]
	global_store_b64 v[106:107], v[66:67], off
	s_wait_loadcnt 0x0
	global_store_b64 v[104:105], v[102:103], off
	s_wait_xcnt 0x0
	s_or_b32 exec_lo, exec_lo, s6
	s_and_saveexec_b32 s6, s79
	s_cbranch_execz .LBB194_76
.LBB194_129:                            ;   in Loop: Header=BB194_21 Depth=1
	v_add_nc_u64_e32 v[102:103], 0x200, v[100:101]
	v_add_nc_u64_e32 v[104:105], 0x500, v[84:85]
	s_delay_alu instid0(VALU_DEP_1) | instskip(SKIP_3) | instid1(VALU_DEP_1)
	v_dual_cndmask_b32 v103, v105, v103 :: v_dual_cndmask_b32 v102, v104, v102
	v_dual_mov_b32 v104, v98 :: v_dual_add_nc_u32 v105, 64, v99
	global_load_b64 v[102:103], v[102:103], off
	v_ashrrev_i64 v[104:105], 29, v[104:105]
	v_add_nc_u64_e32 v[106:107], s[28:29], v[104:105]
	v_add_nc_u64_e32 v[104:105], s[24:25], v[104:105]
	global_store_b64 v[106:107], v[68:69], off
	s_wait_loadcnt 0x0
	global_store_b64 v[104:105], v[102:103], off
	s_wait_xcnt 0x0
	s_or_b32 exec_lo, exec_lo, s6
	s_and_saveexec_b32 s6, s80
	s_cbranch_execz .LBB194_77
.LBB194_130:                            ;   in Loop: Header=BB194_21 Depth=1
	v_add_nc_u64_e32 v[102:103], 0x300, v[100:101]
	v_add_nc_u64_e32 v[104:105], 0x500, v[86:87]
	s_delay_alu instid0(VALU_DEP_1) | instskip(SKIP_3) | instid1(VALU_DEP_1)
	v_dual_cndmask_b32 v103, v105, v103 :: v_dual_cndmask_b32 v102, v104, v102
	v_dual_mov_b32 v104, v98 :: v_dual_add_nc_u32 v105, 0x60, v99
	global_load_b64 v[102:103], v[102:103], off
	v_ashrrev_i64 v[104:105], 29, v[104:105]
	v_add_nc_u64_e32 v[106:107], s[28:29], v[104:105]
	v_add_nc_u64_e32 v[104:105], s[24:25], v[104:105]
	global_store_b64 v[106:107], v[70:71], off
	s_wait_loadcnt 0x0
	global_store_b64 v[104:105], v[102:103], off
	s_wait_xcnt 0x0
	s_or_b32 exec_lo, exec_lo, s6
	s_and_saveexec_b32 s6, s81
	s_cbranch_execz .LBB194_78
.LBB194_131:                            ;   in Loop: Header=BB194_21 Depth=1
	v_add_nc_u64_e32 v[102:103], 0x400, v[100:101]
	v_add_nc_u64_e32 v[104:105], 0x500, v[88:89]
	s_delay_alu instid0(VALU_DEP_1) | instskip(SKIP_3) | instid1(VALU_DEP_1)
	v_dual_cndmask_b32 v103, v105, v103 :: v_dual_cndmask_b32 v102, v104, v102
	v_dual_mov_b32 v104, v98 :: v_dual_add_nc_u32 v105, 0x80, v99
	global_load_b64 v[102:103], v[102:103], off
	v_ashrrev_i64 v[104:105], 29, v[104:105]
	v_add_nc_u64_e32 v[106:107], s[28:29], v[104:105]
	v_add_nc_u64_e32 v[104:105], s[24:25], v[104:105]
	global_store_b64 v[106:107], v[72:73], off
	s_wait_loadcnt 0x0
	global_store_b64 v[104:105], v[102:103], off
	s_wait_xcnt 0x0
	s_or_b32 exec_lo, exec_lo, s6
	s_and_saveexec_b32 s6, s82
	s_cbranch_execz .LBB194_79
.LBB194_132:                            ;   in Loop: Header=BB194_21 Depth=1
	v_dual_cndmask_b32 v103, v93, v101 :: v_dual_cndmask_b32 v102, v92, v100
	v_dual_mov_b32 v104, v98 :: v_dual_add_nc_u32 v105, 0xa0, v99
	global_load_b64 v[102:103], v[102:103], off offset:1280
	v_ashrrev_i64 v[104:105], 29, v[104:105]
	s_delay_alu instid0(VALU_DEP_1)
	v_add_nc_u64_e32 v[106:107], s[28:29], v[104:105]
	v_add_nc_u64_e32 v[104:105], s[24:25], v[104:105]
	global_store_b64 v[106:107], v[74:75], off
	s_wait_loadcnt 0x0
	global_store_b64 v[104:105], v[102:103], off
	s_wait_xcnt 0x0
	s_or_b32 exec_lo, exec_lo, s6
	s_and_saveexec_b32 s6, s83
	s_cbranch_execz .LBB194_80
.LBB194_133:                            ;   in Loop: Header=BB194_21 Depth=1
	v_add_nc_u64_e32 v[102:103], 0x600, v[100:101]
	v_add_nc_u64_e32 v[104:105], 0x500, v[94:95]
	s_delay_alu instid0(VALU_DEP_1) | instskip(SKIP_3) | instid1(VALU_DEP_1)
	v_dual_cndmask_b32 v103, v105, v103 :: v_dual_cndmask_b32 v102, v104, v102
	v_dual_mov_b32 v104, v98 :: v_dual_add_nc_u32 v105, 0xc0, v99
	global_load_b64 v[102:103], v[102:103], off
	v_ashrrev_i64 v[104:105], 29, v[104:105]
	v_add_nc_u64_e32 v[106:107], s[28:29], v[104:105]
	v_add_nc_u64_e32 v[104:105], s[24:25], v[104:105]
	global_store_b64 v[106:107], v[78:79], off
	s_wait_loadcnt 0x0
	global_store_b64 v[104:105], v[102:103], off
	s_wait_xcnt 0x0
	s_or_b32 exec_lo, exec_lo, s6
	s_and_saveexec_b32 s6, s84
	s_cbranch_execnz .LBB194_81
	s_branch .LBB194_82
.LBB194_134:                            ;   in Loop: Header=BB194_21 Depth=1
	v_add_nc_u64_e32 v[102:103], 0x600, v[90:91]
	s_delay_alu instid0(VALU_DEP_3) | instskip(NEXT) | instid1(VALU_DEP_2)
	v_ashrrev_i64 v[104:105], 29, v[98:99]
	v_dual_cndmask_b32 v103, v103, v101 :: v_dual_cndmask_b32 v102, v102, v100
	s_delay_alu instid0(VALU_DEP_2)
	v_add_nc_u64_e32 v[106:107], s[28:29], v[104:105]
	v_add_nc_u64_e32 v[104:105], s[24:25], v[104:105]
	global_load_b64 v[102:103], v[102:103], off
	global_store_b64 v[106:107], v[76:77], off
	s_wait_loadcnt 0x0
	global_store_b64 v[104:105], v[102:103], off
	s_wait_xcnt 0x0
	s_or_b32 exec_lo, exec_lo, s6
	s_and_saveexec_b32 s6, s86
	s_cbranch_execz .LBB194_84
.LBB194_135:                            ;   in Loop: Header=BB194_21 Depth=1
	s_delay_alu instid0(VALU_DEP_1) | instskip(SKIP_1) | instid1(VALU_DEP_1)
	v_add_nc_u64_e32 v[102:103], 0x100, v[100:101]
	v_add_nc_u64_e32 v[104:105], 0x600, v[82:83]
	v_dual_cndmask_b32 v103, v105, v103 :: v_dual_cndmask_b32 v102, v104, v102
	v_dual_mov_b32 v104, v98 :: v_dual_add_nc_u32 v105, 32, v99
	global_load_b64 v[102:103], v[102:103], off
	v_ashrrev_i64 v[104:105], 29, v[104:105]
	s_delay_alu instid0(VALU_DEP_1)
	v_add_nc_u64_e32 v[106:107], s[28:29], v[104:105]
	v_add_nc_u64_e32 v[104:105], s[24:25], v[104:105]
	global_store_b64 v[106:107], v[66:67], off
	s_wait_loadcnt 0x0
	global_store_b64 v[104:105], v[102:103], off
	s_wait_xcnt 0x0
	s_or_b32 exec_lo, exec_lo, s6
	s_and_saveexec_b32 s6, s87
	s_cbranch_execz .LBB194_85
.LBB194_136:                            ;   in Loop: Header=BB194_21 Depth=1
	v_add_nc_u64_e32 v[102:103], 0x200, v[100:101]
	v_add_nc_u64_e32 v[104:105], 0x600, v[84:85]
	s_delay_alu instid0(VALU_DEP_1) | instskip(SKIP_3) | instid1(VALU_DEP_1)
	v_dual_cndmask_b32 v103, v105, v103 :: v_dual_cndmask_b32 v102, v104, v102
	v_dual_mov_b32 v104, v98 :: v_dual_add_nc_u32 v105, 64, v99
	global_load_b64 v[102:103], v[102:103], off
	v_ashrrev_i64 v[104:105], 29, v[104:105]
	v_add_nc_u64_e32 v[106:107], s[28:29], v[104:105]
	v_add_nc_u64_e32 v[104:105], s[24:25], v[104:105]
	global_store_b64 v[106:107], v[68:69], off
	s_wait_loadcnt 0x0
	global_store_b64 v[104:105], v[102:103], off
	s_wait_xcnt 0x0
	s_or_b32 exec_lo, exec_lo, s6
	s_and_saveexec_b32 s6, s88
	s_cbranch_execz .LBB194_86
.LBB194_137:                            ;   in Loop: Header=BB194_21 Depth=1
	v_add_nc_u64_e32 v[102:103], 0x300, v[100:101]
	v_add_nc_u64_e32 v[104:105], 0x600, v[86:87]
	s_delay_alu instid0(VALU_DEP_1) | instskip(SKIP_3) | instid1(VALU_DEP_1)
	v_dual_cndmask_b32 v103, v105, v103 :: v_dual_cndmask_b32 v102, v104, v102
	v_dual_mov_b32 v104, v98 :: v_dual_add_nc_u32 v105, 0x60, v99
	global_load_b64 v[102:103], v[102:103], off
	v_ashrrev_i64 v[104:105], 29, v[104:105]
	v_add_nc_u64_e32 v[106:107], s[28:29], v[104:105]
	v_add_nc_u64_e32 v[104:105], s[24:25], v[104:105]
	global_store_b64 v[106:107], v[70:71], off
	s_wait_loadcnt 0x0
	global_store_b64 v[104:105], v[102:103], off
	s_wait_xcnt 0x0
	s_or_b32 exec_lo, exec_lo, s6
	s_and_saveexec_b32 s6, s89
	s_cbranch_execz .LBB194_87
.LBB194_138:                            ;   in Loop: Header=BB194_21 Depth=1
	v_add_nc_u64_e32 v[102:103], 0x400, v[100:101]
	v_add_nc_u64_e32 v[104:105], 0x600, v[88:89]
	s_delay_alu instid0(VALU_DEP_1) | instskip(SKIP_3) | instid1(VALU_DEP_1)
	v_dual_cndmask_b32 v103, v105, v103 :: v_dual_cndmask_b32 v102, v104, v102
	v_dual_mov_b32 v104, v98 :: v_dual_add_nc_u32 v105, 0x80, v99
	global_load_b64 v[102:103], v[102:103], off
	v_ashrrev_i64 v[104:105], 29, v[104:105]
	v_add_nc_u64_e32 v[106:107], s[28:29], v[104:105]
	v_add_nc_u64_e32 v[104:105], s[24:25], v[104:105]
	global_store_b64 v[106:107], v[72:73], off
	s_wait_loadcnt 0x0
	global_store_b64 v[104:105], v[102:103], off
	s_wait_xcnt 0x0
	s_or_b32 exec_lo, exec_lo, s6
	s_and_saveexec_b32 s6, s90
	s_cbranch_execz .LBB194_88
.LBB194_139:                            ;   in Loop: Header=BB194_21 Depth=1
	v_add_nc_u64_e32 v[102:103], 0x500, v[100:101]
	v_add_nc_u64_e32 v[104:105], 0x600, v[92:93]
	s_delay_alu instid0(VALU_DEP_1) | instskip(SKIP_3) | instid1(VALU_DEP_1)
	v_dual_cndmask_b32 v103, v105, v103 :: v_dual_cndmask_b32 v102, v104, v102
	v_dual_mov_b32 v104, v98 :: v_dual_add_nc_u32 v105, 0xa0, v99
	global_load_b64 v[102:103], v[102:103], off
	v_ashrrev_i64 v[104:105], 29, v[104:105]
	v_add_nc_u64_e32 v[106:107], s[28:29], v[104:105]
	v_add_nc_u64_e32 v[104:105], s[24:25], v[104:105]
	global_store_b64 v[106:107], v[74:75], off
	s_wait_loadcnt 0x0
	global_store_b64 v[104:105], v[102:103], off
	s_wait_xcnt 0x0
	s_or_b32 exec_lo, exec_lo, s6
	s_and_saveexec_b32 s6, s91
	s_cbranch_execz .LBB194_89
.LBB194_140:                            ;   in Loop: Header=BB194_21 Depth=1
	v_dual_cndmask_b32 v103, v95, v101 :: v_dual_cndmask_b32 v102, v94, v100
	v_dual_mov_b32 v104, v98 :: v_dual_add_nc_u32 v105, 0xc0, v99
	global_load_b64 v[102:103], v[102:103], off offset:1536
	v_ashrrev_i64 v[104:105], 29, v[104:105]
	s_delay_alu instid0(VALU_DEP_1)
	v_add_nc_u64_e32 v[106:107], s[28:29], v[104:105]
	v_add_nc_u64_e32 v[104:105], s[24:25], v[104:105]
	global_store_b64 v[106:107], v[78:79], off
	s_wait_loadcnt 0x0
	global_store_b64 v[104:105], v[102:103], off
	s_wait_xcnt 0x0
	s_or_b32 exec_lo, exec_lo, s6
	s_and_saveexec_b32 s6, s8
	s_cbranch_execnz .LBB194_90
	s_branch .LBB194_91
.LBB194_141:                            ;   in Loop: Header=BB194_21 Depth=1
	v_add_nc_u64_e32 v[90:91], 0x700, v[90:91]
	s_delay_alu instid0(VALU_DEP_3) | instskip(NEXT) | instid1(VALU_DEP_2)
	v_ashrrev_i64 v[102:103], 29, v[98:99]
	v_dual_cndmask_b32 v91, v91, v101 :: v_dual_cndmask_b32 v90, v90, v100
	s_delay_alu instid0(VALU_DEP_2)
	v_add_nc_u64_e32 v[104:105], s[28:29], v[102:103]
	v_add_nc_u64_e32 v[102:103], s[24:25], v[102:103]
	global_load_b64 v[90:91], v[90:91], off
	global_store_b64 v[104:105], v[76:77], off
	s_wait_loadcnt 0x0
	global_store_b64 v[102:103], v[90:91], off
	s_wait_xcnt 0x0
	s_or_b32 exec_lo, exec_lo, s6
	s_and_saveexec_b32 s6, s93
	s_cbranch_execz .LBB194_93
.LBB194_142:                            ;   in Loop: Header=BB194_21 Depth=1
	s_delay_alu instid0(VALU_DEP_1) | instskip(SKIP_1) | instid1(VALU_DEP_1)
	v_add_nc_u64_e32 v[76:77], 0x100, v[100:101]
	v_add_nc_u64_e32 v[82:83], 0x700, v[82:83]
	v_dual_cndmask_b32 v77, v83, v77 :: v_dual_cndmask_b32 v76, v82, v76
	v_dual_mov_b32 v82, v98 :: v_dual_add_nc_u32 v83, 32, v99
	global_load_b64 v[76:77], v[76:77], off
	v_ashrrev_i64 v[82:83], 29, v[82:83]
	s_delay_alu instid0(VALU_DEP_1)
	v_add_nc_u64_e32 v[90:91], s[28:29], v[82:83]
	v_add_nc_u64_e32 v[82:83], s[24:25], v[82:83]
	global_store_b64 v[90:91], v[66:67], off
	s_wait_loadcnt 0x0
	global_store_b64 v[82:83], v[76:77], off
	s_wait_xcnt 0x0
	s_or_b32 exec_lo, exec_lo, s6
	s_and_saveexec_b32 s6, s10
	s_cbranch_execz .LBB194_94
.LBB194_143:                            ;   in Loop: Header=BB194_21 Depth=1
	v_add_nc_u64_e32 v[66:67], 0x200, v[100:101]
	v_add_nc_u64_e32 v[76:77], 0x700, v[84:85]
	s_delay_alu instid0(VALU_DEP_1) | instskip(SKIP_3) | instid1(VALU_DEP_1)
	v_dual_cndmask_b32 v67, v77, v67 :: v_dual_cndmask_b32 v66, v76, v66
	v_dual_mov_b32 v76, v98 :: v_dual_add_nc_u32 v77, 64, v99
	global_load_b64 v[66:67], v[66:67], off
	v_ashrrev_i64 v[76:77], 29, v[76:77]
	v_add_nc_u64_e32 v[82:83], s[28:29], v[76:77]
	v_add_nc_u64_e32 v[76:77], s[24:25], v[76:77]
	global_store_b64 v[82:83], v[68:69], off
	s_wait_loadcnt 0x0
	global_store_b64 v[76:77], v[66:67], off
	s_wait_xcnt 0x0
	s_or_b32 exec_lo, exec_lo, s6
	s_and_saveexec_b32 s6, s11
	s_cbranch_execz .LBB194_95
.LBB194_144:                            ;   in Loop: Header=BB194_21 Depth=1
	v_add_nc_u64_e32 v[66:67], 0x300, v[100:101]
	v_add_nc_u64_e32 v[68:69], 0x700, v[86:87]
	s_delay_alu instid0(VALU_DEP_1) | instskip(SKIP_3) | instid1(VALU_DEP_1)
	v_dual_cndmask_b32 v67, v69, v67 :: v_dual_cndmask_b32 v66, v68, v66
	v_dual_mov_b32 v68, v98 :: v_dual_add_nc_u32 v69, 0x60, v99
	global_load_b64 v[66:67], v[66:67], off
	v_ashrrev_i64 v[68:69], 29, v[68:69]
	v_add_nc_u64_e32 v[76:77], s[28:29], v[68:69]
	v_add_nc_u64_e32 v[68:69], s[24:25], v[68:69]
	global_store_b64 v[76:77], v[70:71], off
	s_wait_loadcnt 0x0
	global_store_b64 v[68:69], v[66:67], off
	s_wait_xcnt 0x0
	s_or_b32 exec_lo, exec_lo, s6
	s_and_saveexec_b32 s6, s12
	s_cbranch_execz .LBB194_96
.LBB194_145:                            ;   in Loop: Header=BB194_21 Depth=1
	v_add_nc_u64_e32 v[66:67], 0x400, v[100:101]
	v_add_nc_u64_e32 v[68:69], 0x700, v[88:89]
	s_delay_alu instid0(VALU_DEP_1) | instskip(SKIP_3) | instid1(VALU_DEP_1)
	v_dual_cndmask_b32 v67, v69, v67 :: v_dual_cndmask_b32 v66, v68, v66
	v_dual_mov_b32 v68, v98 :: v_dual_add_nc_u32 v69, 0x80, v99
	global_load_b64 v[66:67], v[66:67], off
	v_ashrrev_i64 v[68:69], 29, v[68:69]
	v_add_nc_u64_e32 v[70:71], s[28:29], v[68:69]
	v_add_nc_u64_e32 v[68:69], s[24:25], v[68:69]
	global_store_b64 v[70:71], v[72:73], off
	s_wait_loadcnt 0x0
	global_store_b64 v[68:69], v[66:67], off
	s_wait_xcnt 0x0
	s_or_b32 exec_lo, exec_lo, s6
	s_and_saveexec_b32 s6, s13
	s_cbranch_execz .LBB194_97
.LBB194_146:                            ;   in Loop: Header=BB194_21 Depth=1
	v_add_nc_u64_e32 v[66:67], 0x500, v[100:101]
	v_add_nc_u64_e32 v[68:69], 0x700, v[92:93]
	s_delay_alu instid0(VALU_DEP_1) | instskip(SKIP_3) | instid1(VALU_DEP_1)
	v_dual_cndmask_b32 v67, v69, v67 :: v_dual_cndmask_b32 v66, v68, v66
	v_dual_mov_b32 v68, v98 :: v_dual_add_nc_u32 v69, 0xa0, v99
	global_load_b64 v[66:67], v[66:67], off
	v_ashrrev_i64 v[68:69], 29, v[68:69]
	v_add_nc_u64_e32 v[70:71], s[28:29], v[68:69]
	v_add_nc_u64_e32 v[68:69], s[24:25], v[68:69]
	global_store_b64 v[70:71], v[74:75], off
	s_wait_loadcnt 0x0
	global_store_b64 v[68:69], v[66:67], off
	s_wait_xcnt 0x0
	s_or_b32 exec_lo, exec_lo, s6
	s_and_saveexec_b32 s6, s14
	s_cbranch_execz .LBB194_98
.LBB194_147:                            ;   in Loop: Header=BB194_21 Depth=1
	v_add_nc_u64_e32 v[66:67], 0x600, v[100:101]
	v_add_nc_u64_e32 v[68:69], 0x700, v[94:95]
	s_delay_alu instid0(VALU_DEP_1) | instskip(SKIP_3) | instid1(VALU_DEP_1)
	v_dual_cndmask_b32 v67, v69, v67 :: v_dual_cndmask_b32 v66, v68, v66
	v_dual_mov_b32 v68, v98 :: v_dual_add_nc_u32 v69, 0xc0, v99
	global_load_b64 v[66:67], v[66:67], off
	v_ashrrev_i64 v[68:69], 29, v[68:69]
	v_add_nc_u64_e32 v[70:71], s[28:29], v[68:69]
	v_add_nc_u64_e32 v[68:69], s[24:25], v[68:69]
	global_store_b64 v[70:71], v[78:79], off
	s_wait_loadcnt 0x0
	global_store_b64 v[68:69], v[66:67], off
	s_wait_xcnt 0x0
	s_or_b32 exec_lo, exec_lo, s6
	s_and_saveexec_b32 s6, s9
	s_cbranch_execz .LBB194_20
.LBB194_148:                            ;   in Loop: Header=BB194_21 Depth=1
	v_dual_cndmask_b32 v67, v97, v101 :: v_dual_cndmask_b32 v66, v96, v100
	v_add_nc_u32_e32 v99, 0xe0, v99
	global_load_b64 v[66:67], v[66:67], off offset:1792
	v_ashrrev_i64 v[68:69], 29, v[98:99]
	s_delay_alu instid0(VALU_DEP_1)
	v_add_nc_u64_e32 v[70:71], s[28:29], v[68:69]
	v_add_nc_u64_e32 v[68:69], s[24:25], v[68:69]
	global_store_b64 v[70:71], v[80:81], off
	s_wait_loadcnt 0x0
	global_store_b64 v[68:69], v[66:67], off
	s_branch .LBB194_20
.LBB194_149:
	s_sendmsg sendmsg(MSG_DEALLOC_VGPRS)
	s_endpgm
	.section	.rodata,"a",@progbits
	.p2align	6, 0x0
	.amdhsa_kernel _ZN9rocsparseL35bsr2csr_block_per_row_33_256_kernelILj1024ELj256ELj32E21rocsparse_complex_numIfEilEEv20rocsparse_direction_T4_S4_21rocsparse_index_base_PKT2_PKT3_PKS4_S4_S5_PS6_PS9_PS4_
		.amdhsa_group_segment_fixed_size 0
		.amdhsa_private_segment_fixed_size 0
		.amdhsa_kernarg_size 96
		.amdhsa_user_sgpr_count 2
		.amdhsa_user_sgpr_dispatch_ptr 0
		.amdhsa_user_sgpr_queue_ptr 0
		.amdhsa_user_sgpr_kernarg_segment_ptr 1
		.amdhsa_user_sgpr_dispatch_id 0
		.amdhsa_user_sgpr_kernarg_preload_length 0
		.amdhsa_user_sgpr_kernarg_preload_offset 0
		.amdhsa_user_sgpr_private_segment_size 0
		.amdhsa_wavefront_size32 1
		.amdhsa_uses_dynamic_stack 0
		.amdhsa_enable_private_segment 0
		.amdhsa_system_sgpr_workgroup_id_x 1
		.amdhsa_system_sgpr_workgroup_id_y 0
		.amdhsa_system_sgpr_workgroup_id_z 0
		.amdhsa_system_sgpr_workgroup_info 0
		.amdhsa_system_vgpr_workitem_id 0
		.amdhsa_next_free_vgpr 108
		.amdhsa_next_free_sgpr 95
		.amdhsa_named_barrier_count 0
		.amdhsa_reserve_vcc 1
		.amdhsa_float_round_mode_32 0
		.amdhsa_float_round_mode_16_64 0
		.amdhsa_float_denorm_mode_32 3
		.amdhsa_float_denorm_mode_16_64 3
		.amdhsa_fp16_overflow 0
		.amdhsa_memory_ordered 1
		.amdhsa_forward_progress 1
		.amdhsa_inst_pref_size 76
		.amdhsa_round_robin_scheduling 0
		.amdhsa_exception_fp_ieee_invalid_op 0
		.amdhsa_exception_fp_denorm_src 0
		.amdhsa_exception_fp_ieee_div_zero 0
		.amdhsa_exception_fp_ieee_overflow 0
		.amdhsa_exception_fp_ieee_underflow 0
		.amdhsa_exception_fp_ieee_inexact 0
		.amdhsa_exception_int_div_zero 0
	.end_amdhsa_kernel
	.section	.text._ZN9rocsparseL35bsr2csr_block_per_row_33_256_kernelILj1024ELj256ELj32E21rocsparse_complex_numIfEilEEv20rocsparse_direction_T4_S4_21rocsparse_index_base_PKT2_PKT3_PKS4_S4_S5_PS6_PS9_PS4_,"axG",@progbits,_ZN9rocsparseL35bsr2csr_block_per_row_33_256_kernelILj1024ELj256ELj32E21rocsparse_complex_numIfEilEEv20rocsparse_direction_T4_S4_21rocsparse_index_base_PKT2_PKT3_PKS4_S4_S5_PS6_PS9_PS4_,comdat
.Lfunc_end194:
	.size	_ZN9rocsparseL35bsr2csr_block_per_row_33_256_kernelILj1024ELj256ELj32E21rocsparse_complex_numIfEilEEv20rocsparse_direction_T4_S4_21rocsparse_index_base_PKT2_PKT3_PKS4_S4_S5_PS6_PS9_PS4_, .Lfunc_end194-_ZN9rocsparseL35bsr2csr_block_per_row_33_256_kernelILj1024ELj256ELj32E21rocsparse_complex_numIfEilEEv20rocsparse_direction_T4_S4_21rocsparse_index_base_PKT2_PKT3_PKS4_S4_S5_PS6_PS9_PS4_
                                        ; -- End function
	.set _ZN9rocsparseL35bsr2csr_block_per_row_33_256_kernelILj1024ELj256ELj32E21rocsparse_complex_numIfEilEEv20rocsparse_direction_T4_S4_21rocsparse_index_base_PKT2_PKT3_PKS4_S4_S5_PS6_PS9_PS4_.num_vgpr, 108
	.set _ZN9rocsparseL35bsr2csr_block_per_row_33_256_kernelILj1024ELj256ELj32E21rocsparse_complex_numIfEilEEv20rocsparse_direction_T4_S4_21rocsparse_index_base_PKT2_PKT3_PKS4_S4_S5_PS6_PS9_PS4_.num_agpr, 0
	.set _ZN9rocsparseL35bsr2csr_block_per_row_33_256_kernelILj1024ELj256ELj32E21rocsparse_complex_numIfEilEEv20rocsparse_direction_T4_S4_21rocsparse_index_base_PKT2_PKT3_PKS4_S4_S5_PS6_PS9_PS4_.numbered_sgpr, 95
	.set _ZN9rocsparseL35bsr2csr_block_per_row_33_256_kernelILj1024ELj256ELj32E21rocsparse_complex_numIfEilEEv20rocsparse_direction_T4_S4_21rocsparse_index_base_PKT2_PKT3_PKS4_S4_S5_PS6_PS9_PS4_.num_named_barrier, 0
	.set _ZN9rocsparseL35bsr2csr_block_per_row_33_256_kernelILj1024ELj256ELj32E21rocsparse_complex_numIfEilEEv20rocsparse_direction_T4_S4_21rocsparse_index_base_PKT2_PKT3_PKS4_S4_S5_PS6_PS9_PS4_.private_seg_size, 0
	.set _ZN9rocsparseL35bsr2csr_block_per_row_33_256_kernelILj1024ELj256ELj32E21rocsparse_complex_numIfEilEEv20rocsparse_direction_T4_S4_21rocsparse_index_base_PKT2_PKT3_PKS4_S4_S5_PS6_PS9_PS4_.uses_vcc, 1
	.set _ZN9rocsparseL35bsr2csr_block_per_row_33_256_kernelILj1024ELj256ELj32E21rocsparse_complex_numIfEilEEv20rocsparse_direction_T4_S4_21rocsparse_index_base_PKT2_PKT3_PKS4_S4_S5_PS6_PS9_PS4_.uses_flat_scratch, 0
	.set _ZN9rocsparseL35bsr2csr_block_per_row_33_256_kernelILj1024ELj256ELj32E21rocsparse_complex_numIfEilEEv20rocsparse_direction_T4_S4_21rocsparse_index_base_PKT2_PKT3_PKS4_S4_S5_PS6_PS9_PS4_.has_dyn_sized_stack, 0
	.set _ZN9rocsparseL35bsr2csr_block_per_row_33_256_kernelILj1024ELj256ELj32E21rocsparse_complex_numIfEilEEv20rocsparse_direction_T4_S4_21rocsparse_index_base_PKT2_PKT3_PKS4_S4_S5_PS6_PS9_PS4_.has_recursion, 0
	.set _ZN9rocsparseL35bsr2csr_block_per_row_33_256_kernelILj1024ELj256ELj32E21rocsparse_complex_numIfEilEEv20rocsparse_direction_T4_S4_21rocsparse_index_base_PKT2_PKT3_PKS4_S4_S5_PS6_PS9_PS4_.has_indirect_call, 0
	.section	.AMDGPU.csdata,"",@progbits
; Kernel info:
; codeLenInByte = 9616
; TotalNumSgprs: 97
; NumVgprs: 108
; ScratchSize: 0
; MemoryBound: 0
; FloatMode: 240
; IeeeMode: 1
; LDSByteSize: 0 bytes/workgroup (compile time only)
; SGPRBlocks: 0
; VGPRBlocks: 6
; NumSGPRsForWavesPerEU: 97
; NumVGPRsForWavesPerEU: 108
; NamedBarCnt: 0
; Occupancy: 9
; WaveLimiterHint : 1
; COMPUTE_PGM_RSRC2:SCRATCH_EN: 0
; COMPUTE_PGM_RSRC2:USER_SGPR: 2
; COMPUTE_PGM_RSRC2:TRAP_HANDLER: 0
; COMPUTE_PGM_RSRC2:TGID_X_EN: 1
; COMPUTE_PGM_RSRC2:TGID_Y_EN: 0
; COMPUTE_PGM_RSRC2:TGID_Z_EN: 0
; COMPUTE_PGM_RSRC2:TIDIG_COMP_CNT: 0
	.section	.text._ZN9rocsparseL35bsr2csr_block_dim_equals_one_kernelILj1024E21rocsparse_complex_numIfEllEEvT2_S3_21rocsparse_index_base_PKT0_PKT1_PKS3_S4_PS5_PS8_PS3_,"axG",@progbits,_ZN9rocsparseL35bsr2csr_block_dim_equals_one_kernelILj1024E21rocsparse_complex_numIfEllEEvT2_S3_21rocsparse_index_base_PKT0_PKT1_PKS3_S4_PS5_PS8_PS3_,comdat
	.globl	_ZN9rocsparseL35bsr2csr_block_dim_equals_one_kernelILj1024E21rocsparse_complex_numIfEllEEvT2_S3_21rocsparse_index_base_PKT0_PKT1_PKS3_S4_PS5_PS8_PS3_ ; -- Begin function _ZN9rocsparseL35bsr2csr_block_dim_equals_one_kernelILj1024E21rocsparse_complex_numIfEllEEvT2_S3_21rocsparse_index_base_PKT0_PKT1_PKS3_S4_PS5_PS8_PS3_
	.p2align	8
	.type	_ZN9rocsparseL35bsr2csr_block_dim_equals_one_kernelILj1024E21rocsparse_complex_numIfEllEEvT2_S3_21rocsparse_index_base_PKT0_PKT1_PKS3_S4_PS5_PS8_PS3_,@function
_ZN9rocsparseL35bsr2csr_block_dim_equals_one_kernelILj1024E21rocsparse_complex_numIfEllEEvT2_S3_21rocsparse_index_base_PKT0_PKT1_PKS3_S4_PS5_PS8_PS3_: ; @_ZN9rocsparseL35bsr2csr_block_dim_equals_one_kernelILj1024E21rocsparse_complex_numIfEllEEvT2_S3_21rocsparse_index_base_PKT0_PKT1_PKS3_S4_PS5_PS8_PS3_
; %bb.0:
	s_clause 0x3
	s_load_b32 s2, s[0:1], 0x10
	s_load_b64 s[8:9], s[0:1], 0x20
	s_load_b32 s4, s[0:1], 0x30
	s_load_b64 s[6:7], s[0:1], 0x0
	s_bfe_u32 s3, ttmp6, 0x4000c
	s_and_b32 s5, ttmp6, 15
	s_add_co_i32 s3, s3, 1
	s_getreg_b32 s10, hwreg(HW_REG_IB_STS2, 6, 4)
	s_mul_i32 s3, ttmp9, s3
	v_mov_b32_e32 v1, 0
	s_add_co_i32 s5, s5, s3
	s_cmp_eq_u32 s10, 0
	s_mov_b32 s14, exec_lo
	s_cselect_b32 s3, ttmp9, s5
	s_delay_alu instid0(SALU_CYCLE_1) | instskip(SKIP_1) | instid1(VALU_DEP_1)
	v_lshl_or_b32 v0, s3, 10, v0
	s_wait_kmcnt 0x0
	v_cmpx_gt_i64_e64 s[6:7], v[0:1]
	s_cbranch_execz .LBB195_6
; %bb.1:
                                        ; implicit-def: $sgpr12_sgpr13
	s_mov_b32 s3, exec_lo
	v_cmpx_ne_u32_e32 0, v0
	s_xor_b32 s10, exec_lo, s3
; %bb.2:
	s_mov_b32 s3, 0
	s_delay_alu instid0(SALU_CYCLE_1) | instskip(NEXT) | instid1(SALU_CYCLE_1)
	s_mov_b32 s5, s3
	s_sub_nc_u64 s[12:13], s[4:5], s[2:3]
; %bb.3:
	s_or_saveexec_b32 s15, s10
	s_load_b64 s[10:11], s[0:1], 0x40
	v_mov_b64_e32 v[2:3], s[12:13]
	s_xor_b32 exec_lo, exec_lo, s15
	s_cbranch_execz .LBB195_5
; %bb.4:
	s_load_b64 s[12:13], s[8:9], 0x0
	s_mov_b32 s5, 0
	v_mov_b32_e32 v6, 0
	s_mov_b32 s3, s5
	s_delay_alu instid0(SALU_CYCLE_1) | instskip(NEXT) | instid1(SALU_CYCLE_1)
	s_sub_nc_u64 s[16:17], s[4:5], s[2:3]
	v_mov_b64_e32 v[2:3], s[16:17]
	s_wait_kmcnt 0x0
	s_add_nc_u64 s[12:13], s[16:17], s[12:13]
	s_delay_alu instid0(SALU_CYCLE_1)
	v_mov_b64_e32 v[4:5], s[12:13]
	global_store_b64 v6, v[4:5], s[10:11]
.LBB195_5:
	s_wait_xcnt 0x0
	s_or_b32 exec_lo, exec_lo, s15
	v_lshlrev_b64_e32 v[4:5], 3, v[0:1]
	s_delay_alu instid0(VALU_DEP_1)
	v_add_nc_u64_e32 v[6:7], s[8:9], v[4:5]
	s_wait_kmcnt 0x0
	v_add_nc_u64_e32 v[4:5], s[10:11], v[4:5]
	global_load_b64 v[6:7], v[6:7], off offset:8
	s_wait_loadcnt 0x0
	v_add_nc_u64_e32 v[2:3], v[2:3], v[6:7]
	global_store_b64 v[4:5], v[2:3], off offset:8
.LBB195_6:
	s_wait_xcnt 0x0
	s_or_b32 exec_lo, exec_lo, s14
	s_lshl_b64 s[6:7], s[6:7], 3
	s_clause 0x3
	s_load_b64 s[10:11], s[0:1], 0x48
	s_load_b64 s[12:13], s[0:1], 0x18
	;; [unrolled: 1-line block ×4, first 2 shown]
	s_add_nc_u64 s[6:7], s[8:9], s[6:7]
	s_mov_b32 s3, exec_lo
	s_clause 0x1
	s_load_b64 s[18:19], s[6:7], 0x0
	s_load_b64 s[20:21], s[8:9], 0x0
	s_wait_kmcnt 0x0
	s_sub_nc_u64 s[6:7], s[18:19], s[20:21]
	s_delay_alu instid0(SALU_CYCLE_1)
	v_cmpx_gt_i64_e64 s[6:7], v[0:1]
	s_cbranch_execz .LBB195_9
; %bb.7:
	s_load_b32 s8, s[0:1], 0x50
	s_mov_b32 s3, 0
	v_lshlrev_b64_e32 v[2:3], 3, v[0:1]
	s_mov_b32 s5, s3
	s_wait_xcnt 0x0
	s_sub_nc_u64 s[0:1], s[4:5], s[2:3]
	s_wait_kmcnt 0x0
	s_lshl_b32 s2, s8, 10
	s_mov_b32 s8, s3
	s_lshl_b64 s[4:5], s[2:3], 3
.LBB195_8:                              ; =>This Inner Loop Header: Depth=1
	v_add_nc_u64_e32 v[4:5], s[14:15], v[2:3]
	v_add_nc_u64_e32 v[6:7], s[12:13], v[2:3]
	v_add_nc_u64_e32 v[0:1], s[2:3], v[0:1]
	global_load_b64 v[8:9], v[4:5], off
	global_load_b64 v[10:11], v[6:7], off
	s_wait_xcnt 0x1
	v_add_nc_u64_e32 v[4:5], s[10:11], v[2:3]
	v_cmp_le_i64_e32 vcc_lo, s[6:7], v[0:1]
	s_wait_xcnt 0x0
	v_add_nc_u64_e32 v[6:7], s[16:17], v[2:3]
	v_add_nc_u64_e32 v[2:3], s[4:5], v[2:3]
	s_or_b32 s8, vcc_lo, s8
	s_wait_loadcnt 0x1
	v_add_nc_u64_e32 v[8:9], s[0:1], v[8:9]
	s_wait_loadcnt 0x0
	global_store_b64 v[6:7], v[10:11], off
	global_store_b64 v[4:5], v[8:9], off
	s_wait_xcnt 0x0
	s_and_not1_b32 exec_lo, exec_lo, s8
	s_cbranch_execnz .LBB195_8
.LBB195_9:
	s_endpgm
	.section	.rodata,"a",@progbits
	.p2align	6, 0x0
	.amdhsa_kernel _ZN9rocsparseL35bsr2csr_block_dim_equals_one_kernelILj1024E21rocsparse_complex_numIfEllEEvT2_S3_21rocsparse_index_base_PKT0_PKT1_PKS3_S4_PS5_PS8_PS3_
		.amdhsa_group_segment_fixed_size 0
		.amdhsa_private_segment_fixed_size 0
		.amdhsa_kernarg_size 336
		.amdhsa_user_sgpr_count 2
		.amdhsa_user_sgpr_dispatch_ptr 0
		.amdhsa_user_sgpr_queue_ptr 0
		.amdhsa_user_sgpr_kernarg_segment_ptr 1
		.amdhsa_user_sgpr_dispatch_id 0
		.amdhsa_user_sgpr_kernarg_preload_length 0
		.amdhsa_user_sgpr_kernarg_preload_offset 0
		.amdhsa_user_sgpr_private_segment_size 0
		.amdhsa_wavefront_size32 1
		.amdhsa_uses_dynamic_stack 0
		.amdhsa_enable_private_segment 0
		.amdhsa_system_sgpr_workgroup_id_x 1
		.amdhsa_system_sgpr_workgroup_id_y 0
		.amdhsa_system_sgpr_workgroup_id_z 0
		.amdhsa_system_sgpr_workgroup_info 0
		.amdhsa_system_vgpr_workitem_id 0
		.amdhsa_next_free_vgpr 12
		.amdhsa_next_free_sgpr 22
		.amdhsa_named_barrier_count 0
		.amdhsa_reserve_vcc 1
		.amdhsa_float_round_mode_32 0
		.amdhsa_float_round_mode_16_64 0
		.amdhsa_float_denorm_mode_32 3
		.amdhsa_float_denorm_mode_16_64 3
		.amdhsa_fp16_overflow 0
		.amdhsa_memory_ordered 1
		.amdhsa_forward_progress 1
		.amdhsa_inst_pref_size 5
		.amdhsa_round_robin_scheduling 0
		.amdhsa_exception_fp_ieee_invalid_op 0
		.amdhsa_exception_fp_denorm_src 0
		.amdhsa_exception_fp_ieee_div_zero 0
		.amdhsa_exception_fp_ieee_overflow 0
		.amdhsa_exception_fp_ieee_underflow 0
		.amdhsa_exception_fp_ieee_inexact 0
		.amdhsa_exception_int_div_zero 0
	.end_amdhsa_kernel
	.section	.text._ZN9rocsparseL35bsr2csr_block_dim_equals_one_kernelILj1024E21rocsparse_complex_numIfEllEEvT2_S3_21rocsparse_index_base_PKT0_PKT1_PKS3_S4_PS5_PS8_PS3_,"axG",@progbits,_ZN9rocsparseL35bsr2csr_block_dim_equals_one_kernelILj1024E21rocsparse_complex_numIfEllEEvT2_S3_21rocsparse_index_base_PKT0_PKT1_PKS3_S4_PS5_PS8_PS3_,comdat
.Lfunc_end195:
	.size	_ZN9rocsparseL35bsr2csr_block_dim_equals_one_kernelILj1024E21rocsparse_complex_numIfEllEEvT2_S3_21rocsparse_index_base_PKT0_PKT1_PKS3_S4_PS5_PS8_PS3_, .Lfunc_end195-_ZN9rocsparseL35bsr2csr_block_dim_equals_one_kernelILj1024E21rocsparse_complex_numIfEllEEvT2_S3_21rocsparse_index_base_PKT0_PKT1_PKS3_S4_PS5_PS8_PS3_
                                        ; -- End function
	.set _ZN9rocsparseL35bsr2csr_block_dim_equals_one_kernelILj1024E21rocsparse_complex_numIfEllEEvT2_S3_21rocsparse_index_base_PKT0_PKT1_PKS3_S4_PS5_PS8_PS3_.num_vgpr, 12
	.set _ZN9rocsparseL35bsr2csr_block_dim_equals_one_kernelILj1024E21rocsparse_complex_numIfEllEEvT2_S3_21rocsparse_index_base_PKT0_PKT1_PKS3_S4_PS5_PS8_PS3_.num_agpr, 0
	.set _ZN9rocsparseL35bsr2csr_block_dim_equals_one_kernelILj1024E21rocsparse_complex_numIfEllEEvT2_S3_21rocsparse_index_base_PKT0_PKT1_PKS3_S4_PS5_PS8_PS3_.numbered_sgpr, 22
	.set _ZN9rocsparseL35bsr2csr_block_dim_equals_one_kernelILj1024E21rocsparse_complex_numIfEllEEvT2_S3_21rocsparse_index_base_PKT0_PKT1_PKS3_S4_PS5_PS8_PS3_.num_named_barrier, 0
	.set _ZN9rocsparseL35bsr2csr_block_dim_equals_one_kernelILj1024E21rocsparse_complex_numIfEllEEvT2_S3_21rocsparse_index_base_PKT0_PKT1_PKS3_S4_PS5_PS8_PS3_.private_seg_size, 0
	.set _ZN9rocsparseL35bsr2csr_block_dim_equals_one_kernelILj1024E21rocsparse_complex_numIfEllEEvT2_S3_21rocsparse_index_base_PKT0_PKT1_PKS3_S4_PS5_PS8_PS3_.uses_vcc, 1
	.set _ZN9rocsparseL35bsr2csr_block_dim_equals_one_kernelILj1024E21rocsparse_complex_numIfEllEEvT2_S3_21rocsparse_index_base_PKT0_PKT1_PKS3_S4_PS5_PS8_PS3_.uses_flat_scratch, 0
	.set _ZN9rocsparseL35bsr2csr_block_dim_equals_one_kernelILj1024E21rocsparse_complex_numIfEllEEvT2_S3_21rocsparse_index_base_PKT0_PKT1_PKS3_S4_PS5_PS8_PS3_.has_dyn_sized_stack, 0
	.set _ZN9rocsparseL35bsr2csr_block_dim_equals_one_kernelILj1024E21rocsparse_complex_numIfEllEEvT2_S3_21rocsparse_index_base_PKT0_PKT1_PKS3_S4_PS5_PS8_PS3_.has_recursion, 0
	.set _ZN9rocsparseL35bsr2csr_block_dim_equals_one_kernelILj1024E21rocsparse_complex_numIfEllEEvT2_S3_21rocsparse_index_base_PKT0_PKT1_PKS3_S4_PS5_PS8_PS3_.has_indirect_call, 0
	.section	.AMDGPU.csdata,"",@progbits
; Kernel info:
; codeLenInByte = 540
; TotalNumSgprs: 24
; NumVgprs: 12
; ScratchSize: 0
; MemoryBound: 0
; FloatMode: 240
; IeeeMode: 1
; LDSByteSize: 0 bytes/workgroup (compile time only)
; SGPRBlocks: 0
; VGPRBlocks: 0
; NumSGPRsForWavesPerEU: 24
; NumVGPRsForWavesPerEU: 12
; NamedBarCnt: 0
; Occupancy: 16
; WaveLimiterHint : 0
; COMPUTE_PGM_RSRC2:SCRATCH_EN: 0
; COMPUTE_PGM_RSRC2:USER_SGPR: 2
; COMPUTE_PGM_RSRC2:TRAP_HANDLER: 0
; COMPUTE_PGM_RSRC2:TGID_X_EN: 1
; COMPUTE_PGM_RSRC2:TGID_Y_EN: 0
; COMPUTE_PGM_RSRC2:TGID_Z_EN: 0
; COMPUTE_PGM_RSRC2:TIDIG_COMP_CNT: 0
	.section	.text._ZN9rocsparseL32bsr2csr_block_per_row_2_7_kernelILj256ELj2E21rocsparse_complex_numIfEllEEv20rocsparse_direction_T3_S4_21rocsparse_index_base_PKT1_PKT2_PKS4_S4_S5_PS6_PS9_PS4_,"axG",@progbits,_ZN9rocsparseL32bsr2csr_block_per_row_2_7_kernelILj256ELj2E21rocsparse_complex_numIfEllEEv20rocsparse_direction_T3_S4_21rocsparse_index_base_PKT1_PKT2_PKS4_S4_S5_PS6_PS9_PS4_,comdat
	.globl	_ZN9rocsparseL32bsr2csr_block_per_row_2_7_kernelILj256ELj2E21rocsparse_complex_numIfEllEEv20rocsparse_direction_T3_S4_21rocsparse_index_base_PKT1_PKT2_PKS4_S4_S5_PS6_PS9_PS4_ ; -- Begin function _ZN9rocsparseL32bsr2csr_block_per_row_2_7_kernelILj256ELj2E21rocsparse_complex_numIfEllEEv20rocsparse_direction_T3_S4_21rocsparse_index_base_PKT1_PKT2_PKS4_S4_S5_PS6_PS9_PS4_
	.p2align	8
	.type	_ZN9rocsparseL32bsr2csr_block_per_row_2_7_kernelILj256ELj2E21rocsparse_complex_numIfEllEEv20rocsparse_direction_T3_S4_21rocsparse_index_base_PKT1_PKT2_PKS4_S4_S5_PS6_PS9_PS4_,@function
_ZN9rocsparseL32bsr2csr_block_per_row_2_7_kernelILj256ELj2E21rocsparse_complex_numIfEllEEv20rocsparse_direction_T3_S4_21rocsparse_index_base_PKT1_PKT2_PKS4_S4_S5_PS6_PS9_PS4_: ; @_ZN9rocsparseL32bsr2csr_block_per_row_2_7_kernelILj256ELj2E21rocsparse_complex_numIfEllEEv20rocsparse_direction_T3_S4_21rocsparse_index_base_PKT1_PKT2_PKS4_S4_S5_PS6_PS9_PS4_
; %bb.0:
	s_load_b64 s[4:5], s[0:1], 0x28
	s_bfe_u32 s2, ttmp6, 0x4000c
	s_and_b32 s3, ttmp6, 15
	s_add_co_i32 s2, s2, 1
	s_getreg_b32 s6, hwreg(HW_REG_IB_STS2, 6, 4)
	s_mul_i32 s2, ttmp9, s2
	s_clause 0x1
	s_load_b32 s8, s[0:1], 0x40
	s_load_b64 s[12:13], s[0:1], 0x50
	s_add_co_i32 s2, s3, s2
	s_cmp_eq_u32 s6, 0
	s_mov_b32 s3, 0
	s_cselect_b32 s10, ttmp9, s2
	s_mov_b32 s11, s3
	v_or_b32_e32 v1, s10, v0
	s_lshl_b64 s[6:7], s[10:11], 3
	s_mov_b32 s9, s3
	s_mov_b32 s2, exec_lo
	s_wait_kmcnt 0x0
	s_add_nc_u64 s[14:15], s[4:5], s[6:7]
	s_load_b128 s[4:7], s[14:15], 0x0
	v_cmpx_eq_u32_e32 0, v1
	s_cbranch_execz .LBB196_2
; %bb.1:
	v_mov_b64_e32 v[2:3], s[8:9]
	v_mov_b32_e32 v1, 0
	global_store_b64 v1, v[2:3], s[12:13]
.LBB196_2:
	s_wait_xcnt 0x0
	s_or_b32 exec_lo, exec_lo, s2
	s_load_b32 s2, s[0:1], 0x18
	v_dual_mov_b32 v3, 0 :: v_dual_bitop2_b32 v2, 1, v0 bitop3:0x40
	v_lshrrev_b32_e32 v6, 1, v0
	s_lshl_b64 s[10:11], s[10:11], 4
	s_delay_alu instid0(SALU_CYCLE_1) | instskip(NEXT) | instid1(VALU_DEP_2)
	s_add_nc_u64 s[10:11], s[12:13], s[10:11]
	v_mov_b32_e32 v7, v3
	s_wait_kmcnt 0x0
	s_sub_nc_u64 s[14:15], s[4:5], s[2:3]
	s_sub_nc_u64 s[6:7], s[6:7], s[2:3]
	s_delay_alu instid0(VALU_DEP_1) | instskip(SKIP_3) | instid1(SALU_CYCLE_1)
	v_add_nc_u64_e32 v[0:1], s[14:15], v[6:7]
	s_sub_nc_u64 s[16:17], s[6:7], s[14:15]
	s_lshl_b64 s[14:15], s[14:15], 2
	s_lshl_b64 s[16:17], s[16:17], 1
	v_mul_u64_e32 v[4:5], s[16:17], v[2:3]
	s_add_nc_u64 s[16:17], s[16:17], s[8:9]
	s_delay_alu instid0(SALU_CYCLE_1)
	s_add_nc_u64 s[14:15], s[16:17], s[14:15]
	s_delay_alu instid0(VALU_DEP_1) | instid1(SALU_CYCLE_1)
	v_add_nc_u64_e32 v[8:9], s[14:15], v[4:5]
	global_store_b64 v2, v[8:9], s[10:11] offset:8 scale_offset
	s_wait_xcnt 0x0
	s_mov_b32 s10, exec_lo
	v_cmpx_gt_i64_e64 s[6:7], v[0:1]
	s_cbranch_execz .LBB196_5
; %bb.3:
	s_clause 0x2
	s_load_b64 s[10:11], s[0:1], 0x30
	s_load_b64 s[12:13], s[0:1], 0x48
	s_load_b32 s16, s[0:1], 0x0
	v_lshl_add_u64 v[4:5], s[4:5], 2, v[4:5]
	v_dual_mov_b32 v7, v3 :: v_dual_lshlrev_b32 v6, 1, v6
	s_clause 0x1
	s_load_b64 s[4:5], s[0:1], 0x20
	s_load_b64 s[14:15], s[0:1], 0x58
	s_delay_alu instid0(VALU_DEP_1)
	v_add_nc_u64_e32 v[4:5], v[4:5], v[6:7]
	v_lshlrev_b64_e32 v[6:7], 5, v[0:1]
	s_wait_kmcnt 0x0
	v_lshl_add_u64 v[12:13], v[0:1], 3, s[10:11]
	s_cmp_eq_u32 s16, 0
	s_cselect_b32 vcc_lo, -1, 0
	s_lshl_b64 s[0:1], s[2:3], 2
	s_delay_alu instid0(VALU_DEP_2) | instskip(SKIP_2) | instid1(VALU_DEP_1)
	v_add_nc_u64_e32 v[6:7], s[4:5], v[6:7]
	v_sub_nc_u64_e64 v[4:5], v[4:5], s[0:1]
	s_mov_b32 s1, 0
	v_lshl_add_u64 v[10:11], v[4:5], 3, 8
	v_dual_mov_b32 v5, v3 :: v_dual_lshlrev_b32 v4, 3, v2
	v_lshlrev_b32_e32 v2, 4, v2
	s_delay_alu instid0(VALU_DEP_3)
	v_add_nc_u64_e32 v[8:9], s[12:13], v[10:11]
	v_add_nc_u64_e32 v[10:11], s[14:15], v[10:11]
.LBB196_4:                              ; =>This Inner Loop Header: Depth=1
	global_load_b64 v[18:19], v[12:13], off
	v_add_nc_u64_e32 v[14:15], v[6:7], v[2:3]
	v_add_nc_u64_e32 v[16:17], v[6:7], v[4:5]
	;; [unrolled: 1-line block ×3, first 2 shown]
	s_wait_xcnt 0x0
	v_add_nc_u64_e32 v[12:13], 0x400, v[12:13]
	v_add_nc_u64_e32 v[6:7], 0x1000, v[6:7]
	;; [unrolled: 1-line block ×4, first 2 shown]
	v_dual_cndmask_b32 v25, v17, v15 :: v_dual_cndmask_b32 v24, v16, v14
	v_cmp_le_i64_e64 s0, s[6:7], v[0:1]
	s_delay_alu instid0(VALU_DEP_3)
	v_dual_cndmask_b32 v21, v23, v21 :: v_dual_cndmask_b32 v20, v22, v20
	global_load_b64 v[14:15], v[24:25], off
	global_load_b64 v[16:17], v[20:21], off
	s_or_b32 s1, s0, s1
	s_wait_loadcnt 0x2
	v_sub_nc_u64_e64 v[18:19], v[18:19], s[2:3]
	s_delay_alu instid0(VALU_DEP_1) | instskip(SKIP_1) | instid1(VALU_DEP_1)
	v_lshl_add_u64 v[18:19], v[18:19], 1, s[8:9]
	s_wait_xcnt 0x0
	v_add_nc_u64_e32 v[20:21], 1, v[18:19]
	global_store_b128 v[10:11], v[18:21], off offset:-8
	s_wait_loadcnt 0x0
	global_store_b128 v[8:9], v[14:17], off offset:-8
	s_wait_xcnt 0x0
	v_add_nc_u64_e32 v[8:9], 0x800, v[8:9]
	v_add_nc_u64_e32 v[10:11], 0x800, v[10:11]
	s_and_not1_b32 exec_lo, exec_lo, s1
	s_cbranch_execnz .LBB196_4
.LBB196_5:
	s_endpgm
	.section	.rodata,"a",@progbits
	.p2align	6, 0x0
	.amdhsa_kernel _ZN9rocsparseL32bsr2csr_block_per_row_2_7_kernelILj256ELj2E21rocsparse_complex_numIfEllEEv20rocsparse_direction_T3_S4_21rocsparse_index_base_PKT1_PKT2_PKS4_S4_S5_PS6_PS9_PS4_
		.amdhsa_group_segment_fixed_size 0
		.amdhsa_private_segment_fixed_size 0
		.amdhsa_kernarg_size 96
		.amdhsa_user_sgpr_count 2
		.amdhsa_user_sgpr_dispatch_ptr 0
		.amdhsa_user_sgpr_queue_ptr 0
		.amdhsa_user_sgpr_kernarg_segment_ptr 1
		.amdhsa_user_sgpr_dispatch_id 0
		.amdhsa_user_sgpr_kernarg_preload_length 0
		.amdhsa_user_sgpr_kernarg_preload_offset 0
		.amdhsa_user_sgpr_private_segment_size 0
		.amdhsa_wavefront_size32 1
		.amdhsa_uses_dynamic_stack 0
		.amdhsa_enable_private_segment 0
		.amdhsa_system_sgpr_workgroup_id_x 1
		.amdhsa_system_sgpr_workgroup_id_y 0
		.amdhsa_system_sgpr_workgroup_id_z 0
		.amdhsa_system_sgpr_workgroup_info 0
		.amdhsa_system_vgpr_workitem_id 0
		.amdhsa_next_free_vgpr 26
		.amdhsa_next_free_sgpr 18
		.amdhsa_named_barrier_count 0
		.amdhsa_reserve_vcc 1
		.amdhsa_float_round_mode_32 0
		.amdhsa_float_round_mode_16_64 0
		.amdhsa_float_denorm_mode_32 3
		.amdhsa_float_denorm_mode_16_64 3
		.amdhsa_fp16_overflow 0
		.amdhsa_memory_ordered 1
		.amdhsa_forward_progress 1
		.amdhsa_inst_pref_size 5
		.amdhsa_round_robin_scheduling 0
		.amdhsa_exception_fp_ieee_invalid_op 0
		.amdhsa_exception_fp_denorm_src 0
		.amdhsa_exception_fp_ieee_div_zero 0
		.amdhsa_exception_fp_ieee_overflow 0
		.amdhsa_exception_fp_ieee_underflow 0
		.amdhsa_exception_fp_ieee_inexact 0
		.amdhsa_exception_int_div_zero 0
	.end_amdhsa_kernel
	.section	.text._ZN9rocsparseL32bsr2csr_block_per_row_2_7_kernelILj256ELj2E21rocsparse_complex_numIfEllEEv20rocsparse_direction_T3_S4_21rocsparse_index_base_PKT1_PKT2_PKS4_S4_S5_PS6_PS9_PS4_,"axG",@progbits,_ZN9rocsparseL32bsr2csr_block_per_row_2_7_kernelILj256ELj2E21rocsparse_complex_numIfEllEEv20rocsparse_direction_T3_S4_21rocsparse_index_base_PKT1_PKT2_PKS4_S4_S5_PS6_PS9_PS4_,comdat
.Lfunc_end196:
	.size	_ZN9rocsparseL32bsr2csr_block_per_row_2_7_kernelILj256ELj2E21rocsparse_complex_numIfEllEEv20rocsparse_direction_T3_S4_21rocsparse_index_base_PKT1_PKT2_PKS4_S4_S5_PS6_PS9_PS4_, .Lfunc_end196-_ZN9rocsparseL32bsr2csr_block_per_row_2_7_kernelILj256ELj2E21rocsparse_complex_numIfEllEEv20rocsparse_direction_T3_S4_21rocsparse_index_base_PKT1_PKT2_PKS4_S4_S5_PS6_PS9_PS4_
                                        ; -- End function
	.set _ZN9rocsparseL32bsr2csr_block_per_row_2_7_kernelILj256ELj2E21rocsparse_complex_numIfEllEEv20rocsparse_direction_T3_S4_21rocsparse_index_base_PKT1_PKT2_PKS4_S4_S5_PS6_PS9_PS4_.num_vgpr, 26
	.set _ZN9rocsparseL32bsr2csr_block_per_row_2_7_kernelILj256ELj2E21rocsparse_complex_numIfEllEEv20rocsparse_direction_T3_S4_21rocsparse_index_base_PKT1_PKT2_PKS4_S4_S5_PS6_PS9_PS4_.num_agpr, 0
	.set _ZN9rocsparseL32bsr2csr_block_per_row_2_7_kernelILj256ELj2E21rocsparse_complex_numIfEllEEv20rocsparse_direction_T3_S4_21rocsparse_index_base_PKT1_PKT2_PKS4_S4_S5_PS6_PS9_PS4_.numbered_sgpr, 18
	.set _ZN9rocsparseL32bsr2csr_block_per_row_2_7_kernelILj256ELj2E21rocsparse_complex_numIfEllEEv20rocsparse_direction_T3_S4_21rocsparse_index_base_PKT1_PKT2_PKS4_S4_S5_PS6_PS9_PS4_.num_named_barrier, 0
	.set _ZN9rocsparseL32bsr2csr_block_per_row_2_7_kernelILj256ELj2E21rocsparse_complex_numIfEllEEv20rocsparse_direction_T3_S4_21rocsparse_index_base_PKT1_PKT2_PKS4_S4_S5_PS6_PS9_PS4_.private_seg_size, 0
	.set _ZN9rocsparseL32bsr2csr_block_per_row_2_7_kernelILj256ELj2E21rocsparse_complex_numIfEllEEv20rocsparse_direction_T3_S4_21rocsparse_index_base_PKT1_PKT2_PKS4_S4_S5_PS6_PS9_PS4_.uses_vcc, 1
	.set _ZN9rocsparseL32bsr2csr_block_per_row_2_7_kernelILj256ELj2E21rocsparse_complex_numIfEllEEv20rocsparse_direction_T3_S4_21rocsparse_index_base_PKT1_PKT2_PKS4_S4_S5_PS6_PS9_PS4_.uses_flat_scratch, 0
	.set _ZN9rocsparseL32bsr2csr_block_per_row_2_7_kernelILj256ELj2E21rocsparse_complex_numIfEllEEv20rocsparse_direction_T3_S4_21rocsparse_index_base_PKT1_PKT2_PKS4_S4_S5_PS6_PS9_PS4_.has_dyn_sized_stack, 0
	.set _ZN9rocsparseL32bsr2csr_block_per_row_2_7_kernelILj256ELj2E21rocsparse_complex_numIfEllEEv20rocsparse_direction_T3_S4_21rocsparse_index_base_PKT1_PKT2_PKS4_S4_S5_PS6_PS9_PS4_.has_recursion, 0
	.set _ZN9rocsparseL32bsr2csr_block_per_row_2_7_kernelILj256ELj2E21rocsparse_complex_numIfEllEEv20rocsparse_direction_T3_S4_21rocsparse_index_base_PKT1_PKT2_PKS4_S4_S5_PS6_PS9_PS4_.has_indirect_call, 0
	.section	.AMDGPU.csdata,"",@progbits
; Kernel info:
; codeLenInByte = 624
; TotalNumSgprs: 20
; NumVgprs: 26
; ScratchSize: 0
; MemoryBound: 0
; FloatMode: 240
; IeeeMode: 1
; LDSByteSize: 0 bytes/workgroup (compile time only)
; SGPRBlocks: 0
; VGPRBlocks: 1
; NumSGPRsForWavesPerEU: 20
; NumVGPRsForWavesPerEU: 26
; NamedBarCnt: 0
; Occupancy: 16
; WaveLimiterHint : 0
; COMPUTE_PGM_RSRC2:SCRATCH_EN: 0
; COMPUTE_PGM_RSRC2:USER_SGPR: 2
; COMPUTE_PGM_RSRC2:TRAP_HANDLER: 0
; COMPUTE_PGM_RSRC2:TGID_X_EN: 1
; COMPUTE_PGM_RSRC2:TGID_Y_EN: 0
; COMPUTE_PGM_RSRC2:TGID_Z_EN: 0
; COMPUTE_PGM_RSRC2:TIDIG_COMP_CNT: 0
	.section	.text._ZN9rocsparseL32bsr2csr_block_per_row_2_7_kernelILj256ELj3E21rocsparse_complex_numIfEllEEv20rocsparse_direction_T3_S4_21rocsparse_index_base_PKT1_PKT2_PKS4_S4_S5_PS6_PS9_PS4_,"axG",@progbits,_ZN9rocsparseL32bsr2csr_block_per_row_2_7_kernelILj256ELj3E21rocsparse_complex_numIfEllEEv20rocsparse_direction_T3_S4_21rocsparse_index_base_PKT1_PKT2_PKS4_S4_S5_PS6_PS9_PS4_,comdat
	.globl	_ZN9rocsparseL32bsr2csr_block_per_row_2_7_kernelILj256ELj3E21rocsparse_complex_numIfEllEEv20rocsparse_direction_T3_S4_21rocsparse_index_base_PKT1_PKT2_PKS4_S4_S5_PS6_PS9_PS4_ ; -- Begin function _ZN9rocsparseL32bsr2csr_block_per_row_2_7_kernelILj256ELj3E21rocsparse_complex_numIfEllEEv20rocsparse_direction_T3_S4_21rocsparse_index_base_PKT1_PKT2_PKS4_S4_S5_PS6_PS9_PS4_
	.p2align	8
	.type	_ZN9rocsparseL32bsr2csr_block_per_row_2_7_kernelILj256ELj3E21rocsparse_complex_numIfEllEEv20rocsparse_direction_T3_S4_21rocsparse_index_base_PKT1_PKT2_PKS4_S4_S5_PS6_PS9_PS4_,@function
_ZN9rocsparseL32bsr2csr_block_per_row_2_7_kernelILj256ELj3E21rocsparse_complex_numIfEllEEv20rocsparse_direction_T3_S4_21rocsparse_index_base_PKT1_PKT2_PKS4_S4_S5_PS6_PS9_PS4_: ; @_ZN9rocsparseL32bsr2csr_block_per_row_2_7_kernelILj256ELj3E21rocsparse_complex_numIfEllEEv20rocsparse_direction_T3_S4_21rocsparse_index_base_PKT1_PKT2_PKS4_S4_S5_PS6_PS9_PS4_
; %bb.0:
	s_clause 0x1
	s_load_b32 s2, s[0:1], 0x40
	s_load_b64 s[10:11], s[0:1], 0x50
	s_bfe_u32 s3, ttmp6, 0x4000c
	s_and_b32 s4, ttmp6, 15
	s_add_co_i32 s3, s3, 1
	s_getreg_b32 s5, hwreg(HW_REG_IB_STS2, 6, 4)
	s_mul_i32 s3, ttmp9, s3
	s_mov_b32 s13, 0
	s_add_co_i32 s4, s4, s3
	s_cmp_eq_u32 s5, 0
	s_mov_b32 s3, exec_lo
	s_cselect_b32 s12, ttmp9, s4
	s_delay_alu instid0(SALU_CYCLE_1) | instskip(NEXT) | instid1(VALU_DEP_1)
	v_or_b32_e32 v1, s12, v0
	v_cmpx_eq_u32_e32 0, v1
	s_cbranch_execz .LBB197_2
; %bb.1:
	s_wait_kmcnt 0x0
	v_dual_mov_b32 v2, s2 :: v_dual_mov_b32 v3, 0
	global_store_b64 v3, v[2:3], s[10:11]
.LBB197_2:
	s_wait_xcnt 0x0
	s_or_b32 exec_lo, exec_lo, s3
	v_and_b32_e32 v4, 3, v0
	s_mov_b32 s3, exec_lo
	s_delay_alu instid0(VALU_DEP_1)
	v_cmpx_ne_u32_e32 3, v4
	s_cbranch_execz .LBB197_6
; %bb.3:
	s_clause 0x1
	s_load_b64 s[4:5], s[0:1], 0x28
	s_load_b32 s8, s[0:1], 0x18
	s_lshl_b64 s[6:7], s[12:13], 3
	s_mov_b32 s9, 0
	v_dual_mov_b32 v5, 0 :: v_dual_lshrrev_b32 v2, 2, v0
	s_mov_b32 s3, s9
	s_mul_u64 s[12:13], s[12:13], 24
	s_delay_alu instid0(VALU_DEP_1)
	v_mov_b32_e32 v3, v5
	s_wait_kmcnt 0x0
	s_add_nc_u64 s[10:11], s[10:11], s[12:13]
	s_add_nc_u64 s[14:15], s[4:5], s[6:7]
	s_load_b128 s[4:7], s[14:15], 0x0
	s_wait_kmcnt 0x0
	s_sub_nc_u64 s[14:15], s[4:5], s[8:9]
	s_sub_nc_u64 s[6:7], s[6:7], s[8:9]
	v_add_nc_u64_e32 v[0:1], s[14:15], v[2:3]
	s_sub_nc_u64 s[16:17], s[6:7], s[14:15]
	s_mul_u64 s[14:15], s[14:15], 9
	s_mul_u64 s[16:17], s[16:17], 3
	s_delay_alu instid0(SALU_CYCLE_1) | instskip(SKIP_1) | instid1(VALU_DEP_2)
	v_mul_u64_e32 v[6:7], s[16:17], v[4:5]
	s_add_nc_u64 s[16:17], s[16:17], s[2:3]
	v_cmp_gt_i64_e32 vcc_lo, s[6:7], v[0:1]
	s_add_nc_u64 s[14:15], s[16:17], s[14:15]
	s_delay_alu instid0(VALU_DEP_2) | instid1(SALU_CYCLE_1)
	v_add_nc_u64_e32 v[8:9], s[14:15], v[6:7]
	global_store_b64 v4, v[8:9], s[10:11] offset:8 scale_offset
	s_wait_xcnt 0x0
	s_and_b32 exec_lo, exec_lo, vcc_lo
	s_cbranch_execz .LBB197_6
; %bb.4:
	v_mad_nc_u64_u32 v[6:7], s4, 9, v[6:7]
	s_clause 0x3
	s_load_b64 s[10:11], s[0:1], 0x30
	s_load_b64 s[12:13], s[0:1], 0x48
	s_load_b32 s16, s[0:1], 0x0
	s_load_b64 s[14:15], s[0:1], 0x58
	s_delay_alu instid0(VALU_DEP_1)
	v_mad_u32 v7, s5, 9, v7
	s_load_b64 s[4:5], s[0:1], 0x20
	s_wait_xcnt 0x0
	s_mul_u64 s[0:1], s[8:9], 9
	s_wait_kmcnt 0x0
	s_cmp_eq_u32 s16, 0
	s_cselect_b32 vcc_lo, -1, 0
	s_delay_alu instid0(VALU_DEP_1) | instskip(SKIP_1) | instid1(VALU_DEP_2)
	v_mad_nc_u64_u32 v[6:7], v2, 3, v[6:7]
	v_mad_nc_u64_u32 v[2:3], 0x48, v0, s[4:5]
	v_sub_nc_u64_e64 v[8:9], v[6:7], s[0:1]
	v_dual_mov_b32 v7, v5 :: v_dual_lshlrev_b32 v6, 3, v4
	v_mul_hi_u32_u24_e32 v5, 24, v4
	v_mul_u32_u24_e32 v4, 24, v4
	s_mov_b32 s1, s9
	s_delay_alu instid0(VALU_DEP_4) | instskip(SKIP_2) | instid1(VALU_DEP_3)
	v_lshl_add_u64 v[12:13], v[8:9], 3, 8
	v_lshl_add_u64 v[8:9], v[0:1], 3, s[10:11]
	v_mad_u32 v3, 0x48, v1, v3
	v_add_nc_u64_e32 v[10:11], s[12:13], v[12:13]
	v_add_nc_u64_e32 v[12:13], s[14:15], v[12:13]
.LBB197_5:                              ; =>This Inner Loop Header: Depth=1
	global_load_b64 v[18:19], v[8:9], off
	v_add_nc_u64_e32 v[14:15], v[2:3], v[6:7]
	v_add_nc_u64_e32 v[16:17], v[2:3], v[4:5]
	;; [unrolled: 1-line block ×3, first 2 shown]
	s_wait_xcnt 0x0
	v_add_nc_u64_e32 v[8:9], 0x200, v[8:9]
	v_add_nc_u64_e32 v[2:3], 0x1200, v[2:3]
	v_add_nc_u64_e32 v[24:25], 24, v[14:15]
	v_add_nc_u64_e32 v[22:23], 8, v[16:17]
	v_dual_cndmask_b32 v21, v15, v17 :: v_dual_cndmask_b32 v20, v14, v16
	v_add_nc_u64_e32 v[16:17], 16, v[16:17]
	v_add_nc_u64_e32 v[26:27], 48, v[14:15]
	v_cmp_le_i64_e64 s0, s[6:7], v[0:1]
	global_load_b64 v[14:15], v[20:21], off
	s_wait_xcnt 0x0
	v_dual_cndmask_b32 v21, v25, v23 :: v_dual_cndmask_b32 v20, v24, v22
	v_dual_cndmask_b32 v23, v27, v17 :: v_dual_cndmask_b32 v22, v26, v16
	global_load_b64 v[16:17], v[20:21], off
	global_load_b64 v[24:25], v[22:23], off
	s_or_b32 s1, s0, s1
	s_wait_loadcnt 0x1
	global_store_b128 v[10:11], v[14:17], off offset:-8
	s_wait_loadcnt 0x0
	global_store_b64 v[10:11], v[24:25], off offset:8
	s_wait_xcnt 0x3
	v_sub_nc_u64_e64 v[20:21], v[18:19], s[8:9]
	s_wait_xcnt 0x0
	v_add_nc_u64_e32 v[10:11], 0x600, v[10:11]
	s_delay_alu instid0(VALU_DEP_2) | instskip(NEXT) | instid1(VALU_DEP_1)
	v_mad_nc_u64_u32 v[18:19], v20, 3, s[2:3]
	v_mad_u32 v19, v21, 3, v19
	s_delay_alu instid0(VALU_DEP_1)
	v_add_nc_u64_e32 v[20:21], 1, v[18:19]
	v_add_nc_u64_e32 v[22:23], 2, v[18:19]
	s_clause 0x1
	global_store_b128 v[12:13], v[18:21], off offset:-8
	global_store_b64 v[12:13], v[22:23], off offset:8
	s_wait_xcnt 0x0
	v_add_nc_u64_e32 v[12:13], 0x600, v[12:13]
	s_and_not1_b32 exec_lo, exec_lo, s1
	s_cbranch_execnz .LBB197_5
.LBB197_6:
	s_endpgm
	.section	.rodata,"a",@progbits
	.p2align	6, 0x0
	.amdhsa_kernel _ZN9rocsparseL32bsr2csr_block_per_row_2_7_kernelILj256ELj3E21rocsparse_complex_numIfEllEEv20rocsparse_direction_T3_S4_21rocsparse_index_base_PKT1_PKT2_PKS4_S4_S5_PS6_PS9_PS4_
		.amdhsa_group_segment_fixed_size 0
		.amdhsa_private_segment_fixed_size 0
		.amdhsa_kernarg_size 96
		.amdhsa_user_sgpr_count 2
		.amdhsa_user_sgpr_dispatch_ptr 0
		.amdhsa_user_sgpr_queue_ptr 0
		.amdhsa_user_sgpr_kernarg_segment_ptr 1
		.amdhsa_user_sgpr_dispatch_id 0
		.amdhsa_user_sgpr_kernarg_preload_length 0
		.amdhsa_user_sgpr_kernarg_preload_offset 0
		.amdhsa_user_sgpr_private_segment_size 0
		.amdhsa_wavefront_size32 1
		.amdhsa_uses_dynamic_stack 0
		.amdhsa_enable_private_segment 0
		.amdhsa_system_sgpr_workgroup_id_x 1
		.amdhsa_system_sgpr_workgroup_id_y 0
		.amdhsa_system_sgpr_workgroup_id_z 0
		.amdhsa_system_sgpr_workgroup_info 0
		.amdhsa_system_vgpr_workitem_id 0
		.amdhsa_next_free_vgpr 28
		.amdhsa_next_free_sgpr 18
		.amdhsa_named_barrier_count 0
		.amdhsa_reserve_vcc 1
		.amdhsa_float_round_mode_32 0
		.amdhsa_float_round_mode_16_64 0
		.amdhsa_float_denorm_mode_32 3
		.amdhsa_float_denorm_mode_16_64 3
		.amdhsa_fp16_overflow 0
		.amdhsa_memory_ordered 1
		.amdhsa_forward_progress 1
		.amdhsa_inst_pref_size 6
		.amdhsa_round_robin_scheduling 0
		.amdhsa_exception_fp_ieee_invalid_op 0
		.amdhsa_exception_fp_denorm_src 0
		.amdhsa_exception_fp_ieee_div_zero 0
		.amdhsa_exception_fp_ieee_overflow 0
		.amdhsa_exception_fp_ieee_underflow 0
		.amdhsa_exception_fp_ieee_inexact 0
		.amdhsa_exception_int_div_zero 0
	.end_amdhsa_kernel
	.section	.text._ZN9rocsparseL32bsr2csr_block_per_row_2_7_kernelILj256ELj3E21rocsparse_complex_numIfEllEEv20rocsparse_direction_T3_S4_21rocsparse_index_base_PKT1_PKT2_PKS4_S4_S5_PS6_PS9_PS4_,"axG",@progbits,_ZN9rocsparseL32bsr2csr_block_per_row_2_7_kernelILj256ELj3E21rocsparse_complex_numIfEllEEv20rocsparse_direction_T3_S4_21rocsparse_index_base_PKT1_PKT2_PKS4_S4_S5_PS6_PS9_PS4_,comdat
.Lfunc_end197:
	.size	_ZN9rocsparseL32bsr2csr_block_per_row_2_7_kernelILj256ELj3E21rocsparse_complex_numIfEllEEv20rocsparse_direction_T3_S4_21rocsparse_index_base_PKT1_PKT2_PKS4_S4_S5_PS6_PS9_PS4_, .Lfunc_end197-_ZN9rocsparseL32bsr2csr_block_per_row_2_7_kernelILj256ELj3E21rocsparse_complex_numIfEllEEv20rocsparse_direction_T3_S4_21rocsparse_index_base_PKT1_PKT2_PKS4_S4_S5_PS6_PS9_PS4_
                                        ; -- End function
	.set _ZN9rocsparseL32bsr2csr_block_per_row_2_7_kernelILj256ELj3E21rocsparse_complex_numIfEllEEv20rocsparse_direction_T3_S4_21rocsparse_index_base_PKT1_PKT2_PKS4_S4_S5_PS6_PS9_PS4_.num_vgpr, 28
	.set _ZN9rocsparseL32bsr2csr_block_per_row_2_7_kernelILj256ELj3E21rocsparse_complex_numIfEllEEv20rocsparse_direction_T3_S4_21rocsparse_index_base_PKT1_PKT2_PKS4_S4_S5_PS6_PS9_PS4_.num_agpr, 0
	.set _ZN9rocsparseL32bsr2csr_block_per_row_2_7_kernelILj256ELj3E21rocsparse_complex_numIfEllEEv20rocsparse_direction_T3_S4_21rocsparse_index_base_PKT1_PKT2_PKS4_S4_S5_PS6_PS9_PS4_.numbered_sgpr, 18
	.set _ZN9rocsparseL32bsr2csr_block_per_row_2_7_kernelILj256ELj3E21rocsparse_complex_numIfEllEEv20rocsparse_direction_T3_S4_21rocsparse_index_base_PKT1_PKT2_PKS4_S4_S5_PS6_PS9_PS4_.num_named_barrier, 0
	.set _ZN9rocsparseL32bsr2csr_block_per_row_2_7_kernelILj256ELj3E21rocsparse_complex_numIfEllEEv20rocsparse_direction_T3_S4_21rocsparse_index_base_PKT1_PKT2_PKS4_S4_S5_PS6_PS9_PS4_.private_seg_size, 0
	.set _ZN9rocsparseL32bsr2csr_block_per_row_2_7_kernelILj256ELj3E21rocsparse_complex_numIfEllEEv20rocsparse_direction_T3_S4_21rocsparse_index_base_PKT1_PKT2_PKS4_S4_S5_PS6_PS9_PS4_.uses_vcc, 1
	.set _ZN9rocsparseL32bsr2csr_block_per_row_2_7_kernelILj256ELj3E21rocsparse_complex_numIfEllEEv20rocsparse_direction_T3_S4_21rocsparse_index_base_PKT1_PKT2_PKS4_S4_S5_PS6_PS9_PS4_.uses_flat_scratch, 0
	.set _ZN9rocsparseL32bsr2csr_block_per_row_2_7_kernelILj256ELj3E21rocsparse_complex_numIfEllEEv20rocsparse_direction_T3_S4_21rocsparse_index_base_PKT1_PKT2_PKS4_S4_S5_PS6_PS9_PS4_.has_dyn_sized_stack, 0
	.set _ZN9rocsparseL32bsr2csr_block_per_row_2_7_kernelILj256ELj3E21rocsparse_complex_numIfEllEEv20rocsparse_direction_T3_S4_21rocsparse_index_base_PKT1_PKT2_PKS4_S4_S5_PS6_PS9_PS4_.has_recursion, 0
	.set _ZN9rocsparseL32bsr2csr_block_per_row_2_7_kernelILj256ELj3E21rocsparse_complex_numIfEllEEv20rocsparse_direction_T3_S4_21rocsparse_index_base_PKT1_PKT2_PKS4_S4_S5_PS6_PS9_PS4_.has_indirect_call, 0
	.section	.AMDGPU.csdata,"",@progbits
; Kernel info:
; codeLenInByte = 736
; TotalNumSgprs: 20
; NumVgprs: 28
; ScratchSize: 0
; MemoryBound: 0
; FloatMode: 240
; IeeeMode: 1
; LDSByteSize: 0 bytes/workgroup (compile time only)
; SGPRBlocks: 0
; VGPRBlocks: 1
; NumSGPRsForWavesPerEU: 20
; NumVGPRsForWavesPerEU: 28
; NamedBarCnt: 0
; Occupancy: 16
; WaveLimiterHint : 0
; COMPUTE_PGM_RSRC2:SCRATCH_EN: 0
; COMPUTE_PGM_RSRC2:USER_SGPR: 2
; COMPUTE_PGM_RSRC2:TRAP_HANDLER: 0
; COMPUTE_PGM_RSRC2:TGID_X_EN: 1
; COMPUTE_PGM_RSRC2:TGID_Y_EN: 0
; COMPUTE_PGM_RSRC2:TGID_Z_EN: 0
; COMPUTE_PGM_RSRC2:TIDIG_COMP_CNT: 0
	.section	.text._ZN9rocsparseL32bsr2csr_block_per_row_2_7_kernelILj256ELj4E21rocsparse_complex_numIfEllEEv20rocsparse_direction_T3_S4_21rocsparse_index_base_PKT1_PKT2_PKS4_S4_S5_PS6_PS9_PS4_,"axG",@progbits,_ZN9rocsparseL32bsr2csr_block_per_row_2_7_kernelILj256ELj4E21rocsparse_complex_numIfEllEEv20rocsparse_direction_T3_S4_21rocsparse_index_base_PKT1_PKT2_PKS4_S4_S5_PS6_PS9_PS4_,comdat
	.globl	_ZN9rocsparseL32bsr2csr_block_per_row_2_7_kernelILj256ELj4E21rocsparse_complex_numIfEllEEv20rocsparse_direction_T3_S4_21rocsparse_index_base_PKT1_PKT2_PKS4_S4_S5_PS6_PS9_PS4_ ; -- Begin function _ZN9rocsparseL32bsr2csr_block_per_row_2_7_kernelILj256ELj4E21rocsparse_complex_numIfEllEEv20rocsparse_direction_T3_S4_21rocsparse_index_base_PKT1_PKT2_PKS4_S4_S5_PS6_PS9_PS4_
	.p2align	8
	.type	_ZN9rocsparseL32bsr2csr_block_per_row_2_7_kernelILj256ELj4E21rocsparse_complex_numIfEllEEv20rocsparse_direction_T3_S4_21rocsparse_index_base_PKT1_PKT2_PKS4_S4_S5_PS6_PS9_PS4_,@function
_ZN9rocsparseL32bsr2csr_block_per_row_2_7_kernelILj256ELj4E21rocsparse_complex_numIfEllEEv20rocsparse_direction_T3_S4_21rocsparse_index_base_PKT1_PKT2_PKS4_S4_S5_PS6_PS9_PS4_: ; @_ZN9rocsparseL32bsr2csr_block_per_row_2_7_kernelILj256ELj4E21rocsparse_complex_numIfEllEEv20rocsparse_direction_T3_S4_21rocsparse_index_base_PKT1_PKT2_PKS4_S4_S5_PS6_PS9_PS4_
; %bb.0:
	s_load_b64 s[4:5], s[0:1], 0x28
	s_bfe_u32 s2, ttmp6, 0x4000c
	s_and_b32 s3, ttmp6, 15
	s_add_co_i32 s2, s2, 1
	s_getreg_b32 s6, hwreg(HW_REG_IB_STS2, 6, 4)
	s_mul_i32 s2, ttmp9, s2
	s_clause 0x1
	s_load_b32 s8, s[0:1], 0x40
	s_load_b64 s[12:13], s[0:1], 0x50
	s_add_co_i32 s2, s3, s2
	s_cmp_eq_u32 s6, 0
	s_mov_b32 s3, 0
	s_cselect_b32 s10, ttmp9, s2
	s_mov_b32 s11, s3
	v_or_b32_e32 v1, s10, v0
	s_lshl_b64 s[6:7], s[10:11], 3
	s_mov_b32 s9, s3
	s_mov_b32 s2, exec_lo
	s_wait_kmcnt 0x0
	s_add_nc_u64 s[14:15], s[4:5], s[6:7]
	s_load_b128 s[4:7], s[14:15], 0x0
	v_cmpx_eq_u32_e32 0, v1
	s_cbranch_execz .LBB198_2
; %bb.1:
	v_mov_b64_e32 v[2:3], s[8:9]
	v_mov_b32_e32 v1, 0
	global_store_b64 v1, v[2:3], s[12:13]
.LBB198_2:
	s_wait_xcnt 0x0
	s_or_b32 exec_lo, exec_lo, s2
	s_load_b32 s2, s[0:1], 0x18
	v_dual_mov_b32 v5, 0 :: v_dual_bitop2_b32 v4, 3, v0 bitop3:0x40
	v_lshrrev_b32_e32 v6, 2, v0
	s_lshl_b64 s[10:11], s[10:11], 5
	s_delay_alu instid0(SALU_CYCLE_1) | instskip(NEXT) | instid1(VALU_DEP_2)
	s_add_nc_u64 s[10:11], s[12:13], s[10:11]
	v_mov_b32_e32 v7, v5
	s_wait_kmcnt 0x0
	s_sub_nc_u64 s[14:15], s[4:5], s[2:3]
	s_sub_nc_u64 s[6:7], s[6:7], s[2:3]
	s_delay_alu instid0(VALU_DEP_1) | instskip(SKIP_3) | instid1(SALU_CYCLE_1)
	v_add_nc_u64_e32 v[0:1], s[14:15], v[6:7]
	s_sub_nc_u64 s[16:17], s[6:7], s[14:15]
	s_lshl_b64 s[14:15], s[14:15], 4
	s_lshl_b64 s[16:17], s[16:17], 2
	v_mul_u64_e32 v[8:9], s[16:17], v[4:5]
	s_add_nc_u64 s[16:17], s[16:17], s[8:9]
	s_delay_alu instid0(SALU_CYCLE_1)
	s_add_nc_u64 s[14:15], s[16:17], s[14:15]
	s_delay_alu instid0(VALU_DEP_1) | instid1(SALU_CYCLE_1)
	v_add_nc_u64_e32 v[2:3], s[14:15], v[8:9]
	global_store_b64 v4, v[2:3], s[10:11] offset:8 scale_offset
	s_wait_xcnt 0x0
	s_mov_b32 s10, exec_lo
	v_cmpx_gt_i64_e64 s[6:7], v[0:1]
	s_cbranch_execz .LBB198_5
; %bb.3:
	s_clause 0x2
	s_load_b64 s[10:11], s[0:1], 0x30
	s_load_b64 s[12:13], s[0:1], 0x48
	s_load_b32 s16, s[0:1], 0x0
	v_lshlrev_b64_e32 v[10:11], 7, v[0:1]
	v_mul_hi_u32_u24_e32 v3, 24, v4
	v_mul_u32_u24_e32 v2, 24, v4
	v_lshl_add_u64 v[8:9], s[4:5], 4, v[8:9]
	s_clause 0x1
	s_load_b64 s[4:5], s[0:1], 0x20
	s_load_b64 s[14:15], s[0:1], 0x58
	v_lshl_or_b32 v10, v4, 3, v10
	v_lshlrev_b32_e32 v4, 2, v6
	s_delay_alu instid0(VALU_DEP_1)
	v_add_nc_u64_e32 v[4:5], v[8:9], v[4:5]
	s_wait_kmcnt 0x0
	s_cmp_eq_u32 s16, 0
	s_cselect_b32 vcc_lo, -1, 0
	s_lshl_b64 s[0:1], s[2:3], 4
	s_delay_alu instid0(VALU_DEP_1) | instid1(SALU_CYCLE_1)
	v_sub_nc_u64_e64 v[4:5], v[4:5], s[0:1]
	s_mov_b32 s1, 0
	s_delay_alu instid0(VALU_DEP_1) | instskip(SKIP_2) | instid1(VALU_DEP_3)
	v_lshl_add_u64 v[8:9], v[4:5], 3, 16
	v_add_nc_u64_e32 v[4:5], s[4:5], v[10:11]
	v_lshl_add_u64 v[10:11], v[0:1], 3, s[10:11]
	v_add_nc_u64_e32 v[6:7], s[12:13], v[8:9]
	v_add_nc_u64_e32 v[8:9], s[14:15], v[8:9]
.LBB198_4:                              ; =>This Inner Loop Header: Depth=1
	s_delay_alu instid0(VALU_DEP_4)
	v_add_nc_u64_e32 v[12:13], v[4:5], v[2:3]
	global_load_b64 v[20:21], v[10:11], off
	v_add_nc_u64_e32 v[14:15], 32, v[4:5]
	v_add_nc_u64_e32 v[16:17], 64, v[4:5]
	;; [unrolled: 1-line block ×4, first 2 shown]
	s_wait_xcnt 0x0
	v_add_nc_u64_e32 v[10:11], 0x200, v[10:11]
	v_add_nc_u64_e32 v[24:25], 8, v[12:13]
	;; [unrolled: 1-line block ×3, first 2 shown]
	v_dual_cndmask_b32 v23, v5, v13 :: v_dual_cndmask_b32 v22, v4, v12
	v_add_nc_u64_e32 v[28:29], 24, v[12:13]
	v_cmp_le_i64_e64 s0, s[6:7], v[0:1]
	v_add_nc_u64_e32 v[4:5], 0x2000, v[4:5]
	global_load_b64 v[12:13], v[22:23], off
	s_wait_xcnt 0x0
	v_dual_cndmask_b32 v23, v15, v25 :: v_dual_cndmask_b32 v22, v14, v24
	v_dual_cndmask_b32 v25, v17, v27 :: v_dual_cndmask_b32 v24, v16, v26
	;; [unrolled: 1-line block ×3, first 2 shown]
	global_load_b64 v[14:15], v[22:23], off
	global_load_b64 v[16:17], v[24:25], off
	global_load_b64 v[18:19], v[26:27], off
	s_or_b32 s1, s0, s1
	s_wait_loadcnt 0x4
	v_sub_nc_u64_e64 v[20:21], v[20:21], s[2:3]
	s_delay_alu instid0(VALU_DEP_1) | instskip(SKIP_1) | instid1(VALU_DEP_1)
	v_lshl_add_u64 v[20:21], v[20:21], 2, s[8:9]
	s_wait_xcnt 0x2
	v_add_nc_u64_e32 v[22:23], 1, v[20:21]
	s_wait_xcnt 0x1
	v_add_nc_u64_e32 v[24:25], 2, v[20:21]
	;; [unrolled: 2-line block ×3, first 2 shown]
	s_clause 0x1
	global_store_b128 v[8:9], v[20:23], off offset:-16
	global_store_b128 v[8:9], v[24:27], off
	s_wait_loadcnt 0x2
	global_store_b128 v[6:7], v[12:15], off offset:-16
	s_wait_loadcnt 0x0
	global_store_b128 v[6:7], v[16:19], off
	s_wait_xcnt 0x0
	v_add_nc_u64_e32 v[6:7], 0x800, v[6:7]
	v_add_nc_u64_e32 v[8:9], 0x800, v[8:9]
	s_and_not1_b32 exec_lo, exec_lo, s1
	s_cbranch_execnz .LBB198_4
.LBB198_5:
	s_endpgm
	.section	.rodata,"a",@progbits
	.p2align	6, 0x0
	.amdhsa_kernel _ZN9rocsparseL32bsr2csr_block_per_row_2_7_kernelILj256ELj4E21rocsparse_complex_numIfEllEEv20rocsparse_direction_T3_S4_21rocsparse_index_base_PKT1_PKT2_PKS4_S4_S5_PS6_PS9_PS4_
		.amdhsa_group_segment_fixed_size 0
		.amdhsa_private_segment_fixed_size 0
		.amdhsa_kernarg_size 96
		.amdhsa_user_sgpr_count 2
		.amdhsa_user_sgpr_dispatch_ptr 0
		.amdhsa_user_sgpr_queue_ptr 0
		.amdhsa_user_sgpr_kernarg_segment_ptr 1
		.amdhsa_user_sgpr_dispatch_id 0
		.amdhsa_user_sgpr_kernarg_preload_length 0
		.amdhsa_user_sgpr_kernarg_preload_offset 0
		.amdhsa_user_sgpr_private_segment_size 0
		.amdhsa_wavefront_size32 1
		.amdhsa_uses_dynamic_stack 0
		.amdhsa_enable_private_segment 0
		.amdhsa_system_sgpr_workgroup_id_x 1
		.amdhsa_system_sgpr_workgroup_id_y 0
		.amdhsa_system_sgpr_workgroup_id_z 0
		.amdhsa_system_sgpr_workgroup_info 0
		.amdhsa_system_vgpr_workitem_id 0
		.amdhsa_next_free_vgpr 30
		.amdhsa_next_free_sgpr 18
		.amdhsa_named_barrier_count 0
		.amdhsa_reserve_vcc 1
		.amdhsa_float_round_mode_32 0
		.amdhsa_float_round_mode_16_64 0
		.amdhsa_float_denorm_mode_32 3
		.amdhsa_float_denorm_mode_16_64 3
		.amdhsa_fp16_overflow 0
		.amdhsa_memory_ordered 1
		.amdhsa_forward_progress 1
		.amdhsa_inst_pref_size 6
		.amdhsa_round_robin_scheduling 0
		.amdhsa_exception_fp_ieee_invalid_op 0
		.amdhsa_exception_fp_denorm_src 0
		.amdhsa_exception_fp_ieee_div_zero 0
		.amdhsa_exception_fp_ieee_overflow 0
		.amdhsa_exception_fp_ieee_underflow 0
		.amdhsa_exception_fp_ieee_inexact 0
		.amdhsa_exception_int_div_zero 0
	.end_amdhsa_kernel
	.section	.text._ZN9rocsparseL32bsr2csr_block_per_row_2_7_kernelILj256ELj4E21rocsparse_complex_numIfEllEEv20rocsparse_direction_T3_S4_21rocsparse_index_base_PKT1_PKT2_PKS4_S4_S5_PS6_PS9_PS4_,"axG",@progbits,_ZN9rocsparseL32bsr2csr_block_per_row_2_7_kernelILj256ELj4E21rocsparse_complex_numIfEllEEv20rocsparse_direction_T3_S4_21rocsparse_index_base_PKT1_PKT2_PKS4_S4_S5_PS6_PS9_PS4_,comdat
.Lfunc_end198:
	.size	_ZN9rocsparseL32bsr2csr_block_per_row_2_7_kernelILj256ELj4E21rocsparse_complex_numIfEllEEv20rocsparse_direction_T3_S4_21rocsparse_index_base_PKT1_PKT2_PKS4_S4_S5_PS6_PS9_PS4_, .Lfunc_end198-_ZN9rocsparseL32bsr2csr_block_per_row_2_7_kernelILj256ELj4E21rocsparse_complex_numIfEllEEv20rocsparse_direction_T3_S4_21rocsparse_index_base_PKT1_PKT2_PKS4_S4_S5_PS6_PS9_PS4_
                                        ; -- End function
	.set _ZN9rocsparseL32bsr2csr_block_per_row_2_7_kernelILj256ELj4E21rocsparse_complex_numIfEllEEv20rocsparse_direction_T3_S4_21rocsparse_index_base_PKT1_PKT2_PKS4_S4_S5_PS6_PS9_PS4_.num_vgpr, 30
	.set _ZN9rocsparseL32bsr2csr_block_per_row_2_7_kernelILj256ELj4E21rocsparse_complex_numIfEllEEv20rocsparse_direction_T3_S4_21rocsparse_index_base_PKT1_PKT2_PKS4_S4_S5_PS6_PS9_PS4_.num_agpr, 0
	.set _ZN9rocsparseL32bsr2csr_block_per_row_2_7_kernelILj256ELj4E21rocsparse_complex_numIfEllEEv20rocsparse_direction_T3_S4_21rocsparse_index_base_PKT1_PKT2_PKS4_S4_S5_PS6_PS9_PS4_.numbered_sgpr, 18
	.set _ZN9rocsparseL32bsr2csr_block_per_row_2_7_kernelILj256ELj4E21rocsparse_complex_numIfEllEEv20rocsparse_direction_T3_S4_21rocsparse_index_base_PKT1_PKT2_PKS4_S4_S5_PS6_PS9_PS4_.num_named_barrier, 0
	.set _ZN9rocsparseL32bsr2csr_block_per_row_2_7_kernelILj256ELj4E21rocsparse_complex_numIfEllEEv20rocsparse_direction_T3_S4_21rocsparse_index_base_PKT1_PKT2_PKS4_S4_S5_PS6_PS9_PS4_.private_seg_size, 0
	.set _ZN9rocsparseL32bsr2csr_block_per_row_2_7_kernelILj256ELj4E21rocsparse_complex_numIfEllEEv20rocsparse_direction_T3_S4_21rocsparse_index_base_PKT1_PKT2_PKS4_S4_S5_PS6_PS9_PS4_.uses_vcc, 1
	.set _ZN9rocsparseL32bsr2csr_block_per_row_2_7_kernelILj256ELj4E21rocsparse_complex_numIfEllEEv20rocsparse_direction_T3_S4_21rocsparse_index_base_PKT1_PKT2_PKS4_S4_S5_PS6_PS9_PS4_.uses_flat_scratch, 0
	.set _ZN9rocsparseL32bsr2csr_block_per_row_2_7_kernelILj256ELj4E21rocsparse_complex_numIfEllEEv20rocsparse_direction_T3_S4_21rocsparse_index_base_PKT1_PKT2_PKS4_S4_S5_PS6_PS9_PS4_.has_dyn_sized_stack, 0
	.set _ZN9rocsparseL32bsr2csr_block_per_row_2_7_kernelILj256ELj4E21rocsparse_complex_numIfEllEEv20rocsparse_direction_T3_S4_21rocsparse_index_base_PKT1_PKT2_PKS4_S4_S5_PS6_PS9_PS4_.has_recursion, 0
	.set _ZN9rocsparseL32bsr2csr_block_per_row_2_7_kernelILj256ELj4E21rocsparse_complex_numIfEllEEv20rocsparse_direction_T3_S4_21rocsparse_index_base_PKT1_PKT2_PKS4_S4_S5_PS6_PS9_PS4_.has_indirect_call, 0
	.section	.AMDGPU.csdata,"",@progbits
; Kernel info:
; codeLenInByte = 728
; TotalNumSgprs: 20
; NumVgprs: 30
; ScratchSize: 0
; MemoryBound: 0
; FloatMode: 240
; IeeeMode: 1
; LDSByteSize: 0 bytes/workgroup (compile time only)
; SGPRBlocks: 0
; VGPRBlocks: 1
; NumSGPRsForWavesPerEU: 20
; NumVGPRsForWavesPerEU: 30
; NamedBarCnt: 0
; Occupancy: 16
; WaveLimiterHint : 0
; COMPUTE_PGM_RSRC2:SCRATCH_EN: 0
; COMPUTE_PGM_RSRC2:USER_SGPR: 2
; COMPUTE_PGM_RSRC2:TRAP_HANDLER: 0
; COMPUTE_PGM_RSRC2:TGID_X_EN: 1
; COMPUTE_PGM_RSRC2:TGID_Y_EN: 0
; COMPUTE_PGM_RSRC2:TGID_Z_EN: 0
; COMPUTE_PGM_RSRC2:TIDIG_COMP_CNT: 0
	.section	.text._ZN9rocsparseL32bsr2csr_block_per_row_2_7_kernelILj256ELj5E21rocsparse_complex_numIfEllEEv20rocsparse_direction_T3_S4_21rocsparse_index_base_PKT1_PKT2_PKS4_S4_S5_PS6_PS9_PS4_,"axG",@progbits,_ZN9rocsparseL32bsr2csr_block_per_row_2_7_kernelILj256ELj5E21rocsparse_complex_numIfEllEEv20rocsparse_direction_T3_S4_21rocsparse_index_base_PKT1_PKT2_PKS4_S4_S5_PS6_PS9_PS4_,comdat
	.globl	_ZN9rocsparseL32bsr2csr_block_per_row_2_7_kernelILj256ELj5E21rocsparse_complex_numIfEllEEv20rocsparse_direction_T3_S4_21rocsparse_index_base_PKT1_PKT2_PKS4_S4_S5_PS6_PS9_PS4_ ; -- Begin function _ZN9rocsparseL32bsr2csr_block_per_row_2_7_kernelILj256ELj5E21rocsparse_complex_numIfEllEEv20rocsparse_direction_T3_S4_21rocsparse_index_base_PKT1_PKT2_PKS4_S4_S5_PS6_PS9_PS4_
	.p2align	8
	.type	_ZN9rocsparseL32bsr2csr_block_per_row_2_7_kernelILj256ELj5E21rocsparse_complex_numIfEllEEv20rocsparse_direction_T3_S4_21rocsparse_index_base_PKT1_PKT2_PKS4_S4_S5_PS6_PS9_PS4_,@function
_ZN9rocsparseL32bsr2csr_block_per_row_2_7_kernelILj256ELj5E21rocsparse_complex_numIfEllEEv20rocsparse_direction_T3_S4_21rocsparse_index_base_PKT1_PKT2_PKS4_S4_S5_PS6_PS9_PS4_: ; @_ZN9rocsparseL32bsr2csr_block_per_row_2_7_kernelILj256ELj5E21rocsparse_complex_numIfEllEEv20rocsparse_direction_T3_S4_21rocsparse_index_base_PKT1_PKT2_PKS4_S4_S5_PS6_PS9_PS4_
; %bb.0:
	s_clause 0x1
	s_load_b32 s2, s[0:1], 0x40
	s_load_b64 s[10:11], s[0:1], 0x50
	s_bfe_u32 s3, ttmp6, 0x4000c
	s_and_b32 s4, ttmp6, 15
	s_add_co_i32 s3, s3, 1
	s_getreg_b32 s5, hwreg(HW_REG_IB_STS2, 6, 4)
	s_mul_i32 s3, ttmp9, s3
	s_mov_b32 s13, 0
	s_add_co_i32 s4, s4, s3
	s_cmp_eq_u32 s5, 0
	s_mov_b32 s3, exec_lo
	s_cselect_b32 s12, ttmp9, s4
	s_delay_alu instid0(SALU_CYCLE_1) | instskip(NEXT) | instid1(VALU_DEP_1)
	v_or_b32_e32 v1, s12, v0
	v_cmpx_eq_u32_e32 0, v1
	s_cbranch_execz .LBB199_2
; %bb.1:
	s_wait_kmcnt 0x0
	v_dual_mov_b32 v2, s2 :: v_dual_mov_b32 v3, 0
	global_store_b64 v3, v[2:3], s[10:11]
.LBB199_2:
	s_wait_xcnt 0x0
	s_or_b32 exec_lo, exec_lo, s3
	v_and_b32_e32 v12, 7, v0
	s_mov_b32 s3, exec_lo
	s_delay_alu instid0(VALU_DEP_1)
	v_cmpx_gt_u32_e32 5, v12
	s_cbranch_execz .LBB199_6
; %bb.3:
	s_clause 0x1
	s_load_b64 s[4:5], s[0:1], 0x28
	s_load_b32 s8, s[0:1], 0x18
	s_lshl_b64 s[6:7], s[12:13], 3
	s_mov_b32 s9, 0
	v_dual_mov_b32 v13, 0 :: v_dual_lshrrev_b32 v2, 3, v0
	s_mov_b32 s3, s9
	s_mul_u64 s[12:13], s[12:13], 40
	s_delay_alu instid0(VALU_DEP_1)
	v_mov_b32_e32 v3, v13
	s_wait_kmcnt 0x0
	s_add_nc_u64 s[10:11], s[10:11], s[12:13]
	s_add_nc_u64 s[14:15], s[4:5], s[6:7]
	s_load_b128 s[4:7], s[14:15], 0x0
	s_wait_kmcnt 0x0
	s_sub_nc_u64 s[14:15], s[4:5], s[8:9]
	s_sub_nc_u64 s[6:7], s[6:7], s[8:9]
	v_add_nc_u64_e32 v[0:1], s[14:15], v[2:3]
	s_sub_nc_u64 s[16:17], s[6:7], s[14:15]
	s_mul_u64 s[14:15], s[14:15], 25
	s_mul_u64 s[16:17], s[16:17], 5
	s_delay_alu instid0(SALU_CYCLE_1) | instskip(SKIP_1) | instid1(VALU_DEP_2)
	v_mul_u64_e32 v[4:5], s[16:17], v[12:13]
	s_add_nc_u64 s[16:17], s[16:17], s[2:3]
	v_cmp_gt_i64_e32 vcc_lo, s[6:7], v[0:1]
	s_add_nc_u64 s[14:15], s[16:17], s[14:15]
	s_delay_alu instid0(VALU_DEP_2) | instid1(SALU_CYCLE_1)
	v_add_nc_u64_e32 v[6:7], s[14:15], v[4:5]
	global_store_b64 v12, v[6:7], s[10:11] offset:8 scale_offset
	s_wait_xcnt 0x0
	s_and_b32 exec_lo, exec_lo, vcc_lo
	s_cbranch_execz .LBB199_6
; %bb.4:
	v_mad_nc_u64_u32 v[4:5], s4, 25, v[4:5]
	s_clause 0x3
	s_load_b64 s[10:11], s[0:1], 0x30
	s_load_b64 s[12:13], s[0:1], 0x48
	s_load_b32 s16, s[0:1], 0x0
	s_load_b64 s[14:15], s[0:1], 0x58
	s_delay_alu instid0(VALU_DEP_1)
	v_mad_u32 v5, s5, 25, v5
	s_load_b64 s[4:5], s[0:1], 0x20
	s_wait_xcnt 0x0
	s_mul_u64 s[0:1], s[8:9], 25
	s_wait_kmcnt 0x0
	s_cmp_eq_u32 s16, 0
	s_cselect_b32 vcc_lo, -1, 0
	s_delay_alu instid0(VALU_DEP_1) | instskip(SKIP_1) | instid1(VALU_DEP_2)
	v_mad_nc_u64_u32 v[4:5], v2, 5, v[4:5]
	v_mad_nc_u64_u32 v[2:3], 0xc8, v0, s[4:5]
	v_sub_nc_u64_e64 v[6:7], v[4:5], s[0:1]
	v_dual_mov_b32 v5, v13 :: v_dual_lshlrev_b32 v4, 3, v12
	v_mul_hi_u32_u24_e32 v13, 40, v12
	v_mul_u32_u24_e32 v12, 40, v12
	s_mov_b32 s1, s9
	s_delay_alu instid0(VALU_DEP_4) | instskip(SKIP_2) | instid1(VALU_DEP_3)
	v_lshl_add_u64 v[10:11], v[6:7], 3, 16
	v_lshl_add_u64 v[6:7], v[0:1], 3, s[10:11]
	v_mad_u32 v3, 0xc8, v1, v3
	v_add_nc_u64_e32 v[8:9], s[12:13], v[10:11]
	v_add_nc_u64_e32 v[10:11], s[14:15], v[10:11]
.LBB199_5:                              ; =>This Inner Loop Header: Depth=1
	global_load_b64 v[22:23], v[6:7], off
	v_add_nc_u64_e32 v[14:15], v[2:3], v[4:5]
	v_add_nc_u64_e32 v[16:17], v[2:3], v[12:13]
	;; [unrolled: 1-line block ×3, first 2 shown]
	s_wait_xcnt 0x0
	v_add_nc_u64_e32 v[6:7], 0x100, v[6:7]
	v_add_nc_u64_e32 v[2:3], 0x1900, v[2:3]
	;; [unrolled: 1-line block ×8, first 2 shown]
	v_dual_cndmask_b32 v19, v15, v17 :: v_dual_cndmask_b32 v18, v14, v16
	v_add_nc_u64_e32 v[16:17], 32, v[16:17]
	v_add_nc_u64_e32 v[34:35], 0xa0, v[14:15]
	v_dual_cndmask_b32 v25, v25, v21 :: v_dual_cndmask_b32 v24, v24, v20
	v_dual_cndmask_b32 v27, v29, v27 :: v_dual_cndmask_b32 v26, v28, v26
	global_load_b64 v[14:15], v[18:19], off
	v_dual_cndmask_b32 v29, v33, v31 :: v_dual_cndmask_b32 v28, v32, v30
	v_dual_cndmask_b32 v31, v35, v17 :: v_dual_cndmask_b32 v30, v34, v16
	global_load_b64 v[16:17], v[24:25], off
	global_load_b64 v[18:19], v[26:27], off
	global_load_b64 v[20:21], v[28:29], off
	global_load_b64 v[32:33], v[30:31], off
	v_cmp_le_i64_e64 s0, s[6:7], v[0:1]
	s_or_b32 s1, s0, s1
	s_wait_loadcnt 0x5
	s_wait_xcnt 0x3
	v_sub_nc_u64_e64 v[24:25], v[22:23], s[8:9]
	s_delay_alu instid0(VALU_DEP_1) | instskip(NEXT) | instid1(VALU_DEP_1)
	v_mad_nc_u64_u32 v[22:23], v24, 5, s[2:3]
	v_mad_u32 v23, v25, 5, v23
	s_wait_loadcnt 0x3
	global_store_b128 v[8:9], v[14:17], off offset:-16
	s_wait_loadcnt 0x1
	global_store_b128 v[8:9], v[18:21], off
	s_wait_loadcnt 0x0
	global_store_b64 v[8:9], v[32:33], off offset:16
	v_add_nc_u64_e32 v[24:25], 1, v[22:23]
	s_wait_xcnt 0x2
	v_add_nc_u64_e32 v[14:15], 2, v[22:23]
	v_add_nc_u64_e32 v[16:17], 3, v[22:23]
	;; [unrolled: 1-line block ×3, first 2 shown]
	s_wait_xcnt 0x0
	v_add_nc_u64_e32 v[8:9], 0x500, v[8:9]
	s_clause 0x2
	global_store_b128 v[10:11], v[22:25], off offset:-16
	global_store_b128 v[10:11], v[14:17], off
	global_store_b64 v[10:11], v[26:27], off offset:16
	s_wait_xcnt 0x0
	v_add_nc_u64_e32 v[10:11], 0x500, v[10:11]
	s_and_not1_b32 exec_lo, exec_lo, s1
	s_cbranch_execnz .LBB199_5
.LBB199_6:
	s_endpgm
	.section	.rodata,"a",@progbits
	.p2align	6, 0x0
	.amdhsa_kernel _ZN9rocsparseL32bsr2csr_block_per_row_2_7_kernelILj256ELj5E21rocsparse_complex_numIfEllEEv20rocsparse_direction_T3_S4_21rocsparse_index_base_PKT1_PKT2_PKS4_S4_S5_PS6_PS9_PS4_
		.amdhsa_group_segment_fixed_size 0
		.amdhsa_private_segment_fixed_size 0
		.amdhsa_kernarg_size 96
		.amdhsa_user_sgpr_count 2
		.amdhsa_user_sgpr_dispatch_ptr 0
		.amdhsa_user_sgpr_queue_ptr 0
		.amdhsa_user_sgpr_kernarg_segment_ptr 1
		.amdhsa_user_sgpr_dispatch_id 0
		.amdhsa_user_sgpr_kernarg_preload_length 0
		.amdhsa_user_sgpr_kernarg_preload_offset 0
		.amdhsa_user_sgpr_private_segment_size 0
		.amdhsa_wavefront_size32 1
		.amdhsa_uses_dynamic_stack 0
		.amdhsa_enable_private_segment 0
		.amdhsa_system_sgpr_workgroup_id_x 1
		.amdhsa_system_sgpr_workgroup_id_y 0
		.amdhsa_system_sgpr_workgroup_id_z 0
		.amdhsa_system_sgpr_workgroup_info 0
		.amdhsa_system_vgpr_workitem_id 0
		.amdhsa_next_free_vgpr 36
		.amdhsa_next_free_sgpr 18
		.amdhsa_named_barrier_count 0
		.amdhsa_reserve_vcc 1
		.amdhsa_float_round_mode_32 0
		.amdhsa_float_round_mode_16_64 0
		.amdhsa_float_denorm_mode_32 3
		.amdhsa_float_denorm_mode_16_64 3
		.amdhsa_fp16_overflow 0
		.amdhsa_memory_ordered 1
		.amdhsa_forward_progress 1
		.amdhsa_inst_pref_size 7
		.amdhsa_round_robin_scheduling 0
		.amdhsa_exception_fp_ieee_invalid_op 0
		.amdhsa_exception_fp_denorm_src 0
		.amdhsa_exception_fp_ieee_div_zero 0
		.amdhsa_exception_fp_ieee_overflow 0
		.amdhsa_exception_fp_ieee_underflow 0
		.amdhsa_exception_fp_ieee_inexact 0
		.amdhsa_exception_int_div_zero 0
	.end_amdhsa_kernel
	.section	.text._ZN9rocsparseL32bsr2csr_block_per_row_2_7_kernelILj256ELj5E21rocsparse_complex_numIfEllEEv20rocsparse_direction_T3_S4_21rocsparse_index_base_PKT1_PKT2_PKS4_S4_S5_PS6_PS9_PS4_,"axG",@progbits,_ZN9rocsparseL32bsr2csr_block_per_row_2_7_kernelILj256ELj5E21rocsparse_complex_numIfEllEEv20rocsparse_direction_T3_S4_21rocsparse_index_base_PKT1_PKT2_PKS4_S4_S5_PS6_PS9_PS4_,comdat
.Lfunc_end199:
	.size	_ZN9rocsparseL32bsr2csr_block_per_row_2_7_kernelILj256ELj5E21rocsparse_complex_numIfEllEEv20rocsparse_direction_T3_S4_21rocsparse_index_base_PKT1_PKT2_PKS4_S4_S5_PS6_PS9_PS4_, .Lfunc_end199-_ZN9rocsparseL32bsr2csr_block_per_row_2_7_kernelILj256ELj5E21rocsparse_complex_numIfEllEEv20rocsparse_direction_T3_S4_21rocsparse_index_base_PKT1_PKT2_PKS4_S4_S5_PS6_PS9_PS4_
                                        ; -- End function
	.set _ZN9rocsparseL32bsr2csr_block_per_row_2_7_kernelILj256ELj5E21rocsparse_complex_numIfEllEEv20rocsparse_direction_T3_S4_21rocsparse_index_base_PKT1_PKT2_PKS4_S4_S5_PS6_PS9_PS4_.num_vgpr, 36
	.set _ZN9rocsparseL32bsr2csr_block_per_row_2_7_kernelILj256ELj5E21rocsparse_complex_numIfEllEEv20rocsparse_direction_T3_S4_21rocsparse_index_base_PKT1_PKT2_PKS4_S4_S5_PS6_PS9_PS4_.num_agpr, 0
	.set _ZN9rocsparseL32bsr2csr_block_per_row_2_7_kernelILj256ELj5E21rocsparse_complex_numIfEllEEv20rocsparse_direction_T3_S4_21rocsparse_index_base_PKT1_PKT2_PKS4_S4_S5_PS6_PS9_PS4_.numbered_sgpr, 18
	.set _ZN9rocsparseL32bsr2csr_block_per_row_2_7_kernelILj256ELj5E21rocsparse_complex_numIfEllEEv20rocsparse_direction_T3_S4_21rocsparse_index_base_PKT1_PKT2_PKS4_S4_S5_PS6_PS9_PS4_.num_named_barrier, 0
	.set _ZN9rocsparseL32bsr2csr_block_per_row_2_7_kernelILj256ELj5E21rocsparse_complex_numIfEllEEv20rocsparse_direction_T3_S4_21rocsparse_index_base_PKT1_PKT2_PKS4_S4_S5_PS6_PS9_PS4_.private_seg_size, 0
	.set _ZN9rocsparseL32bsr2csr_block_per_row_2_7_kernelILj256ELj5E21rocsparse_complex_numIfEllEEv20rocsparse_direction_T3_S4_21rocsparse_index_base_PKT1_PKT2_PKS4_S4_S5_PS6_PS9_PS4_.uses_vcc, 1
	.set _ZN9rocsparseL32bsr2csr_block_per_row_2_7_kernelILj256ELj5E21rocsparse_complex_numIfEllEEv20rocsparse_direction_T3_S4_21rocsparse_index_base_PKT1_PKT2_PKS4_S4_S5_PS6_PS9_PS4_.uses_flat_scratch, 0
	.set _ZN9rocsparseL32bsr2csr_block_per_row_2_7_kernelILj256ELj5E21rocsparse_complex_numIfEllEEv20rocsparse_direction_T3_S4_21rocsparse_index_base_PKT1_PKT2_PKS4_S4_S5_PS6_PS9_PS4_.has_dyn_sized_stack, 0
	.set _ZN9rocsparseL32bsr2csr_block_per_row_2_7_kernelILj256ELj5E21rocsparse_complex_numIfEllEEv20rocsparse_direction_T3_S4_21rocsparse_index_base_PKT1_PKT2_PKS4_S4_S5_PS6_PS9_PS4_.has_recursion, 0
	.set _ZN9rocsparseL32bsr2csr_block_per_row_2_7_kernelILj256ELj5E21rocsparse_complex_numIfEllEEv20rocsparse_direction_T3_S4_21rocsparse_index_base_PKT1_PKT2_PKS4_S4_S5_PS6_PS9_PS4_.has_indirect_call, 0
	.section	.AMDGPU.csdata,"",@progbits
; Kernel info:
; codeLenInByte = 840
; TotalNumSgprs: 20
; NumVgprs: 36
; ScratchSize: 0
; MemoryBound: 0
; FloatMode: 240
; IeeeMode: 1
; LDSByteSize: 0 bytes/workgroup (compile time only)
; SGPRBlocks: 0
; VGPRBlocks: 2
; NumSGPRsForWavesPerEU: 20
; NumVGPRsForWavesPerEU: 36
; NamedBarCnt: 0
; Occupancy: 16
; WaveLimiterHint : 0
; COMPUTE_PGM_RSRC2:SCRATCH_EN: 0
; COMPUTE_PGM_RSRC2:USER_SGPR: 2
; COMPUTE_PGM_RSRC2:TRAP_HANDLER: 0
; COMPUTE_PGM_RSRC2:TGID_X_EN: 1
; COMPUTE_PGM_RSRC2:TGID_Y_EN: 0
; COMPUTE_PGM_RSRC2:TGID_Z_EN: 0
; COMPUTE_PGM_RSRC2:TIDIG_COMP_CNT: 0
	.section	.text._ZN9rocsparseL32bsr2csr_block_per_row_2_7_kernelILj256ELj6E21rocsparse_complex_numIfEllEEv20rocsparse_direction_T3_S4_21rocsparse_index_base_PKT1_PKT2_PKS4_S4_S5_PS6_PS9_PS4_,"axG",@progbits,_ZN9rocsparseL32bsr2csr_block_per_row_2_7_kernelILj256ELj6E21rocsparse_complex_numIfEllEEv20rocsparse_direction_T3_S4_21rocsparse_index_base_PKT1_PKT2_PKS4_S4_S5_PS6_PS9_PS4_,comdat
	.globl	_ZN9rocsparseL32bsr2csr_block_per_row_2_7_kernelILj256ELj6E21rocsparse_complex_numIfEllEEv20rocsparse_direction_T3_S4_21rocsparse_index_base_PKT1_PKT2_PKS4_S4_S5_PS6_PS9_PS4_ ; -- Begin function _ZN9rocsparseL32bsr2csr_block_per_row_2_7_kernelILj256ELj6E21rocsparse_complex_numIfEllEEv20rocsparse_direction_T3_S4_21rocsparse_index_base_PKT1_PKT2_PKS4_S4_S5_PS6_PS9_PS4_
	.p2align	8
	.type	_ZN9rocsparseL32bsr2csr_block_per_row_2_7_kernelILj256ELj6E21rocsparse_complex_numIfEllEEv20rocsparse_direction_T3_S4_21rocsparse_index_base_PKT1_PKT2_PKS4_S4_S5_PS6_PS9_PS4_,@function
_ZN9rocsparseL32bsr2csr_block_per_row_2_7_kernelILj256ELj6E21rocsparse_complex_numIfEllEEv20rocsparse_direction_T3_S4_21rocsparse_index_base_PKT1_PKT2_PKS4_S4_S5_PS6_PS9_PS4_: ; @_ZN9rocsparseL32bsr2csr_block_per_row_2_7_kernelILj256ELj6E21rocsparse_complex_numIfEllEEv20rocsparse_direction_T3_S4_21rocsparse_index_base_PKT1_PKT2_PKS4_S4_S5_PS6_PS9_PS4_
; %bb.0:
	s_clause 0x1
	s_load_b32 s2, s[0:1], 0x40
	s_load_b64 s[10:11], s[0:1], 0x50
	s_bfe_u32 s3, ttmp6, 0x4000c
	s_and_b32 s4, ttmp6, 15
	s_add_co_i32 s3, s3, 1
	s_getreg_b32 s5, hwreg(HW_REG_IB_STS2, 6, 4)
	s_mul_i32 s3, ttmp9, s3
	s_mov_b32 s13, 0
	s_add_co_i32 s4, s4, s3
	s_cmp_eq_u32 s5, 0
	s_mov_b32 s3, exec_lo
	s_cselect_b32 s12, ttmp9, s4
	s_delay_alu instid0(SALU_CYCLE_1) | instskip(NEXT) | instid1(VALU_DEP_1)
	v_or_b32_e32 v1, s12, v0
	v_cmpx_eq_u32_e32 0, v1
	s_cbranch_execz .LBB200_2
; %bb.1:
	s_wait_kmcnt 0x0
	v_dual_mov_b32 v2, s2 :: v_dual_mov_b32 v3, 0
	global_store_b64 v3, v[2:3], s[10:11]
.LBB200_2:
	s_wait_xcnt 0x0
	s_or_b32 exec_lo, exec_lo, s3
	v_and_b32_e32 v4, 7, v0
	s_mov_b32 s3, exec_lo
	s_delay_alu instid0(VALU_DEP_1)
	v_cmpx_gt_u32_e32 6, v4
	s_cbranch_execz .LBB200_6
; %bb.3:
	s_clause 0x1
	s_load_b64 s[4:5], s[0:1], 0x28
	s_load_b32 s8, s[0:1], 0x18
	s_lshl_b64 s[6:7], s[12:13], 3
	s_mov_b32 s9, 0
	v_dual_mov_b32 v5, 0 :: v_dual_lshrrev_b32 v6, 3, v0
	s_mov_b32 s3, s9
	s_mul_u64 s[12:13], s[12:13], 48
	s_delay_alu instid0(VALU_DEP_1)
	v_mov_b32_e32 v7, v5
	s_wait_kmcnt 0x0
	s_add_nc_u64 s[10:11], s[10:11], s[12:13]
	s_add_nc_u64 s[14:15], s[4:5], s[6:7]
	s_load_b128 s[4:7], s[14:15], 0x0
	s_wait_kmcnt 0x0
	s_sub_nc_u64 s[14:15], s[4:5], s[8:9]
	s_sub_nc_u64 s[6:7], s[6:7], s[8:9]
	v_add_nc_u64_e32 v[0:1], s[14:15], v[6:7]
	s_sub_nc_u64 s[16:17], s[6:7], s[14:15]
	s_mul_u64 s[14:15], s[14:15], 36
	s_mul_u64 s[16:17], s[16:17], 6
	s_delay_alu instid0(SALU_CYCLE_1) | instskip(SKIP_1) | instid1(VALU_DEP_2)
	v_mul_u64_e32 v[2:3], s[16:17], v[4:5]
	s_add_nc_u64 s[16:17], s[16:17], s[2:3]
	v_cmp_gt_i64_e32 vcc_lo, s[6:7], v[0:1]
	s_add_nc_u64 s[14:15], s[16:17], s[14:15]
	s_delay_alu instid0(VALU_DEP_2) | instid1(SALU_CYCLE_1)
	v_add_nc_u64_e32 v[8:9], s[14:15], v[2:3]
	global_store_b64 v4, v[8:9], s[10:11] offset:8 scale_offset
	s_wait_xcnt 0x0
	s_and_b32 exec_lo, exec_lo, vcc_lo
	s_cbranch_execz .LBB200_6
; %bb.4:
	v_mad_nc_u64_u32 v[8:9], s4, 36, v[2:3]
	v_mul_hi_u32_u24_e32 v3, 40, v4
	v_mul_u32_u24_e32 v2, 40, v4
	v_lshlrev_b32_e32 v4, 3, v4
	s_delay_alu instid0(VALU_DEP_1)
	v_mad_nc_u64_u32 v[4:5], 0x120, v0, v[4:5]
	v_mad_u32 v9, s5, 36, v9
	s_clause 0x4
	s_load_b64 s[4:5], s[0:1], 0x58
	s_load_b64 s[10:11], s[0:1], 0x20
	;; [unrolled: 1-line block ×4, first 2 shown]
	s_load_b32 s16, s[0:1], 0x0
	s_wait_xcnt 0x0
	s_mul_u64 s[0:1], s[8:9], 36
	s_delay_alu instid0(VALU_DEP_2) | instskip(NEXT) | instid1(VALU_DEP_2)
	v_mad_u32 v5, 0x120, v1, v5
	v_mad_nc_u64_u32 v[6:7], v6, 6, v[8:9]
	s_wait_kmcnt 0x0
	s_delay_alu instid0(VALU_DEP_2) | instskip(SKIP_2) | instid1(VALU_DEP_3)
	v_add_nc_u64_e32 v[4:5], s[10:11], v[4:5]
	v_lshl_add_u64 v[10:11], v[0:1], 3, s[14:15]
	s_cmp_eq_u32 s16, 0
	v_sub_nc_u64_e64 v[6:7], v[6:7], s[0:1]
	s_cselect_b32 vcc_lo, -1, 0
	s_mov_b32 s1, s9
	s_delay_alu instid0(VALU_DEP_1) | instskip(NEXT) | instid1(VALU_DEP_1)
	v_lshl_add_u64 v[8:9], v[6:7], 3, 24
	v_add_nc_u64_e32 v[6:7], s[12:13], v[8:9]
	v_add_nc_u64_e32 v[8:9], s[4:5], v[8:9]
.LBB200_5:                              ; =>This Inner Loop Header: Depth=1
	global_load_b64 v[24:25], v[10:11], off
	v_add_nc_u64_e32 v[12:13], v[4:5], v[2:3]
	v_add_nc_u64_e32 v[14:15], 48, v[4:5]
	;; [unrolled: 1-line block ×9, first 2 shown]
	v_dual_cndmask_b32 v27, v5, v13 :: v_dual_cndmask_b32 v26, v4, v12
	v_add_nc_u64_e32 v[32:33], 24, v[12:13]
	v_add_nc_u64_e32 v[34:35], 32, v[12:13]
	;; [unrolled: 1-line block ×3, first 2 shown]
	v_cmp_le_i64_e64 s0, s[6:7], v[0:1]
	global_load_b64 v[12:13], v[26:27], off
	s_wait_xcnt 0x0
	v_dual_cndmask_b32 v27, v15, v29 :: v_dual_cndmask_b32 v26, v14, v28
	v_dual_cndmask_b32 v29, v17, v31 :: v_dual_cndmask_b32 v28, v16, v30
	;; [unrolled: 1-line block ×5, first 2 shown]
	global_load_b64 v[14:15], v[26:27], off
	global_load_b64 v[16:17], v[28:29], off
	;; [unrolled: 1-line block ×5, first 2 shown]
	v_add_nc_u64_e32 v[10:11], 0x100, v[10:11]
	v_add_nc_u64_e32 v[4:5], 0x2400, v[4:5]
	s_or_b32 s1, s0, s1
	s_wait_loadcnt 0x6
	s_wait_xcnt 0x4
	v_sub_nc_u64_e64 v[26:27], v[24:25], s[8:9]
	s_delay_alu instid0(VALU_DEP_1) | instskip(NEXT) | instid1(VALU_DEP_1)
	v_mad_nc_u64_u32 v[24:25], v26, 6, s[2:3]
	v_mad_u32 v25, v27, 6, v25
	s_wait_loadcnt 0x4
	global_store_b128 v[6:7], v[12:15], off offset:-24
	s_wait_loadcnt 0x2
	global_store_b128 v[6:7], v[16:19], off offset:-8
	s_wait_loadcnt 0x0
	global_store_b128 v[6:7], v[20:23], off offset:8
	s_wait_xcnt 0x0
	v_add_nc_u64_e32 v[6:7], 0x600, v[6:7]
	v_add_nc_u64_e32 v[26:27], 1, v[24:25]
	;; [unrolled: 1-line block ×6, first 2 shown]
	s_clause 0x2
	global_store_b128 v[8:9], v[24:27], off offset:-24
	global_store_b128 v[8:9], v[12:15], off offset:-8
	global_store_b128 v[8:9], v[28:31], off offset:8
	s_wait_xcnt 0x0
	v_add_nc_u64_e32 v[8:9], 0x600, v[8:9]
	s_and_not1_b32 exec_lo, exec_lo, s1
	s_cbranch_execnz .LBB200_5
.LBB200_6:
	s_endpgm
	.section	.rodata,"a",@progbits
	.p2align	6, 0x0
	.amdhsa_kernel _ZN9rocsparseL32bsr2csr_block_per_row_2_7_kernelILj256ELj6E21rocsparse_complex_numIfEllEEv20rocsparse_direction_T3_S4_21rocsparse_index_base_PKT1_PKT2_PKS4_S4_S5_PS6_PS9_PS4_
		.amdhsa_group_segment_fixed_size 0
		.amdhsa_private_segment_fixed_size 0
		.amdhsa_kernarg_size 96
		.amdhsa_user_sgpr_count 2
		.amdhsa_user_sgpr_dispatch_ptr 0
		.amdhsa_user_sgpr_queue_ptr 0
		.amdhsa_user_sgpr_kernarg_segment_ptr 1
		.amdhsa_user_sgpr_dispatch_id 0
		.amdhsa_user_sgpr_kernarg_preload_length 0
		.amdhsa_user_sgpr_kernarg_preload_offset 0
		.amdhsa_user_sgpr_private_segment_size 0
		.amdhsa_wavefront_size32 1
		.amdhsa_uses_dynamic_stack 0
		.amdhsa_enable_private_segment 0
		.amdhsa_system_sgpr_workgroup_id_x 1
		.amdhsa_system_sgpr_workgroup_id_y 0
		.amdhsa_system_sgpr_workgroup_id_z 0
		.amdhsa_system_sgpr_workgroup_info 0
		.amdhsa_system_vgpr_workitem_id 0
		.amdhsa_next_free_vgpr 38
		.amdhsa_next_free_sgpr 18
		.amdhsa_named_barrier_count 0
		.amdhsa_reserve_vcc 1
		.amdhsa_float_round_mode_32 0
		.amdhsa_float_round_mode_16_64 0
		.amdhsa_float_denorm_mode_32 3
		.amdhsa_float_denorm_mode_16_64 3
		.amdhsa_fp16_overflow 0
		.amdhsa_memory_ordered 1
		.amdhsa_forward_progress 1
		.amdhsa_inst_pref_size 7
		.amdhsa_round_robin_scheduling 0
		.amdhsa_exception_fp_ieee_invalid_op 0
		.amdhsa_exception_fp_denorm_src 0
		.amdhsa_exception_fp_ieee_div_zero 0
		.amdhsa_exception_fp_ieee_overflow 0
		.amdhsa_exception_fp_ieee_underflow 0
		.amdhsa_exception_fp_ieee_inexact 0
		.amdhsa_exception_int_div_zero 0
	.end_amdhsa_kernel
	.section	.text._ZN9rocsparseL32bsr2csr_block_per_row_2_7_kernelILj256ELj6E21rocsparse_complex_numIfEllEEv20rocsparse_direction_T3_S4_21rocsparse_index_base_PKT1_PKT2_PKS4_S4_S5_PS6_PS9_PS4_,"axG",@progbits,_ZN9rocsparseL32bsr2csr_block_per_row_2_7_kernelILj256ELj6E21rocsparse_complex_numIfEllEEv20rocsparse_direction_T3_S4_21rocsparse_index_base_PKT1_PKT2_PKS4_S4_S5_PS6_PS9_PS4_,comdat
.Lfunc_end200:
	.size	_ZN9rocsparseL32bsr2csr_block_per_row_2_7_kernelILj256ELj6E21rocsparse_complex_numIfEllEEv20rocsparse_direction_T3_S4_21rocsparse_index_base_PKT1_PKT2_PKS4_S4_S5_PS6_PS9_PS4_, .Lfunc_end200-_ZN9rocsparseL32bsr2csr_block_per_row_2_7_kernelILj256ELj6E21rocsparse_complex_numIfEllEEv20rocsparse_direction_T3_S4_21rocsparse_index_base_PKT1_PKT2_PKS4_S4_S5_PS6_PS9_PS4_
                                        ; -- End function
	.set _ZN9rocsparseL32bsr2csr_block_per_row_2_7_kernelILj256ELj6E21rocsparse_complex_numIfEllEEv20rocsparse_direction_T3_S4_21rocsparse_index_base_PKT1_PKT2_PKS4_S4_S5_PS6_PS9_PS4_.num_vgpr, 38
	.set _ZN9rocsparseL32bsr2csr_block_per_row_2_7_kernelILj256ELj6E21rocsparse_complex_numIfEllEEv20rocsparse_direction_T3_S4_21rocsparse_index_base_PKT1_PKT2_PKS4_S4_S5_PS6_PS9_PS4_.num_agpr, 0
	.set _ZN9rocsparseL32bsr2csr_block_per_row_2_7_kernelILj256ELj6E21rocsparse_complex_numIfEllEEv20rocsparse_direction_T3_S4_21rocsparse_index_base_PKT1_PKT2_PKS4_S4_S5_PS6_PS9_PS4_.numbered_sgpr, 18
	.set _ZN9rocsparseL32bsr2csr_block_per_row_2_7_kernelILj256ELj6E21rocsparse_complex_numIfEllEEv20rocsparse_direction_T3_S4_21rocsparse_index_base_PKT1_PKT2_PKS4_S4_S5_PS6_PS9_PS4_.num_named_barrier, 0
	.set _ZN9rocsparseL32bsr2csr_block_per_row_2_7_kernelILj256ELj6E21rocsparse_complex_numIfEllEEv20rocsparse_direction_T3_S4_21rocsparse_index_base_PKT1_PKT2_PKS4_S4_S5_PS6_PS9_PS4_.private_seg_size, 0
	.set _ZN9rocsparseL32bsr2csr_block_per_row_2_7_kernelILj256ELj6E21rocsparse_complex_numIfEllEEv20rocsparse_direction_T3_S4_21rocsparse_index_base_PKT1_PKT2_PKS4_S4_S5_PS6_PS9_PS4_.uses_vcc, 1
	.set _ZN9rocsparseL32bsr2csr_block_per_row_2_7_kernelILj256ELj6E21rocsparse_complex_numIfEllEEv20rocsparse_direction_T3_S4_21rocsparse_index_base_PKT1_PKT2_PKS4_S4_S5_PS6_PS9_PS4_.uses_flat_scratch, 0
	.set _ZN9rocsparseL32bsr2csr_block_per_row_2_7_kernelILj256ELj6E21rocsparse_complex_numIfEllEEv20rocsparse_direction_T3_S4_21rocsparse_index_base_PKT1_PKT2_PKS4_S4_S5_PS6_PS9_PS4_.has_dyn_sized_stack, 0
	.set _ZN9rocsparseL32bsr2csr_block_per_row_2_7_kernelILj256ELj6E21rocsparse_complex_numIfEllEEv20rocsparse_direction_T3_S4_21rocsparse_index_base_PKT1_PKT2_PKS4_S4_S5_PS6_PS9_PS4_.has_recursion, 0
	.set _ZN9rocsparseL32bsr2csr_block_per_row_2_7_kernelILj256ELj6E21rocsparse_complex_numIfEllEEv20rocsparse_direction_T3_S4_21rocsparse_index_base_PKT1_PKT2_PKS4_S4_S5_PS6_PS9_PS4_.has_indirect_call, 0
	.section	.AMDGPU.csdata,"",@progbits
; Kernel info:
; codeLenInByte = 872
; TotalNumSgprs: 20
; NumVgprs: 38
; ScratchSize: 0
; MemoryBound: 0
; FloatMode: 240
; IeeeMode: 1
; LDSByteSize: 0 bytes/workgroup (compile time only)
; SGPRBlocks: 0
; VGPRBlocks: 2
; NumSGPRsForWavesPerEU: 20
; NumVGPRsForWavesPerEU: 38
; NamedBarCnt: 0
; Occupancy: 16
; WaveLimiterHint : 0
; COMPUTE_PGM_RSRC2:SCRATCH_EN: 0
; COMPUTE_PGM_RSRC2:USER_SGPR: 2
; COMPUTE_PGM_RSRC2:TRAP_HANDLER: 0
; COMPUTE_PGM_RSRC2:TGID_X_EN: 1
; COMPUTE_PGM_RSRC2:TGID_Y_EN: 0
; COMPUTE_PGM_RSRC2:TGID_Z_EN: 0
; COMPUTE_PGM_RSRC2:TIDIG_COMP_CNT: 0
	.section	.text._ZN9rocsparseL32bsr2csr_block_per_row_2_7_kernelILj256ELj7E21rocsparse_complex_numIfEllEEv20rocsparse_direction_T3_S4_21rocsparse_index_base_PKT1_PKT2_PKS4_S4_S5_PS6_PS9_PS4_,"axG",@progbits,_ZN9rocsparseL32bsr2csr_block_per_row_2_7_kernelILj256ELj7E21rocsparse_complex_numIfEllEEv20rocsparse_direction_T3_S4_21rocsparse_index_base_PKT1_PKT2_PKS4_S4_S5_PS6_PS9_PS4_,comdat
	.globl	_ZN9rocsparseL32bsr2csr_block_per_row_2_7_kernelILj256ELj7E21rocsparse_complex_numIfEllEEv20rocsparse_direction_T3_S4_21rocsparse_index_base_PKT1_PKT2_PKS4_S4_S5_PS6_PS9_PS4_ ; -- Begin function _ZN9rocsparseL32bsr2csr_block_per_row_2_7_kernelILj256ELj7E21rocsparse_complex_numIfEllEEv20rocsparse_direction_T3_S4_21rocsparse_index_base_PKT1_PKT2_PKS4_S4_S5_PS6_PS9_PS4_
	.p2align	8
	.type	_ZN9rocsparseL32bsr2csr_block_per_row_2_7_kernelILj256ELj7E21rocsparse_complex_numIfEllEEv20rocsparse_direction_T3_S4_21rocsparse_index_base_PKT1_PKT2_PKS4_S4_S5_PS6_PS9_PS4_,@function
_ZN9rocsparseL32bsr2csr_block_per_row_2_7_kernelILj256ELj7E21rocsparse_complex_numIfEllEEv20rocsparse_direction_T3_S4_21rocsparse_index_base_PKT1_PKT2_PKS4_S4_S5_PS6_PS9_PS4_: ; @_ZN9rocsparseL32bsr2csr_block_per_row_2_7_kernelILj256ELj7E21rocsparse_complex_numIfEllEEv20rocsparse_direction_T3_S4_21rocsparse_index_base_PKT1_PKT2_PKS4_S4_S5_PS6_PS9_PS4_
; %bb.0:
	s_clause 0x1
	s_load_b32 s2, s[0:1], 0x40
	s_load_b64 s[10:11], s[0:1], 0x50
	s_bfe_u32 s3, ttmp6, 0x4000c
	s_and_b32 s4, ttmp6, 15
	s_add_co_i32 s3, s3, 1
	s_getreg_b32 s5, hwreg(HW_REG_IB_STS2, 6, 4)
	s_mul_i32 s3, ttmp9, s3
	s_mov_b32 s13, 0
	s_add_co_i32 s4, s4, s3
	s_cmp_eq_u32 s5, 0
	s_mov_b32 s3, exec_lo
	s_cselect_b32 s12, ttmp9, s4
	s_delay_alu instid0(SALU_CYCLE_1) | instskip(NEXT) | instid1(VALU_DEP_1)
	v_or_b32_e32 v1, s12, v0
	v_cmpx_eq_u32_e32 0, v1
	s_cbranch_execz .LBB201_2
; %bb.1:
	s_wait_kmcnt 0x0
	v_dual_mov_b32 v2, s2 :: v_dual_mov_b32 v3, 0
	global_store_b64 v3, v[2:3], s[10:11]
.LBB201_2:
	s_wait_xcnt 0x0
	s_or_b32 exec_lo, exec_lo, s3
	v_and_b32_e32 v4, 7, v0
	s_mov_b32 s3, exec_lo
	s_delay_alu instid0(VALU_DEP_1)
	v_cmpx_ne_u32_e32 7, v4
	s_cbranch_execz .LBB201_6
; %bb.3:
	s_clause 0x1
	s_load_b64 s[4:5], s[0:1], 0x28
	s_load_b32 s8, s[0:1], 0x18
	s_lshl_b64 s[6:7], s[12:13], 3
	s_mov_b32 s9, 0
	v_dual_mov_b32 v5, 0 :: v_dual_lshrrev_b32 v6, 3, v0
	s_mov_b32 s3, s9
	s_mul_u64 s[12:13], s[12:13], 56
	s_delay_alu instid0(VALU_DEP_1)
	v_mov_b32_e32 v7, v5
	s_wait_kmcnt 0x0
	s_add_nc_u64 s[10:11], s[10:11], s[12:13]
	s_add_nc_u64 s[14:15], s[4:5], s[6:7]
	s_load_b128 s[4:7], s[14:15], 0x0
	s_wait_kmcnt 0x0
	s_sub_nc_u64 s[14:15], s[4:5], s[8:9]
	s_sub_nc_u64 s[6:7], s[6:7], s[8:9]
	v_add_nc_u64_e32 v[0:1], s[14:15], v[6:7]
	s_sub_nc_u64 s[16:17], s[6:7], s[14:15]
	s_mul_u64 s[14:15], s[14:15], 49
	s_mul_u64 s[16:17], s[16:17], 7
	s_delay_alu instid0(SALU_CYCLE_1) | instskip(SKIP_1) | instid1(VALU_DEP_2)
	v_mul_u64_e32 v[2:3], s[16:17], v[4:5]
	s_add_nc_u64 s[16:17], s[16:17], s[2:3]
	v_cmp_gt_i64_e32 vcc_lo, s[6:7], v[0:1]
	s_add_nc_u64 s[14:15], s[16:17], s[14:15]
	s_delay_alu instid0(VALU_DEP_2) | instid1(SALU_CYCLE_1)
	v_add_nc_u64_e32 v[8:9], s[14:15], v[2:3]
	global_store_b64 v4, v[8:9], s[10:11] offset:8 scale_offset
	s_wait_xcnt 0x0
	s_and_b32 exec_lo, exec_lo, vcc_lo
	s_cbranch_execz .LBB201_6
; %bb.4:
	v_mad_nc_u64_u32 v[8:9], s4, 49, v[2:3]
	v_mul_hi_u32_u24_e32 v3, 48, v4
	v_mul_u32_u24_e32 v2, 48, v4
	v_lshlrev_b32_e32 v4, 3, v4
	s_delay_alu instid0(VALU_DEP_1)
	v_mad_nc_u64_u32 v[4:5], 0x188, v0, v[4:5]
	v_mad_u32 v9, s5, 49, v9
	s_clause 0x4
	s_load_b64 s[4:5], s[0:1], 0x58
	s_load_b64 s[10:11], s[0:1], 0x20
	;; [unrolled: 1-line block ×4, first 2 shown]
	s_load_b32 s16, s[0:1], 0x0
	s_wait_xcnt 0x0
	s_mul_u64 s[0:1], s[8:9], 49
	s_delay_alu instid0(VALU_DEP_2) | instskip(NEXT) | instid1(VALU_DEP_2)
	v_mad_u32 v5, 0x188, v1, v5
	v_mad_nc_u64_u32 v[6:7], v6, 7, v[8:9]
	s_wait_kmcnt 0x0
	s_delay_alu instid0(VALU_DEP_2) | instskip(SKIP_2) | instid1(VALU_DEP_3)
	v_add_nc_u64_e32 v[4:5], s[10:11], v[4:5]
	v_lshl_add_u64 v[10:11], v[0:1], 3, s[14:15]
	s_cmp_eq_u32 s16, 0
	v_sub_nc_u64_e64 v[6:7], v[6:7], s[0:1]
	s_cselect_b32 vcc_lo, -1, 0
	s_mov_b32 s1, s9
	s_delay_alu instid0(VALU_DEP_1) | instskip(NEXT) | instid1(VALU_DEP_1)
	v_lshl_add_u64 v[8:9], v[6:7], 3, 24
	v_add_nc_u64_e32 v[6:7], s[12:13], v[8:9]
	v_add_nc_u64_e32 v[8:9], s[4:5], v[8:9]
.LBB201_5:                              ; =>This Inner Loop Header: Depth=1
	global_load_b64 v[24:25], v[10:11], off
	v_add_nc_u64_e32 v[12:13], v[4:5], v[2:3]
	v_add_nc_u64_e32 v[14:15], 56, v[4:5]
	;; [unrolled: 1-line block ×9, first 2 shown]
	v_dual_cndmask_b32 v29, v5, v13 :: v_dual_cndmask_b32 v28, v4, v12
	v_add_nc_u64_e32 v[34:35], 24, v[12:13]
	v_add_nc_u64_e32 v[36:37], 32, v[12:13]
	;; [unrolled: 1-line block ×4, first 2 shown]
	global_load_b64 v[12:13], v[28:29], off
	s_wait_xcnt 0x0
	v_dual_cndmask_b32 v29, v15, v31 :: v_dual_cndmask_b32 v28, v14, v30
	v_dual_cndmask_b32 v31, v17, v33 :: v_dual_cndmask_b32 v30, v16, v32
	;; [unrolled: 1-line block ×6, first 2 shown]
	global_load_b64 v[14:15], v[28:29], off
	global_load_b64 v[16:17], v[30:31], off
	;; [unrolled: 1-line block ×6, first 2 shown]
	v_add_nc_u64_e32 v[0:1], 32, v[0:1]
	v_add_nc_u64_e32 v[10:11], 0x100, v[10:11]
	;; [unrolled: 1-line block ×3, first 2 shown]
	s_wait_loadcnt 0x5
	global_store_b128 v[6:7], v[12:15], off offset:-24
	s_wait_loadcnt 0x3
	global_store_b128 v[6:7], v[16:19], off offset:-8
	s_wait_loadcnt 0x1
	global_store_b128 v[6:7], v[20:23], off offset:8
	s_wait_xcnt 0x3
	v_sub_nc_u64_e64 v[26:27], v[24:25], s[8:9]
	v_cmp_le_i64_e64 s0, s[6:7], v[0:1]
	s_wait_loadcnt 0x0
	global_store_b64 v[6:7], v[38:39], off offset:24
	s_wait_xcnt 0x0
	v_add_nc_u64_e32 v[6:7], 0x700, v[6:7]
	v_mad_nc_u64_u32 v[24:25], v26, 7, s[2:3]
	s_or_b32 s1, s0, s1
	s_delay_alu instid0(VALU_DEP_1) | instskip(NEXT) | instid1(VALU_DEP_1)
	v_mad_u32 v25, v27, 7, v25
	v_add_nc_u64_e32 v[26:27], 1, v[24:25]
	v_add_nc_u64_e32 v[12:13], 2, v[24:25]
	;; [unrolled: 1-line block ×6, first 2 shown]
	s_clause 0x3
	global_store_b128 v[8:9], v[24:27], off offset:-24
	global_store_b128 v[8:9], v[12:15], off offset:-8
	global_store_b128 v[8:9], v[16:19], off offset:8
	global_store_b64 v[8:9], v[20:21], off offset:24
	s_wait_xcnt 0x0
	v_add_nc_u64_e32 v[8:9], 0x700, v[8:9]
	s_and_not1_b32 exec_lo, exec_lo, s1
	s_cbranch_execnz .LBB201_5
.LBB201_6:
	s_endpgm
	.section	.rodata,"a",@progbits
	.p2align	6, 0x0
	.amdhsa_kernel _ZN9rocsparseL32bsr2csr_block_per_row_2_7_kernelILj256ELj7E21rocsparse_complex_numIfEllEEv20rocsparse_direction_T3_S4_21rocsparse_index_base_PKT1_PKT2_PKS4_S4_S5_PS6_PS9_PS4_
		.amdhsa_group_segment_fixed_size 0
		.amdhsa_private_segment_fixed_size 0
		.amdhsa_kernarg_size 96
		.amdhsa_user_sgpr_count 2
		.amdhsa_user_sgpr_dispatch_ptr 0
		.amdhsa_user_sgpr_queue_ptr 0
		.amdhsa_user_sgpr_kernarg_segment_ptr 1
		.amdhsa_user_sgpr_dispatch_id 0
		.amdhsa_user_sgpr_kernarg_preload_length 0
		.amdhsa_user_sgpr_kernarg_preload_offset 0
		.amdhsa_user_sgpr_private_segment_size 0
		.amdhsa_wavefront_size32 1
		.amdhsa_uses_dynamic_stack 0
		.amdhsa_enable_private_segment 0
		.amdhsa_system_sgpr_workgroup_id_x 1
		.amdhsa_system_sgpr_workgroup_id_y 0
		.amdhsa_system_sgpr_workgroup_id_z 0
		.amdhsa_system_sgpr_workgroup_info 0
		.amdhsa_system_vgpr_workitem_id 0
		.amdhsa_next_free_vgpr 42
		.amdhsa_next_free_sgpr 18
		.amdhsa_named_barrier_count 0
		.amdhsa_reserve_vcc 1
		.amdhsa_float_round_mode_32 0
		.amdhsa_float_round_mode_16_64 0
		.amdhsa_float_denorm_mode_32 3
		.amdhsa_float_denorm_mode_16_64 3
		.amdhsa_fp16_overflow 0
		.amdhsa_memory_ordered 1
		.amdhsa_forward_progress 1
		.amdhsa_inst_pref_size 8
		.amdhsa_round_robin_scheduling 0
		.amdhsa_exception_fp_ieee_invalid_op 0
		.amdhsa_exception_fp_denorm_src 0
		.amdhsa_exception_fp_ieee_div_zero 0
		.amdhsa_exception_fp_ieee_overflow 0
		.amdhsa_exception_fp_ieee_underflow 0
		.amdhsa_exception_fp_ieee_inexact 0
		.amdhsa_exception_int_div_zero 0
	.end_amdhsa_kernel
	.section	.text._ZN9rocsparseL32bsr2csr_block_per_row_2_7_kernelILj256ELj7E21rocsparse_complex_numIfEllEEv20rocsparse_direction_T3_S4_21rocsparse_index_base_PKT1_PKT2_PKS4_S4_S5_PS6_PS9_PS4_,"axG",@progbits,_ZN9rocsparseL32bsr2csr_block_per_row_2_7_kernelILj256ELj7E21rocsparse_complex_numIfEllEEv20rocsparse_direction_T3_S4_21rocsparse_index_base_PKT1_PKT2_PKS4_S4_S5_PS6_PS9_PS4_,comdat
.Lfunc_end201:
	.size	_ZN9rocsparseL32bsr2csr_block_per_row_2_7_kernelILj256ELj7E21rocsparse_complex_numIfEllEEv20rocsparse_direction_T3_S4_21rocsparse_index_base_PKT1_PKT2_PKS4_S4_S5_PS6_PS9_PS4_, .Lfunc_end201-_ZN9rocsparseL32bsr2csr_block_per_row_2_7_kernelILj256ELj7E21rocsparse_complex_numIfEllEEv20rocsparse_direction_T3_S4_21rocsparse_index_base_PKT1_PKT2_PKS4_S4_S5_PS6_PS9_PS4_
                                        ; -- End function
	.set _ZN9rocsparseL32bsr2csr_block_per_row_2_7_kernelILj256ELj7E21rocsparse_complex_numIfEllEEv20rocsparse_direction_T3_S4_21rocsparse_index_base_PKT1_PKT2_PKS4_S4_S5_PS6_PS9_PS4_.num_vgpr, 42
	.set _ZN9rocsparseL32bsr2csr_block_per_row_2_7_kernelILj256ELj7E21rocsparse_complex_numIfEllEEv20rocsparse_direction_T3_S4_21rocsparse_index_base_PKT1_PKT2_PKS4_S4_S5_PS6_PS9_PS4_.num_agpr, 0
	.set _ZN9rocsparseL32bsr2csr_block_per_row_2_7_kernelILj256ELj7E21rocsparse_complex_numIfEllEEv20rocsparse_direction_T3_S4_21rocsparse_index_base_PKT1_PKT2_PKS4_S4_S5_PS6_PS9_PS4_.numbered_sgpr, 18
	.set _ZN9rocsparseL32bsr2csr_block_per_row_2_7_kernelILj256ELj7E21rocsparse_complex_numIfEllEEv20rocsparse_direction_T3_S4_21rocsparse_index_base_PKT1_PKT2_PKS4_S4_S5_PS6_PS9_PS4_.num_named_barrier, 0
	.set _ZN9rocsparseL32bsr2csr_block_per_row_2_7_kernelILj256ELj7E21rocsparse_complex_numIfEllEEv20rocsparse_direction_T3_S4_21rocsparse_index_base_PKT1_PKT2_PKS4_S4_S5_PS6_PS9_PS4_.private_seg_size, 0
	.set _ZN9rocsparseL32bsr2csr_block_per_row_2_7_kernelILj256ELj7E21rocsparse_complex_numIfEllEEv20rocsparse_direction_T3_S4_21rocsparse_index_base_PKT1_PKT2_PKS4_S4_S5_PS6_PS9_PS4_.uses_vcc, 1
	.set _ZN9rocsparseL32bsr2csr_block_per_row_2_7_kernelILj256ELj7E21rocsparse_complex_numIfEllEEv20rocsparse_direction_T3_S4_21rocsparse_index_base_PKT1_PKT2_PKS4_S4_S5_PS6_PS9_PS4_.uses_flat_scratch, 0
	.set _ZN9rocsparseL32bsr2csr_block_per_row_2_7_kernelILj256ELj7E21rocsparse_complex_numIfEllEEv20rocsparse_direction_T3_S4_21rocsparse_index_base_PKT1_PKT2_PKS4_S4_S5_PS6_PS9_PS4_.has_dyn_sized_stack, 0
	.set _ZN9rocsparseL32bsr2csr_block_per_row_2_7_kernelILj256ELj7E21rocsparse_complex_numIfEllEEv20rocsparse_direction_T3_S4_21rocsparse_index_base_PKT1_PKT2_PKS4_S4_S5_PS6_PS9_PS4_.has_recursion, 0
	.set _ZN9rocsparseL32bsr2csr_block_per_row_2_7_kernelILj256ELj7E21rocsparse_complex_numIfEllEEv20rocsparse_direction_T3_S4_21rocsparse_index_base_PKT1_PKT2_PKS4_S4_S5_PS6_PS9_PS4_.has_indirect_call, 0
	.section	.AMDGPU.csdata,"",@progbits
; Kernel info:
; codeLenInByte = 932
; TotalNumSgprs: 20
; NumVgprs: 42
; ScratchSize: 0
; MemoryBound: 0
; FloatMode: 240
; IeeeMode: 1
; LDSByteSize: 0 bytes/workgroup (compile time only)
; SGPRBlocks: 0
; VGPRBlocks: 2
; NumSGPRsForWavesPerEU: 20
; NumVGPRsForWavesPerEU: 42
; NamedBarCnt: 0
; Occupancy: 16
; WaveLimiterHint : 0
; COMPUTE_PGM_RSRC2:SCRATCH_EN: 0
; COMPUTE_PGM_RSRC2:USER_SGPR: 2
; COMPUTE_PGM_RSRC2:TRAP_HANDLER: 0
; COMPUTE_PGM_RSRC2:TGID_X_EN: 1
; COMPUTE_PGM_RSRC2:TGID_Y_EN: 0
; COMPUTE_PGM_RSRC2:TGID_Z_EN: 0
; COMPUTE_PGM_RSRC2:TIDIG_COMP_CNT: 0
	.section	.text._ZN9rocsparseL33bsr2csr_block_per_row_8_32_kernelILj1024ELj8E21rocsparse_complex_numIfEllEEv20rocsparse_direction_T3_S4_21rocsparse_index_base_PKT1_PKT2_PKS4_S4_S5_PS6_PS9_PS4_,"axG",@progbits,_ZN9rocsparseL33bsr2csr_block_per_row_8_32_kernelILj1024ELj8E21rocsparse_complex_numIfEllEEv20rocsparse_direction_T3_S4_21rocsparse_index_base_PKT1_PKT2_PKS4_S4_S5_PS6_PS9_PS4_,comdat
	.globl	_ZN9rocsparseL33bsr2csr_block_per_row_8_32_kernelILj1024ELj8E21rocsparse_complex_numIfEllEEv20rocsparse_direction_T3_S4_21rocsparse_index_base_PKT1_PKT2_PKS4_S4_S5_PS6_PS9_PS4_ ; -- Begin function _ZN9rocsparseL33bsr2csr_block_per_row_8_32_kernelILj1024ELj8E21rocsparse_complex_numIfEllEEv20rocsparse_direction_T3_S4_21rocsparse_index_base_PKT1_PKT2_PKS4_S4_S5_PS6_PS9_PS4_
	.p2align	8
	.type	_ZN9rocsparseL33bsr2csr_block_per_row_8_32_kernelILj1024ELj8E21rocsparse_complex_numIfEllEEv20rocsparse_direction_T3_S4_21rocsparse_index_base_PKT1_PKT2_PKS4_S4_S5_PS6_PS9_PS4_,@function
_ZN9rocsparseL33bsr2csr_block_per_row_8_32_kernelILj1024ELj8E21rocsparse_complex_numIfEllEEv20rocsparse_direction_T3_S4_21rocsparse_index_base_PKT1_PKT2_PKS4_S4_S5_PS6_PS9_PS4_: ; @_ZN9rocsparseL33bsr2csr_block_per_row_8_32_kernelILj1024ELj8E21rocsparse_complex_numIfEllEEv20rocsparse_direction_T3_S4_21rocsparse_index_base_PKT1_PKT2_PKS4_S4_S5_PS6_PS9_PS4_
; %bb.0:
	s_clause 0x1
	s_load_b32 s6, s[0:1], 0x40
	s_load_b64 s[12:13], s[0:1], 0x50
	s_bfe_u32 s2, ttmp6, 0x4000c
	s_and_b32 s3, ttmp6, 15
	s_add_co_i32 s2, s2, 1
	s_getreg_b32 s4, hwreg(HW_REG_IB_STS2, 6, 4)
	s_mul_i32 s2, ttmp9, s2
	s_mov_b32 s15, 0
	s_add_co_i32 s3, s3, s2
	s_cmp_eq_u32 s4, 0
	s_mov_b32 s2, exec_lo
	s_cselect_b32 s14, ttmp9, s3
	s_delay_alu instid0(SALU_CYCLE_1) | instskip(NEXT) | instid1(VALU_DEP_1)
	v_or_b32_e32 v1, s14, v0
	v_cmpx_eq_u32_e32 0, v1
	s_cbranch_execz .LBB202_2
; %bb.1:
	s_wait_kmcnt 0x0
	v_dual_mov_b32 v2, s6 :: v_dual_mov_b32 v3, 0
	global_store_b64 v3, v[2:3], s[12:13]
.LBB202_2:
	s_wait_xcnt 0x0
	s_or_b32 exec_lo, exec_lo, s2
	v_dual_mov_b32 v3, 0 :: v_dual_bitop2_b32 v2, 7, v0 bitop3:0x40
	v_bfe_u32 v4, v0, 3, 3
	s_load_b64 s[2:3], s[0:1], 0x38
	s_mov_b32 s4, exec_lo
	s_delay_alu instid0(VALU_DEP_2) | instskip(NEXT) | instid1(VALU_DEP_1)
	v_mov_b32_e32 v5, v3
	v_max_i64 v[6:7], v[4:5], v[2:3]
	s_wait_kmcnt 0x0
	s_delay_alu instid0(VALU_DEP_1)
	v_cmpx_gt_i64_e64 s[2:3], v[6:7]
	s_cbranch_execz .LBB202_6
; %bb.3:
	s_clause 0x1
	s_load_b64 s[8:9], s[0:1], 0x28
	s_load_b32 s4, s[0:1], 0x18
	s_lshl_b64 s[10:11], s[14:15], 3
	s_mov_b32 s5, 0
	v_dual_mov_b32 v7, v3 :: v_dual_lshrrev_b32 v6, 6, v0
	s_mov_b32 s7, s5
	s_mul_u64 s[14:15], s[2:3], s[14:15]
	s_delay_alu instid0(SALU_CYCLE_1) | instskip(NEXT) | instid1(SALU_CYCLE_1)
	s_lshl_b64 s[14:15], s[14:15], 3
	s_add_nc_u64 s[12:13], s[12:13], s[14:15]
	s_wait_kmcnt 0x0
	s_add_nc_u64 s[16:17], s[8:9], s[10:11]
	s_load_b128 s[8:11], s[16:17], 0x0
	s_wait_kmcnt 0x0
	s_sub_nc_u64 s[18:19], s[8:9], s[4:5]
	s_sub_nc_u64 s[8:9], s[10:11], s[4:5]
	s_mul_u64 s[10:11], s[2:3], s[2:3]
	s_sub_nc_u64 s[16:17], s[8:9], s[18:19]
	s_mul_u64 s[22:23], s[18:19], s[10:11]
	s_mul_u64 s[20:21], s[16:17], s[2:3]
	v_add_nc_u64_e32 v[0:1], s[18:19], v[6:7]
	s_add_nc_u64 s[24:25], s[20:21], s[6:7]
	s_delay_alu instid0(SALU_CYCLE_1) | instskip(NEXT) | instid1(SALU_CYCLE_1)
	s_add_nc_u64 s[22:23], s[24:25], s[22:23]
	v_mad_nc_u64_u32 v[8:9], s20, v4, s[22:23]
	s_delay_alu instid0(VALU_DEP_2) | instskip(NEXT) | instid1(VALU_DEP_2)
	v_cmp_gt_i64_e32 vcc_lo, s[8:9], v[0:1]
	v_mad_u32 v9, s21, v4, v9
	global_store_b64 v4, v[8:9], s[12:13] offset:8 scale_offset
	s_wait_xcnt 0x0
	s_and_b32 exec_lo, exec_lo, vcc_lo
	s_cbranch_execz .LBB202_6
; %bb.4:
	v_mad_nc_u64_u32 v[6:7], s2, s18, v[6:7]
	s_mul_i32 s12, s3, s18
	s_mul_i32 s13, s2, s19
	v_mul_u64_e32 v[8:9], s[2:3], v[2:3]
	v_mul_u64_e32 v[10:11], s[2:3], v[4:5]
	s_load_b64 s[14:15], s[0:1], 0x20
	v_mul_u64_e32 v[12:13], s[10:11], v[0:1]
	v_dual_mov_b32 v15, 0 :: v_dual_lshlrev_b32 v14, 3, v4
	v_add3_u32 v7, s13, s12, v7
	s_delay_alu instid0(VALU_DEP_1) | instskip(NEXT) | instid1(VALU_DEP_1)
	v_mad_nc_u64_u32 v[6:7], s16, v4, v[6:7]
	v_mad_u32 v7, s17, v4, v7
	s_clause 0x2
	s_load_b64 s[16:17], s[0:1], 0x30
	s_load_b64 s[12:13], s[0:1], 0x48
	s_load_b32 s18, s[0:1], 0x0
	s_wait_kmcnt 0x0
	v_lshl_add_u64 v[4:5], v[8:9], 3, s[14:15]
	v_lshl_add_u64 v[8:9], v[10:11], 3, s[14:15]
	s_load_b64 s[0:1], s[0:1], 0x58
	s_delay_alu instid0(VALU_DEP_3)
	v_mul_u64_e32 v[6:7], s[2:3], v[6:7]
	s_mov_b32 s14, s5
	v_add_nc_u64_e32 v[4:5], v[4:5], v[14:15]
	s_cmp_eq_u32 s18, 0
	s_cselect_b32 vcc_lo, -1, 0
	v_lshlrev_b32_e32 v14, 3, v2
	v_add_nc_u64_e32 v[2:3], s[6:7], v[2:3]
	s_lshl_b64 s[6:7], s[10:11], 7
	s_lshl_b64 s[10:11], s[2:3], 7
	s_delay_alu instid0(VALU_DEP_2) | instskip(NEXT) | instid1(VALU_DEP_1)
	v_add_nc_u64_e32 v[8:9], v[8:9], v[14:15]
	v_dual_cndmask_b32 v5, v5, v9 :: v_dual_cndmask_b32 v4, v4, v8
	v_lshl_add_u64 v[8:9], v[0:1], 3, s[16:17]
	s_delay_alu instid0(VALU_DEP_2)
	v_lshl_add_u64 v[4:5], v[12:13], 3, v[4:5]
	v_lshl_add_u64 v[6:7], v[6:7], 3, v[14:15]
.LBB202_5:                              ; =>This Inner Loop Header: Depth=1
	global_load_b64 v[10:11], v[8:9], off
	global_load_b64 v[12:13], v[4:5], off
	v_add_nc_u64_e32 v[0:1], 16, v[0:1]
	s_wait_kmcnt 0x0
	v_add_nc_u64_e32 v[16:17], s[0:1], v[6:7]
	s_wait_xcnt 0x0
	v_add_nc_u64_e32 v[4:5], s[6:7], v[4:5]
	v_add_nc_u64_e32 v[8:9], 0x80, v[8:9]
	s_delay_alu instid0(VALU_DEP_4) | instskip(SKIP_3) | instid1(VALU_DEP_1)
	v_cmp_le_i64_e32 vcc_lo, s[8:9], v[0:1]
	s_or_b32 s14, vcc_lo, s14
	s_wait_loadcnt 0x1
	v_sub_nc_u64_e64 v[10:11], v[10:11], s[4:5]
	v_mad_nc_u64_u32 v[14:15], v10, s2, v[2:3]
	s_delay_alu instid0(VALU_DEP_1) | instskip(NEXT) | instid1(VALU_DEP_1)
	v_mad_u32 v11, v11, s2, v15
	v_mad_u32 v15, v10, s3, v11
	v_add_nc_u64_e32 v[10:11], s[12:13], v[6:7]
	v_add_nc_u64_e32 v[6:7], s[10:11], v[6:7]
	s_wait_loadcnt 0x0
	global_store_b64 v[10:11], v[12:13], off
	global_store_b64 v[16:17], v[14:15], off
	s_wait_xcnt 0x0
	s_and_not1_b32 exec_lo, exec_lo, s14
	s_cbranch_execnz .LBB202_5
.LBB202_6:
	s_endpgm
	.section	.rodata,"a",@progbits
	.p2align	6, 0x0
	.amdhsa_kernel _ZN9rocsparseL33bsr2csr_block_per_row_8_32_kernelILj1024ELj8E21rocsparse_complex_numIfEllEEv20rocsparse_direction_T3_S4_21rocsparse_index_base_PKT1_PKT2_PKS4_S4_S5_PS6_PS9_PS4_
		.amdhsa_group_segment_fixed_size 0
		.amdhsa_private_segment_fixed_size 0
		.amdhsa_kernarg_size 96
		.amdhsa_user_sgpr_count 2
		.amdhsa_user_sgpr_dispatch_ptr 0
		.amdhsa_user_sgpr_queue_ptr 0
		.amdhsa_user_sgpr_kernarg_segment_ptr 1
		.amdhsa_user_sgpr_dispatch_id 0
		.amdhsa_user_sgpr_kernarg_preload_length 0
		.amdhsa_user_sgpr_kernarg_preload_offset 0
		.amdhsa_user_sgpr_private_segment_size 0
		.amdhsa_wavefront_size32 1
		.amdhsa_uses_dynamic_stack 0
		.amdhsa_enable_private_segment 0
		.amdhsa_system_sgpr_workgroup_id_x 1
		.amdhsa_system_sgpr_workgroup_id_y 0
		.amdhsa_system_sgpr_workgroup_id_z 0
		.amdhsa_system_sgpr_workgroup_info 0
		.amdhsa_system_vgpr_workitem_id 0
		.amdhsa_next_free_vgpr 18
		.amdhsa_next_free_sgpr 26
		.amdhsa_named_barrier_count 0
		.amdhsa_reserve_vcc 1
		.amdhsa_float_round_mode_32 0
		.amdhsa_float_round_mode_16_64 0
		.amdhsa_float_denorm_mode_32 3
		.amdhsa_float_denorm_mode_16_64 3
		.amdhsa_fp16_overflow 0
		.amdhsa_memory_ordered 1
		.amdhsa_forward_progress 1
		.amdhsa_inst_pref_size 6
		.amdhsa_round_robin_scheduling 0
		.amdhsa_exception_fp_ieee_invalid_op 0
		.amdhsa_exception_fp_denorm_src 0
		.amdhsa_exception_fp_ieee_div_zero 0
		.amdhsa_exception_fp_ieee_overflow 0
		.amdhsa_exception_fp_ieee_underflow 0
		.amdhsa_exception_fp_ieee_inexact 0
		.amdhsa_exception_int_div_zero 0
	.end_amdhsa_kernel
	.section	.text._ZN9rocsparseL33bsr2csr_block_per_row_8_32_kernelILj1024ELj8E21rocsparse_complex_numIfEllEEv20rocsparse_direction_T3_S4_21rocsparse_index_base_PKT1_PKT2_PKS4_S4_S5_PS6_PS9_PS4_,"axG",@progbits,_ZN9rocsparseL33bsr2csr_block_per_row_8_32_kernelILj1024ELj8E21rocsparse_complex_numIfEllEEv20rocsparse_direction_T3_S4_21rocsparse_index_base_PKT1_PKT2_PKS4_S4_S5_PS6_PS9_PS4_,comdat
.Lfunc_end202:
	.size	_ZN9rocsparseL33bsr2csr_block_per_row_8_32_kernelILj1024ELj8E21rocsparse_complex_numIfEllEEv20rocsparse_direction_T3_S4_21rocsparse_index_base_PKT1_PKT2_PKS4_S4_S5_PS6_PS9_PS4_, .Lfunc_end202-_ZN9rocsparseL33bsr2csr_block_per_row_8_32_kernelILj1024ELj8E21rocsparse_complex_numIfEllEEv20rocsparse_direction_T3_S4_21rocsparse_index_base_PKT1_PKT2_PKS4_S4_S5_PS6_PS9_PS4_
                                        ; -- End function
	.set _ZN9rocsparseL33bsr2csr_block_per_row_8_32_kernelILj1024ELj8E21rocsparse_complex_numIfEllEEv20rocsparse_direction_T3_S4_21rocsparse_index_base_PKT1_PKT2_PKS4_S4_S5_PS6_PS9_PS4_.num_vgpr, 18
	.set _ZN9rocsparseL33bsr2csr_block_per_row_8_32_kernelILj1024ELj8E21rocsparse_complex_numIfEllEEv20rocsparse_direction_T3_S4_21rocsparse_index_base_PKT1_PKT2_PKS4_S4_S5_PS6_PS9_PS4_.num_agpr, 0
	.set _ZN9rocsparseL33bsr2csr_block_per_row_8_32_kernelILj1024ELj8E21rocsparse_complex_numIfEllEEv20rocsparse_direction_T3_S4_21rocsparse_index_base_PKT1_PKT2_PKS4_S4_S5_PS6_PS9_PS4_.numbered_sgpr, 26
	.set _ZN9rocsparseL33bsr2csr_block_per_row_8_32_kernelILj1024ELj8E21rocsparse_complex_numIfEllEEv20rocsparse_direction_T3_S4_21rocsparse_index_base_PKT1_PKT2_PKS4_S4_S5_PS6_PS9_PS4_.num_named_barrier, 0
	.set _ZN9rocsparseL33bsr2csr_block_per_row_8_32_kernelILj1024ELj8E21rocsparse_complex_numIfEllEEv20rocsparse_direction_T3_S4_21rocsparse_index_base_PKT1_PKT2_PKS4_S4_S5_PS6_PS9_PS4_.private_seg_size, 0
	.set _ZN9rocsparseL33bsr2csr_block_per_row_8_32_kernelILj1024ELj8E21rocsparse_complex_numIfEllEEv20rocsparse_direction_T3_S4_21rocsparse_index_base_PKT1_PKT2_PKS4_S4_S5_PS6_PS9_PS4_.uses_vcc, 1
	.set _ZN9rocsparseL33bsr2csr_block_per_row_8_32_kernelILj1024ELj8E21rocsparse_complex_numIfEllEEv20rocsparse_direction_T3_S4_21rocsparse_index_base_PKT1_PKT2_PKS4_S4_S5_PS6_PS9_PS4_.uses_flat_scratch, 0
	.set _ZN9rocsparseL33bsr2csr_block_per_row_8_32_kernelILj1024ELj8E21rocsparse_complex_numIfEllEEv20rocsparse_direction_T3_S4_21rocsparse_index_base_PKT1_PKT2_PKS4_S4_S5_PS6_PS9_PS4_.has_dyn_sized_stack, 0
	.set _ZN9rocsparseL33bsr2csr_block_per_row_8_32_kernelILj1024ELj8E21rocsparse_complex_numIfEllEEv20rocsparse_direction_T3_S4_21rocsparse_index_base_PKT1_PKT2_PKS4_S4_S5_PS6_PS9_PS4_.has_recursion, 0
	.set _ZN9rocsparseL33bsr2csr_block_per_row_8_32_kernelILj1024ELj8E21rocsparse_complex_numIfEllEEv20rocsparse_direction_T3_S4_21rocsparse_index_base_PKT1_PKT2_PKS4_S4_S5_PS6_PS9_PS4_.has_indirect_call, 0
	.section	.AMDGPU.csdata,"",@progbits
; Kernel info:
; codeLenInByte = 712
; TotalNumSgprs: 28
; NumVgprs: 18
; ScratchSize: 0
; MemoryBound: 0
; FloatMode: 240
; IeeeMode: 1
; LDSByteSize: 0 bytes/workgroup (compile time only)
; SGPRBlocks: 0
; VGPRBlocks: 1
; NumSGPRsForWavesPerEU: 28
; NumVGPRsForWavesPerEU: 18
; NamedBarCnt: 0
; Occupancy: 16
; WaveLimiterHint : 0
; COMPUTE_PGM_RSRC2:SCRATCH_EN: 0
; COMPUTE_PGM_RSRC2:USER_SGPR: 2
; COMPUTE_PGM_RSRC2:TRAP_HANDLER: 0
; COMPUTE_PGM_RSRC2:TGID_X_EN: 1
; COMPUTE_PGM_RSRC2:TGID_Y_EN: 0
; COMPUTE_PGM_RSRC2:TGID_Z_EN: 0
; COMPUTE_PGM_RSRC2:TIDIG_COMP_CNT: 0
	.section	.text._ZN9rocsparseL33bsr2csr_block_per_row_8_32_kernelILj1024ELj16E21rocsparse_complex_numIfEllEEv20rocsparse_direction_T3_S4_21rocsparse_index_base_PKT1_PKT2_PKS4_S4_S5_PS6_PS9_PS4_,"axG",@progbits,_ZN9rocsparseL33bsr2csr_block_per_row_8_32_kernelILj1024ELj16E21rocsparse_complex_numIfEllEEv20rocsparse_direction_T3_S4_21rocsparse_index_base_PKT1_PKT2_PKS4_S4_S5_PS6_PS9_PS4_,comdat
	.globl	_ZN9rocsparseL33bsr2csr_block_per_row_8_32_kernelILj1024ELj16E21rocsparse_complex_numIfEllEEv20rocsparse_direction_T3_S4_21rocsparse_index_base_PKT1_PKT2_PKS4_S4_S5_PS6_PS9_PS4_ ; -- Begin function _ZN9rocsparseL33bsr2csr_block_per_row_8_32_kernelILj1024ELj16E21rocsparse_complex_numIfEllEEv20rocsparse_direction_T3_S4_21rocsparse_index_base_PKT1_PKT2_PKS4_S4_S5_PS6_PS9_PS4_
	.p2align	8
	.type	_ZN9rocsparseL33bsr2csr_block_per_row_8_32_kernelILj1024ELj16E21rocsparse_complex_numIfEllEEv20rocsparse_direction_T3_S4_21rocsparse_index_base_PKT1_PKT2_PKS4_S4_S5_PS6_PS9_PS4_,@function
_ZN9rocsparseL33bsr2csr_block_per_row_8_32_kernelILj1024ELj16E21rocsparse_complex_numIfEllEEv20rocsparse_direction_T3_S4_21rocsparse_index_base_PKT1_PKT2_PKS4_S4_S5_PS6_PS9_PS4_: ; @_ZN9rocsparseL33bsr2csr_block_per_row_8_32_kernelILj1024ELj16E21rocsparse_complex_numIfEllEEv20rocsparse_direction_T3_S4_21rocsparse_index_base_PKT1_PKT2_PKS4_S4_S5_PS6_PS9_PS4_
; %bb.0:
	s_clause 0x1
	s_load_b32 s6, s[0:1], 0x40
	s_load_b64 s[12:13], s[0:1], 0x50
	s_bfe_u32 s2, ttmp6, 0x4000c
	s_and_b32 s3, ttmp6, 15
	s_add_co_i32 s2, s2, 1
	s_getreg_b32 s4, hwreg(HW_REG_IB_STS2, 6, 4)
	s_mul_i32 s2, ttmp9, s2
	s_mov_b32 s15, 0
	s_add_co_i32 s3, s3, s2
	s_cmp_eq_u32 s4, 0
	s_mov_b32 s2, exec_lo
	s_cselect_b32 s14, ttmp9, s3
	s_delay_alu instid0(SALU_CYCLE_1) | instskip(NEXT) | instid1(VALU_DEP_1)
	v_or_b32_e32 v1, s14, v0
	v_cmpx_eq_u32_e32 0, v1
	s_cbranch_execz .LBB203_2
; %bb.1:
	s_wait_kmcnt 0x0
	v_dual_mov_b32 v2, s6 :: v_dual_mov_b32 v3, 0
	global_store_b64 v3, v[2:3], s[12:13]
.LBB203_2:
	s_wait_xcnt 0x0
	s_or_b32 exec_lo, exec_lo, s2
	v_dual_mov_b32 v3, 0 :: v_dual_bitop2_b32 v2, 15, v0 bitop3:0x40
	v_bfe_u32 v4, v0, 4, 4
	s_load_b64 s[2:3], s[0:1], 0x38
	s_mov_b32 s4, exec_lo
	s_delay_alu instid0(VALU_DEP_2) | instskip(NEXT) | instid1(VALU_DEP_1)
	v_mov_b32_e32 v5, v3
	v_max_i64 v[6:7], v[4:5], v[2:3]
	s_wait_kmcnt 0x0
	s_delay_alu instid0(VALU_DEP_1)
	v_cmpx_gt_i64_e64 s[2:3], v[6:7]
	s_cbranch_execz .LBB203_6
; %bb.3:
	s_clause 0x1
	s_load_b64 s[8:9], s[0:1], 0x28
	s_load_b32 s4, s[0:1], 0x18
	s_lshl_b64 s[10:11], s[14:15], 3
	s_mov_b32 s5, 0
	v_dual_mov_b32 v7, v3 :: v_dual_lshrrev_b32 v6, 8, v0
	s_mov_b32 s7, s5
	s_mul_u64 s[14:15], s[2:3], s[14:15]
	s_delay_alu instid0(SALU_CYCLE_1) | instskip(NEXT) | instid1(SALU_CYCLE_1)
	s_lshl_b64 s[14:15], s[14:15], 3
	s_add_nc_u64 s[12:13], s[12:13], s[14:15]
	s_wait_kmcnt 0x0
	s_add_nc_u64 s[16:17], s[8:9], s[10:11]
	s_load_b128 s[8:11], s[16:17], 0x0
	s_wait_kmcnt 0x0
	s_sub_nc_u64 s[18:19], s[8:9], s[4:5]
	s_sub_nc_u64 s[8:9], s[10:11], s[4:5]
	s_mul_u64 s[10:11], s[2:3], s[2:3]
	s_sub_nc_u64 s[16:17], s[8:9], s[18:19]
	s_mul_u64 s[22:23], s[18:19], s[10:11]
	s_mul_u64 s[20:21], s[16:17], s[2:3]
	v_add_nc_u64_e32 v[0:1], s[18:19], v[6:7]
	s_add_nc_u64 s[24:25], s[20:21], s[6:7]
	s_delay_alu instid0(SALU_CYCLE_1) | instskip(NEXT) | instid1(SALU_CYCLE_1)
	s_add_nc_u64 s[22:23], s[24:25], s[22:23]
	v_mad_nc_u64_u32 v[8:9], s20, v4, s[22:23]
	s_delay_alu instid0(VALU_DEP_2) | instskip(NEXT) | instid1(VALU_DEP_2)
	v_cmp_gt_i64_e32 vcc_lo, s[8:9], v[0:1]
	v_mad_u32 v9, s21, v4, v9
	global_store_b64 v4, v[8:9], s[12:13] offset:8 scale_offset
	s_wait_xcnt 0x0
	s_and_b32 exec_lo, exec_lo, vcc_lo
	s_cbranch_execz .LBB203_6
; %bb.4:
	v_mad_nc_u64_u32 v[6:7], s2, s18, v[6:7]
	s_mul_i32 s12, s3, s18
	s_mul_i32 s13, s2, s19
	v_mul_u64_e32 v[8:9], s[2:3], v[2:3]
	v_mul_u64_e32 v[10:11], s[2:3], v[4:5]
	s_load_b64 s[14:15], s[0:1], 0x20
	v_mul_u64_e32 v[12:13], s[10:11], v[0:1]
	v_dual_mov_b32 v15, 0 :: v_dual_lshlrev_b32 v14, 3, v4
	v_add3_u32 v7, s13, s12, v7
	s_delay_alu instid0(VALU_DEP_1) | instskip(NEXT) | instid1(VALU_DEP_1)
	v_mad_nc_u64_u32 v[6:7], s16, v4, v[6:7]
	v_mad_u32 v7, s17, v4, v7
	s_clause 0x2
	s_load_b64 s[16:17], s[0:1], 0x30
	s_load_b64 s[12:13], s[0:1], 0x48
	s_load_b32 s18, s[0:1], 0x0
	s_wait_kmcnt 0x0
	v_lshl_add_u64 v[4:5], v[8:9], 3, s[14:15]
	v_lshl_add_u64 v[8:9], v[10:11], 3, s[14:15]
	s_load_b64 s[0:1], s[0:1], 0x58
	s_delay_alu instid0(VALU_DEP_3)
	v_mul_u64_e32 v[6:7], s[2:3], v[6:7]
	s_mov_b32 s14, s5
	v_add_nc_u64_e32 v[4:5], v[4:5], v[14:15]
	s_cmp_eq_u32 s18, 0
	s_cselect_b32 vcc_lo, -1, 0
	v_lshlrev_b32_e32 v14, 3, v2
	v_add_nc_u64_e32 v[2:3], s[6:7], v[2:3]
	s_lshl_b64 s[6:7], s[10:11], 5
	s_lshl_b64 s[10:11], s[2:3], 5
	s_delay_alu instid0(VALU_DEP_2) | instskip(NEXT) | instid1(VALU_DEP_1)
	v_add_nc_u64_e32 v[8:9], v[8:9], v[14:15]
	v_dual_cndmask_b32 v5, v5, v9 :: v_dual_cndmask_b32 v4, v4, v8
	v_lshl_add_u64 v[8:9], v[0:1], 3, s[16:17]
	s_delay_alu instid0(VALU_DEP_2)
	v_lshl_add_u64 v[4:5], v[12:13], 3, v[4:5]
	v_lshl_add_u64 v[6:7], v[6:7], 3, v[14:15]
.LBB203_5:                              ; =>This Inner Loop Header: Depth=1
	global_load_b64 v[10:11], v[8:9], off
	global_load_b64 v[12:13], v[4:5], off
	v_add_nc_u64_e32 v[0:1], 4, v[0:1]
	s_wait_kmcnt 0x0
	v_add_nc_u64_e32 v[16:17], s[0:1], v[6:7]
	s_wait_xcnt 0x0
	v_add_nc_u64_e32 v[4:5], s[6:7], v[4:5]
	v_add_nc_u64_e32 v[8:9], 32, v[8:9]
	s_delay_alu instid0(VALU_DEP_4) | instskip(SKIP_3) | instid1(VALU_DEP_1)
	v_cmp_le_i64_e32 vcc_lo, s[8:9], v[0:1]
	s_or_b32 s14, vcc_lo, s14
	s_wait_loadcnt 0x1
	v_sub_nc_u64_e64 v[10:11], v[10:11], s[4:5]
	v_mad_nc_u64_u32 v[14:15], v10, s2, v[2:3]
	s_delay_alu instid0(VALU_DEP_1) | instskip(NEXT) | instid1(VALU_DEP_1)
	v_mad_u32 v11, v11, s2, v15
	v_mad_u32 v15, v10, s3, v11
	v_add_nc_u64_e32 v[10:11], s[12:13], v[6:7]
	v_add_nc_u64_e32 v[6:7], s[10:11], v[6:7]
	s_wait_loadcnt 0x0
	global_store_b64 v[10:11], v[12:13], off
	global_store_b64 v[16:17], v[14:15], off
	s_wait_xcnt 0x0
	s_and_not1_b32 exec_lo, exec_lo, s14
	s_cbranch_execnz .LBB203_5
.LBB203_6:
	s_endpgm
	.section	.rodata,"a",@progbits
	.p2align	6, 0x0
	.amdhsa_kernel _ZN9rocsparseL33bsr2csr_block_per_row_8_32_kernelILj1024ELj16E21rocsparse_complex_numIfEllEEv20rocsparse_direction_T3_S4_21rocsparse_index_base_PKT1_PKT2_PKS4_S4_S5_PS6_PS9_PS4_
		.amdhsa_group_segment_fixed_size 0
		.amdhsa_private_segment_fixed_size 0
		.amdhsa_kernarg_size 96
		.amdhsa_user_sgpr_count 2
		.amdhsa_user_sgpr_dispatch_ptr 0
		.amdhsa_user_sgpr_queue_ptr 0
		.amdhsa_user_sgpr_kernarg_segment_ptr 1
		.amdhsa_user_sgpr_dispatch_id 0
		.amdhsa_user_sgpr_kernarg_preload_length 0
		.amdhsa_user_sgpr_kernarg_preload_offset 0
		.amdhsa_user_sgpr_private_segment_size 0
		.amdhsa_wavefront_size32 1
		.amdhsa_uses_dynamic_stack 0
		.amdhsa_enable_private_segment 0
		.amdhsa_system_sgpr_workgroup_id_x 1
		.amdhsa_system_sgpr_workgroup_id_y 0
		.amdhsa_system_sgpr_workgroup_id_z 0
		.amdhsa_system_sgpr_workgroup_info 0
		.amdhsa_system_vgpr_workitem_id 0
		.amdhsa_next_free_vgpr 18
		.amdhsa_next_free_sgpr 26
		.amdhsa_named_barrier_count 0
		.amdhsa_reserve_vcc 1
		.amdhsa_float_round_mode_32 0
		.amdhsa_float_round_mode_16_64 0
		.amdhsa_float_denorm_mode_32 3
		.amdhsa_float_denorm_mode_16_64 3
		.amdhsa_fp16_overflow 0
		.amdhsa_memory_ordered 1
		.amdhsa_forward_progress 1
		.amdhsa_inst_pref_size 6
		.amdhsa_round_robin_scheduling 0
		.amdhsa_exception_fp_ieee_invalid_op 0
		.amdhsa_exception_fp_denorm_src 0
		.amdhsa_exception_fp_ieee_div_zero 0
		.amdhsa_exception_fp_ieee_overflow 0
		.amdhsa_exception_fp_ieee_underflow 0
		.amdhsa_exception_fp_ieee_inexact 0
		.amdhsa_exception_int_div_zero 0
	.end_amdhsa_kernel
	.section	.text._ZN9rocsparseL33bsr2csr_block_per_row_8_32_kernelILj1024ELj16E21rocsparse_complex_numIfEllEEv20rocsparse_direction_T3_S4_21rocsparse_index_base_PKT1_PKT2_PKS4_S4_S5_PS6_PS9_PS4_,"axG",@progbits,_ZN9rocsparseL33bsr2csr_block_per_row_8_32_kernelILj1024ELj16E21rocsparse_complex_numIfEllEEv20rocsparse_direction_T3_S4_21rocsparse_index_base_PKT1_PKT2_PKS4_S4_S5_PS6_PS9_PS4_,comdat
.Lfunc_end203:
	.size	_ZN9rocsparseL33bsr2csr_block_per_row_8_32_kernelILj1024ELj16E21rocsparse_complex_numIfEllEEv20rocsparse_direction_T3_S4_21rocsparse_index_base_PKT1_PKT2_PKS4_S4_S5_PS6_PS9_PS4_, .Lfunc_end203-_ZN9rocsparseL33bsr2csr_block_per_row_8_32_kernelILj1024ELj16E21rocsparse_complex_numIfEllEEv20rocsparse_direction_T3_S4_21rocsparse_index_base_PKT1_PKT2_PKS4_S4_S5_PS6_PS9_PS4_
                                        ; -- End function
	.set _ZN9rocsparseL33bsr2csr_block_per_row_8_32_kernelILj1024ELj16E21rocsparse_complex_numIfEllEEv20rocsparse_direction_T3_S4_21rocsparse_index_base_PKT1_PKT2_PKS4_S4_S5_PS6_PS9_PS4_.num_vgpr, 18
	.set _ZN9rocsparseL33bsr2csr_block_per_row_8_32_kernelILj1024ELj16E21rocsparse_complex_numIfEllEEv20rocsparse_direction_T3_S4_21rocsparse_index_base_PKT1_PKT2_PKS4_S4_S5_PS6_PS9_PS4_.num_agpr, 0
	.set _ZN9rocsparseL33bsr2csr_block_per_row_8_32_kernelILj1024ELj16E21rocsparse_complex_numIfEllEEv20rocsparse_direction_T3_S4_21rocsparse_index_base_PKT1_PKT2_PKS4_S4_S5_PS6_PS9_PS4_.numbered_sgpr, 26
	.set _ZN9rocsparseL33bsr2csr_block_per_row_8_32_kernelILj1024ELj16E21rocsparse_complex_numIfEllEEv20rocsparse_direction_T3_S4_21rocsparse_index_base_PKT1_PKT2_PKS4_S4_S5_PS6_PS9_PS4_.num_named_barrier, 0
	.set _ZN9rocsparseL33bsr2csr_block_per_row_8_32_kernelILj1024ELj16E21rocsparse_complex_numIfEllEEv20rocsparse_direction_T3_S4_21rocsparse_index_base_PKT1_PKT2_PKS4_S4_S5_PS6_PS9_PS4_.private_seg_size, 0
	.set _ZN9rocsparseL33bsr2csr_block_per_row_8_32_kernelILj1024ELj16E21rocsparse_complex_numIfEllEEv20rocsparse_direction_T3_S4_21rocsparse_index_base_PKT1_PKT2_PKS4_S4_S5_PS6_PS9_PS4_.uses_vcc, 1
	.set _ZN9rocsparseL33bsr2csr_block_per_row_8_32_kernelILj1024ELj16E21rocsparse_complex_numIfEllEEv20rocsparse_direction_T3_S4_21rocsparse_index_base_PKT1_PKT2_PKS4_S4_S5_PS6_PS9_PS4_.uses_flat_scratch, 0
	.set _ZN9rocsparseL33bsr2csr_block_per_row_8_32_kernelILj1024ELj16E21rocsparse_complex_numIfEllEEv20rocsparse_direction_T3_S4_21rocsparse_index_base_PKT1_PKT2_PKS4_S4_S5_PS6_PS9_PS4_.has_dyn_sized_stack, 0
	.set _ZN9rocsparseL33bsr2csr_block_per_row_8_32_kernelILj1024ELj16E21rocsparse_complex_numIfEllEEv20rocsparse_direction_T3_S4_21rocsparse_index_base_PKT1_PKT2_PKS4_S4_S5_PS6_PS9_PS4_.has_recursion, 0
	.set _ZN9rocsparseL33bsr2csr_block_per_row_8_32_kernelILj1024ELj16E21rocsparse_complex_numIfEllEEv20rocsparse_direction_T3_S4_21rocsparse_index_base_PKT1_PKT2_PKS4_S4_S5_PS6_PS9_PS4_.has_indirect_call, 0
	.section	.AMDGPU.csdata,"",@progbits
; Kernel info:
; codeLenInByte = 708
; TotalNumSgprs: 28
; NumVgprs: 18
; ScratchSize: 0
; MemoryBound: 0
; FloatMode: 240
; IeeeMode: 1
; LDSByteSize: 0 bytes/workgroup (compile time only)
; SGPRBlocks: 0
; VGPRBlocks: 1
; NumSGPRsForWavesPerEU: 28
; NumVGPRsForWavesPerEU: 18
; NamedBarCnt: 0
; Occupancy: 16
; WaveLimiterHint : 0
; COMPUTE_PGM_RSRC2:SCRATCH_EN: 0
; COMPUTE_PGM_RSRC2:USER_SGPR: 2
; COMPUTE_PGM_RSRC2:TRAP_HANDLER: 0
; COMPUTE_PGM_RSRC2:TGID_X_EN: 1
; COMPUTE_PGM_RSRC2:TGID_Y_EN: 0
; COMPUTE_PGM_RSRC2:TGID_Z_EN: 0
; COMPUTE_PGM_RSRC2:TIDIG_COMP_CNT: 0
	.section	.text._ZN9rocsparseL33bsr2csr_block_per_row_8_32_kernelILj1024ELj32E21rocsparse_complex_numIfEllEEv20rocsparse_direction_T3_S4_21rocsparse_index_base_PKT1_PKT2_PKS4_S4_S5_PS6_PS9_PS4_,"axG",@progbits,_ZN9rocsparseL33bsr2csr_block_per_row_8_32_kernelILj1024ELj32E21rocsparse_complex_numIfEllEEv20rocsparse_direction_T3_S4_21rocsparse_index_base_PKT1_PKT2_PKS4_S4_S5_PS6_PS9_PS4_,comdat
	.globl	_ZN9rocsparseL33bsr2csr_block_per_row_8_32_kernelILj1024ELj32E21rocsparse_complex_numIfEllEEv20rocsparse_direction_T3_S4_21rocsparse_index_base_PKT1_PKT2_PKS4_S4_S5_PS6_PS9_PS4_ ; -- Begin function _ZN9rocsparseL33bsr2csr_block_per_row_8_32_kernelILj1024ELj32E21rocsparse_complex_numIfEllEEv20rocsparse_direction_T3_S4_21rocsparse_index_base_PKT1_PKT2_PKS4_S4_S5_PS6_PS9_PS4_
	.p2align	8
	.type	_ZN9rocsparseL33bsr2csr_block_per_row_8_32_kernelILj1024ELj32E21rocsparse_complex_numIfEllEEv20rocsparse_direction_T3_S4_21rocsparse_index_base_PKT1_PKT2_PKS4_S4_S5_PS6_PS9_PS4_,@function
_ZN9rocsparseL33bsr2csr_block_per_row_8_32_kernelILj1024ELj32E21rocsparse_complex_numIfEllEEv20rocsparse_direction_T3_S4_21rocsparse_index_base_PKT1_PKT2_PKS4_S4_S5_PS6_PS9_PS4_: ; @_ZN9rocsparseL33bsr2csr_block_per_row_8_32_kernelILj1024ELj32E21rocsparse_complex_numIfEllEEv20rocsparse_direction_T3_S4_21rocsparse_index_base_PKT1_PKT2_PKS4_S4_S5_PS6_PS9_PS4_
; %bb.0:
	s_clause 0x1
	s_load_b32 s10, s[0:1], 0x40
	s_load_b64 s[16:17], s[0:1], 0x50
	s_bfe_u32 s2, ttmp6, 0x4000c
	s_and_b32 s3, ttmp6, 15
	s_add_co_i32 s2, s2, 1
	s_getreg_b32 s4, hwreg(HW_REG_IB_STS2, 6, 4)
	s_mul_i32 s2, ttmp9, s2
	s_mov_b32 s23, 0
	s_add_co_i32 s3, s3, s2
	s_cmp_eq_u32 s4, 0
	s_mov_b32 s2, exec_lo
	s_cselect_b32 s22, ttmp9, s3
	s_delay_alu instid0(SALU_CYCLE_1) | instskip(NEXT) | instid1(VALU_DEP_1)
	v_or_b32_e32 v1, s22, v0
	v_cmpx_eq_u32_e32 0, v1
	s_cbranch_execz .LBB204_2
; %bb.1:
	s_wait_kmcnt 0x0
	v_dual_mov_b32 v2, s10 :: v_dual_mov_b32 v3, 0
	global_store_b64 v3, v[2:3], s[16:17]
.LBB204_2:
	s_wait_xcnt 0x0
	s_or_b32 exec_lo, exec_lo, s2
	v_dual_mov_b32 v3, 0 :: v_dual_bitop2_b32 v2, 31, v0 bitop3:0x40
	v_lshrrev_b32_e32 v0, 5, v0
	s_load_b64 s[2:3], s[0:1], 0x38
	s_mov_b32 s4, exec_lo
	s_delay_alu instid0(VALU_DEP_2) | instskip(NEXT) | instid1(VALU_DEP_1)
	v_mov_b32_e32 v1, v3
	v_max_i64 v[4:5], v[0:1], v[2:3]
	s_wait_kmcnt 0x0
	s_delay_alu instid0(VALU_DEP_1)
	v_cmpx_gt_i64_e64 s[2:3], v[4:5]
	s_cbranch_execz .LBB204_6
; %bb.3:
	s_clause 0x1
	s_load_b64 s[4:5], s[0:1], 0x28
	s_load_b32 s8, s[0:1], 0x18
	s_lshl_b64 s[6:7], s[22:23], 3
	s_mov_b32 s9, 0
	s_mul_u64 s[18:19], s[2:3], s[2:3]
	s_mov_b32 s11, s9
	s_wait_kmcnt 0x0
	s_add_nc_u64 s[12:13], s[4:5], s[6:7]
	s_load_b128 s[4:7], s[12:13], 0x0
	s_wait_kmcnt 0x0
	s_sub_nc_u64 s[12:13], s[4:5], s[8:9]
	s_sub_nc_u64 s[14:15], s[6:7], s[8:9]
	s_mul_u64 s[20:21], s[12:13], s[18:19]
	s_sub_nc_u64 s[24:25], s[14:15], s[12:13]
	s_delay_alu instid0(SALU_CYCLE_1) | instskip(NEXT) | instid1(SALU_CYCLE_1)
	s_mul_u64 s[26:27], s[24:25], s[2:3]
	s_add_nc_u64 s[28:29], s[26:27], s[10:11]
	s_delay_alu instid0(SALU_CYCLE_1) | instskip(NEXT) | instid1(SALU_CYCLE_1)
	s_add_nc_u64 s[28:29], s[28:29], s[20:21]
	v_mad_nc_u64_u32 v[4:5], s26, v0, s[28:29]
	v_cmp_ge_i64_e64 s26, s[4:5], s[6:7]
	s_mul_u64 s[6:7], s[2:3], s[22:23]
	s_delay_alu instid0(SALU_CYCLE_1) | instskip(NEXT) | instid1(SALU_CYCLE_1)
	s_lshl_b64 s[6:7], s[6:7], 3
	s_add_nc_u64 s[6:7], s[16:17], s[6:7]
	s_and_b32 vcc_lo, exec_lo, s26
	v_mad_u32 v5, s27, v0, v5
	global_store_b64 v0, v[4:5], s[6:7] offset:8 scale_offset
	s_cbranch_vccnz .LBB204_6
; %bb.4:
	s_wait_xcnt 0x0
	s_mul_u64 s[6:7], s[2:3], s[12:13]
	v_mul_u64_e32 v[4:5], s[2:3], v[2:3]
	v_mad_nc_u64_u32 v[6:7], v0, s24, s[6:7]
	v_mul_u64_e32 v[8:9], s[2:3], v[0:1]
	s_clause 0x3
	s_load_b64 s[16:17], s[0:1], 0x20
	s_load_b64 s[22:23], s[0:1], 0x30
	;; [unrolled: 1-line block ×3, first 2 shown]
	s_load_b32 s24, s[0:1], 0x0
	v_dual_mov_b32 v11, 0 :: v_dual_lshlrev_b32 v10, 3, v0
	s_wait_xcnt 0x0
	s_load_b64 s[0:1], s[0:1], 0x58
	s_delay_alu instid0(VALU_DEP_3) | instskip(NEXT) | instid1(VALU_DEP_1)
	v_mad_u32 v7, v0, s25, v7
	v_mul_u64_e32 v[6:7], s[2:3], v[6:7]
	s_wait_kmcnt 0x0
	s_cmp_eq_u32 s24, 0
	s_cselect_b32 vcc_lo, -1, 0
	s_lshl_b64 s[4:5], s[4:5], 3
	v_lshl_add_u64 v[0:1], v[4:5], 3, s[16:17]
	v_lshl_add_u64 v[4:5], v[8:9], 3, s[16:17]
	s_lshl_b64 s[16:17], s[8:9], 3
	s_delay_alu instid0(VALU_DEP_2) | instskip(SKIP_4) | instid1(VALU_DEP_1)
	v_add_nc_u64_e32 v[0:1], v[0:1], v[10:11]
	v_lshlrev_b32_e32 v10, 3, v2
	s_sub_nc_u64 s[16:17], s[4:5], s[16:17]
	s_lshl_b64 s[4:5], s[2:3], 3
	s_add_nc_u64 s[16:17], s[22:23], s[16:17]
	v_add_nc_u64_e32 v[4:5], v[4:5], v[10:11]
	s_delay_alu instid0(VALU_DEP_1) | instskip(SKIP_2) | instid1(VALU_DEP_2)
	v_dual_cndmask_b32 v5, v1, v5 :: v_dual_cndmask_b32 v4, v0, v4
	v_add_nc_u64_e32 v[0:1], s[10:11], v[2:3]
	s_lshl_b64 s[10:11], s[18:19], 3
	v_lshl_add_u64 v[2:3], s[20:21], 3, v[4:5]
	v_lshl_add_u64 v[4:5], v[6:7], 3, v[10:11]
.LBB204_5:                              ; =>This Inner Loop Header: Depth=1
	global_load_b64 v[6:7], v[2:3], off
	s_load_b64 s[18:19], s[16:17], 0x0
	s_add_nc_u64 s[12:13], s[12:13], 1
	v_add_nc_u64_e32 v[8:9], s[0:1], v[4:5]
	v_cmp_lt_i64_e64 s20, s[12:13], s[14:15]
	v_add_nc_u64_e32 v[10:11], s[6:7], v[4:5]
	v_add_nc_u64_e32 v[2:3], s[10:11], v[2:3]
	;; [unrolled: 1-line block ×3, first 2 shown]
	s_wait_xcnt 0x0
	s_add_nc_u64 s[16:17], s[16:17], 8
	s_and_b32 vcc_lo, exec_lo, s20
	s_wait_kmcnt 0x0
	s_sub_nc_u64 s[18:19], s[18:19], s[8:9]
	s_delay_alu instid0(SALU_CYCLE_1)
	v_mad_nc_u64_u32 v[12:13], s18, s2, v[0:1]
	s_mul_i32 s19, s19, s2
	s_mul_i32 s18, s18, s3
	s_delay_alu instid0(VALU_DEP_1) | instid1(SALU_CYCLE_1)
	v_add3_u32 v13, s18, s19, v13
	global_store_b64 v[8:9], v[12:13], off
	s_wait_loadcnt 0x0
	global_store_b64 v[10:11], v[6:7], off
	s_cbranch_vccnz .LBB204_5
.LBB204_6:
	s_endpgm
	.section	.rodata,"a",@progbits
	.p2align	6, 0x0
	.amdhsa_kernel _ZN9rocsparseL33bsr2csr_block_per_row_8_32_kernelILj1024ELj32E21rocsparse_complex_numIfEllEEv20rocsparse_direction_T3_S4_21rocsparse_index_base_PKT1_PKT2_PKS4_S4_S5_PS6_PS9_PS4_
		.amdhsa_group_segment_fixed_size 0
		.amdhsa_private_segment_fixed_size 0
		.amdhsa_kernarg_size 96
		.amdhsa_user_sgpr_count 2
		.amdhsa_user_sgpr_dispatch_ptr 0
		.amdhsa_user_sgpr_queue_ptr 0
		.amdhsa_user_sgpr_kernarg_segment_ptr 1
		.amdhsa_user_sgpr_dispatch_id 0
		.amdhsa_user_sgpr_kernarg_preload_length 0
		.amdhsa_user_sgpr_kernarg_preload_offset 0
		.amdhsa_user_sgpr_private_segment_size 0
		.amdhsa_wavefront_size32 1
		.amdhsa_uses_dynamic_stack 0
		.amdhsa_enable_private_segment 0
		.amdhsa_system_sgpr_workgroup_id_x 1
		.amdhsa_system_sgpr_workgroup_id_y 0
		.amdhsa_system_sgpr_workgroup_id_z 0
		.amdhsa_system_sgpr_workgroup_info 0
		.amdhsa_system_vgpr_workitem_id 0
		.amdhsa_next_free_vgpr 14
		.amdhsa_next_free_sgpr 30
		.amdhsa_named_barrier_count 0
		.amdhsa_reserve_vcc 1
		.amdhsa_float_round_mode_32 0
		.amdhsa_float_round_mode_16_64 0
		.amdhsa_float_denorm_mode_32 3
		.amdhsa_float_denorm_mode_16_64 3
		.amdhsa_fp16_overflow 0
		.amdhsa_memory_ordered 1
		.amdhsa_forward_progress 1
		.amdhsa_inst_pref_size 6
		.amdhsa_round_robin_scheduling 0
		.amdhsa_exception_fp_ieee_invalid_op 0
		.amdhsa_exception_fp_denorm_src 0
		.amdhsa_exception_fp_ieee_div_zero 0
		.amdhsa_exception_fp_ieee_overflow 0
		.amdhsa_exception_fp_ieee_underflow 0
		.amdhsa_exception_fp_ieee_inexact 0
		.amdhsa_exception_int_div_zero 0
	.end_amdhsa_kernel
	.section	.text._ZN9rocsparseL33bsr2csr_block_per_row_8_32_kernelILj1024ELj32E21rocsparse_complex_numIfEllEEv20rocsparse_direction_T3_S4_21rocsparse_index_base_PKT1_PKT2_PKS4_S4_S5_PS6_PS9_PS4_,"axG",@progbits,_ZN9rocsparseL33bsr2csr_block_per_row_8_32_kernelILj1024ELj32E21rocsparse_complex_numIfEllEEv20rocsparse_direction_T3_S4_21rocsparse_index_base_PKT1_PKT2_PKS4_S4_S5_PS6_PS9_PS4_,comdat
.Lfunc_end204:
	.size	_ZN9rocsparseL33bsr2csr_block_per_row_8_32_kernelILj1024ELj32E21rocsparse_complex_numIfEllEEv20rocsparse_direction_T3_S4_21rocsparse_index_base_PKT1_PKT2_PKS4_S4_S5_PS6_PS9_PS4_, .Lfunc_end204-_ZN9rocsparseL33bsr2csr_block_per_row_8_32_kernelILj1024ELj32E21rocsparse_complex_numIfEllEEv20rocsparse_direction_T3_S4_21rocsparse_index_base_PKT1_PKT2_PKS4_S4_S5_PS6_PS9_PS4_
                                        ; -- End function
	.set _ZN9rocsparseL33bsr2csr_block_per_row_8_32_kernelILj1024ELj32E21rocsparse_complex_numIfEllEEv20rocsparse_direction_T3_S4_21rocsparse_index_base_PKT1_PKT2_PKS4_S4_S5_PS6_PS9_PS4_.num_vgpr, 14
	.set _ZN9rocsparseL33bsr2csr_block_per_row_8_32_kernelILj1024ELj32E21rocsparse_complex_numIfEllEEv20rocsparse_direction_T3_S4_21rocsparse_index_base_PKT1_PKT2_PKS4_S4_S5_PS6_PS9_PS4_.num_agpr, 0
	.set _ZN9rocsparseL33bsr2csr_block_per_row_8_32_kernelILj1024ELj32E21rocsparse_complex_numIfEllEEv20rocsparse_direction_T3_S4_21rocsparse_index_base_PKT1_PKT2_PKS4_S4_S5_PS6_PS9_PS4_.numbered_sgpr, 30
	.set _ZN9rocsparseL33bsr2csr_block_per_row_8_32_kernelILj1024ELj32E21rocsparse_complex_numIfEllEEv20rocsparse_direction_T3_S4_21rocsparse_index_base_PKT1_PKT2_PKS4_S4_S5_PS6_PS9_PS4_.num_named_barrier, 0
	.set _ZN9rocsparseL33bsr2csr_block_per_row_8_32_kernelILj1024ELj32E21rocsparse_complex_numIfEllEEv20rocsparse_direction_T3_S4_21rocsparse_index_base_PKT1_PKT2_PKS4_S4_S5_PS6_PS9_PS4_.private_seg_size, 0
	.set _ZN9rocsparseL33bsr2csr_block_per_row_8_32_kernelILj1024ELj32E21rocsparse_complex_numIfEllEEv20rocsparse_direction_T3_S4_21rocsparse_index_base_PKT1_PKT2_PKS4_S4_S5_PS6_PS9_PS4_.uses_vcc, 1
	.set _ZN9rocsparseL33bsr2csr_block_per_row_8_32_kernelILj1024ELj32E21rocsparse_complex_numIfEllEEv20rocsparse_direction_T3_S4_21rocsparse_index_base_PKT1_PKT2_PKS4_S4_S5_PS6_PS9_PS4_.uses_flat_scratch, 0
	.set _ZN9rocsparseL33bsr2csr_block_per_row_8_32_kernelILj1024ELj32E21rocsparse_complex_numIfEllEEv20rocsparse_direction_T3_S4_21rocsparse_index_base_PKT1_PKT2_PKS4_S4_S5_PS6_PS9_PS4_.has_dyn_sized_stack, 0
	.set _ZN9rocsparseL33bsr2csr_block_per_row_8_32_kernelILj1024ELj32E21rocsparse_complex_numIfEllEEv20rocsparse_direction_T3_S4_21rocsparse_index_base_PKT1_PKT2_PKS4_S4_S5_PS6_PS9_PS4_.has_recursion, 0
	.set _ZN9rocsparseL33bsr2csr_block_per_row_8_32_kernelILj1024ELj32E21rocsparse_complex_numIfEllEEv20rocsparse_direction_T3_S4_21rocsparse_index_base_PKT1_PKT2_PKS4_S4_S5_PS6_PS9_PS4_.has_indirect_call, 0
	.section	.AMDGPU.csdata,"",@progbits
; Kernel info:
; codeLenInByte = 660
; TotalNumSgprs: 32
; NumVgprs: 14
; ScratchSize: 0
; MemoryBound: 0
; FloatMode: 240
; IeeeMode: 1
; LDSByteSize: 0 bytes/workgroup (compile time only)
; SGPRBlocks: 0
; VGPRBlocks: 0
; NumSGPRsForWavesPerEU: 32
; NumVGPRsForWavesPerEU: 14
; NamedBarCnt: 0
; Occupancy: 16
; WaveLimiterHint : 0
; COMPUTE_PGM_RSRC2:SCRATCH_EN: 0
; COMPUTE_PGM_RSRC2:USER_SGPR: 2
; COMPUTE_PGM_RSRC2:TRAP_HANDLER: 0
; COMPUTE_PGM_RSRC2:TGID_X_EN: 1
; COMPUTE_PGM_RSRC2:TGID_Y_EN: 0
; COMPUTE_PGM_RSRC2:TGID_Z_EN: 0
; COMPUTE_PGM_RSRC2:TIDIG_COMP_CNT: 0
	.section	.text._ZN9rocsparseL35bsr2csr_block_per_row_33_256_kernelILj1024ELj64ELj32E21rocsparse_complex_numIfEllEEv20rocsparse_direction_T4_S4_21rocsparse_index_base_PKT2_PKT3_PKS4_S4_S5_PS6_PS9_PS4_,"axG",@progbits,_ZN9rocsparseL35bsr2csr_block_per_row_33_256_kernelILj1024ELj64ELj32E21rocsparse_complex_numIfEllEEv20rocsparse_direction_T4_S4_21rocsparse_index_base_PKT2_PKT3_PKS4_S4_S5_PS6_PS9_PS4_,comdat
	.globl	_ZN9rocsparseL35bsr2csr_block_per_row_33_256_kernelILj1024ELj64ELj32E21rocsparse_complex_numIfEllEEv20rocsparse_direction_T4_S4_21rocsparse_index_base_PKT2_PKT3_PKS4_S4_S5_PS6_PS9_PS4_ ; -- Begin function _ZN9rocsparseL35bsr2csr_block_per_row_33_256_kernelILj1024ELj64ELj32E21rocsparse_complex_numIfEllEEv20rocsparse_direction_T4_S4_21rocsparse_index_base_PKT2_PKT3_PKS4_S4_S5_PS6_PS9_PS4_
	.p2align	8
	.type	_ZN9rocsparseL35bsr2csr_block_per_row_33_256_kernelILj1024ELj64ELj32E21rocsparse_complex_numIfEllEEv20rocsparse_direction_T4_S4_21rocsparse_index_base_PKT2_PKT3_PKS4_S4_S5_PS6_PS9_PS4_,@function
_ZN9rocsparseL35bsr2csr_block_per_row_33_256_kernelILj1024ELj64ELj32E21rocsparse_complex_numIfEllEEv20rocsparse_direction_T4_S4_21rocsparse_index_base_PKT2_PKT3_PKS4_S4_S5_PS6_PS9_PS4_: ; @_ZN9rocsparseL35bsr2csr_block_per_row_33_256_kernelILj1024ELj64ELj32E21rocsparse_complex_numIfEllEEv20rocsparse_direction_T4_S4_21rocsparse_index_base_PKT2_PKT3_PKS4_S4_S5_PS6_PS9_PS4_
; %bb.0:
	s_load_b64 s[8:9], s[0:1], 0x28
	s_bfe_u32 s2, ttmp6, 0x4000c
	s_and_b32 s3, ttmp6, 15
	s_add_co_i32 s2, s2, 1
	s_getreg_b32 s4, hwreg(HW_REG_IB_STS2, 6, 4)
	s_mul_i32 s2, ttmp9, s2
	s_mov_b32 s7, 0
	s_add_co_i32 s3, s3, s2
	s_cmp_eq_u32 s4, 0
	s_clause 0x1
	s_load_b32 s12, s[0:1], 0x40
	s_load_b64 s[4:5], s[0:1], 0x50
	s_cselect_b32 s2, ttmp9, s3
	s_mov_b32 s3, s7
	v_or_b32_e32 v1, s2, v0
	s_lshl_b64 s[10:11], s[2:3], 3
	s_mov_b32 s13, s7
	s_mov_b32 s6, exec_lo
	s_wait_kmcnt 0x0
	s_add_nc_u64 s[14:15], s[8:9], s[10:11]
	s_load_b128 s[8:11], s[14:15], 0x0
	v_cmpx_eq_u32_e32 0, v1
	s_cbranch_execz .LBB205_2
; %bb.1:
	v_mov_b64_e32 v[2:3], s[12:13]
	v_mov_b32_e32 v1, 0
	global_store_b64 v1, v[2:3], s[4:5]
.LBB205_2:
	s_wait_xcnt 0x0
	s_or_b32 exec_lo, exec_lo, s6
	s_clause 0x1
	s_load_b32 s6, s[0:1], 0x18
	s_load_b64 s[14:15], s[0:1], 0x38
	v_dual_mov_b32 v3, 0 :: v_dual_lshrrev_b32 v2, 5, v0
	s_wait_kmcnt 0x0
	s_sub_nc_u64 s[16:17], s[8:9], s[6:7]
	s_sub_nc_u64 s[18:19], s[10:11], s[6:7]
	s_mul_u64 s[20:21], s[14:15], s[16:17]
	s_mul_u64 s[24:25], s[14:15], s[2:3]
	v_cmp_gt_i64_e64 s3, s[14:15], v[2:3]
	s_sub_nc_u64 s[26:27], s[18:19], s[16:17]
	s_mul_u64 s[28:29], s[20:21], s[14:15]
	s_mul_u64 s[22:23], s[26:27], s[14:15]
	s_add_nc_u64 s[28:29], s[28:29], s[12:13]
	s_lshl_b64 s[24:25], s[24:25], 3
	s_add_nc_u64 s[28:29], s[28:29], s[22:23]
	s_add_nc_u64 s[24:25], s[4:5], s[24:25]
	s_and_saveexec_b32 s2, s3
	s_cbranch_execz .LBB205_4
; %bb.3:
	v_mad_nc_u64_u32 v[4:5], v2, s22, s[28:29]
	s_delay_alu instid0(VALU_DEP_1)
	v_mad_u32 v5, v2, s23, v5
	global_store_b64 v2, v[4:5], s[24:25] offset:8 scale_offset
.LBB205_4:
	s_wait_xcnt 0x0
	s_or_b32 exec_lo, exec_lo, s2
	v_dual_mov_b32 v5, v3 :: v_dual_bitop2_b32 v4, 32, v2 bitop3:0x54
	s_delay_alu instid0(VALU_DEP_1)
	v_cmp_gt_i64_e64 s4, s[14:15], v[4:5]
	s_and_saveexec_b32 s2, s4
	s_cbranch_execz .LBB205_6
; %bb.5:
	v_mad_nc_u64_u32 v[6:7], v4, s22, s[28:29]
	s_delay_alu instid0(VALU_DEP_1)
	v_mad_u32 v7, v4, s23, v7
	global_store_b64 v2, v[6:7], s[24:25] offset:264 scale_offset
.LBB205_6:
	s_wait_xcnt 0x0
	s_or_b32 exec_lo, exec_lo, s2
	v_cmp_lt_i64_e64 s2, s[8:9], s[10:11]
	s_and_b32 vcc_lo, exec_lo, s2
	s_cbranch_vccz .LBB205_17
; %bb.7:
	s_clause 0x2
	s_load_b64 s[22:23], s[0:1], 0x30
	s_load_b64 s[24:25], s[0:1], 0x48
	s_load_b32 s2, s[0:1], 0x0
	v_mad_nc_u64_u32 v[4:5], v2, s26, s[20:21]
	v_dual_mov_b32 v1, 0 :: v_dual_bitop2_b32 v0, 31, v0 bitop3:0x40
	s_delay_alu instid0(VALU_DEP_1) | instskip(SKIP_1) | instid1(VALU_DEP_3)
	v_dual_mov_b32 v13, v1 :: v_dual_lshlrev_b32 v12, 3, v2
	v_mov_b32_e32 v3, v1
	v_cmp_gt_i64_e32 vcc_lo, s[14:15], v[0:1]
	v_mad_u32 v5, v2, s27, v5
	v_lshlrev_b32_e32 v2, 3, v0
	s_wait_kmcnt 0x0
	s_cmp_eq_u32 s2, 0
	s_cselect_b32 s2, -1, 0
	s_lshl_b64 s[10:11], s[10:11], 5
	s_lshl_b64 s[26:27], s[8:9], 5
	s_delay_alu instid0(VALU_DEP_2)
	v_add_nc_u64_e32 v[6:7], s[10:11], v[4:5]
	s_load_b64 s[10:11], s[0:1], 0x20
	s_lshl_b64 s[20:21], s[20:21], 3
	v_mul_u64_e32 v[20:21], s[14:15], v[4:5]
	v_add_nc_u64_e32 v[14:15], s[20:21], v[12:13]
	v_add_nc_u64_e32 v[16:17], s[20:21], v[2:3]
	s_load_b64 s[20:21], s[0:1], 0x58
	v_sub_nc_u64_e64 v[6:7], v[6:7], s[26:27]
	v_dual_mov_b32 v5, v1 :: v_dual_bitop2_b32 v4, 32, v0 bitop3:0x54
	s_and_b32 s26, s3, vcc_lo
	s_delay_alu instid0(VALU_DEP_4) | instskip(NEXT) | instid1(VALU_DEP_4)
	v_add_nc_u64_e32 v[22:23], 0x100, v[14:15]
	v_add_nc_u64_e32 v[24:25], 0x100, v[16:17]
	v_mad_nc_u64_u32 v[8:9], s14, v16, v[12:13]
	v_mul_u64_e32 v[18:19], s[14:15], v[6:7]
	s_wait_xcnt 0x0
	v_cmp_gt_i64_e64 s0, s[14:15], v[4:5]
	s_and_b32 s27, s4, vcc_lo
	v_mad_nc_u64_u32 v[12:13], s14, v24, v[12:13]
	s_wait_kmcnt 0x0
	v_mad_nc_u64_u32 v[6:7], s14, v14, s[10:11]
	v_mad_nc_u64_u32 v[10:11], s14, v22, s[10:11]
	s_and_b32 s3, s3, s0
	v_mad_u32 v9, s15, v16, v9
	s_and_b32 s28, s4, s0
	s_lshl_b64 s[0:1], s[8:9], 3
	s_lshl_b64 s[4:5], s[6:7], 3
	s_mul_u64 s[8:9], s[14:15], s[14:15]
	s_sub_nc_u64 s[4:5], s[0:1], s[4:5]
	v_mad_u32 v13, s15, v24, v13
	s_lshl_b64 s[0:1], s[8:9], 3
	v_mad_u32 v7, s15, v14, v7
	v_mad_u32 v11, s15, v22, v11
	s_add_nc_u64 s[4:5], s[22:23], s[4:5]
	v_lshl_add_u64 v[20:21], v[20:21], 3, 0x100
	v_mad_u32 v9, s14, v17, v9
	s_lshl_b64 s[8:9], s[14:15], 3
	v_mad_u32 v13, s14, v25, v13
	v_mad_u32 v7, s14, v15, v7
	;; [unrolled: 1-line block ×3, first 2 shown]
	v_add_nc_u64_e32 v[14:15], s[20:21], v[20:21]
	v_lshlrev_b64_e32 v[18:19], 3, v[18:19]
	v_add_nc_u64_e32 v[20:21], s[24:25], v[20:21]
	s_delay_alu instid0(VALU_DEP_2)
	v_add_nc_u64_e32 v[16:17], s[24:25], v[18:19]
	v_add_nc_u64_e32 v[18:19], s[20:21], v[18:19]
	s_branch .LBB205_9
.LBB205_8:                              ;   in Loop: Header=BB205_9 Depth=1
	s_wait_xcnt 0x0
	s_or_b32 exec_lo, exec_lo, s20
	s_add_nc_u64 s[16:17], s[16:17], 1
	v_add_nc_u64_e32 v[10:11], s[0:1], v[10:11]
	v_cmp_ge_i64_e64 s20, s[16:17], s[18:19]
	v_add_nc_u64_e32 v[6:7], s[0:1], v[6:7]
	v_add_nc_u64_e32 v[14:15], s[8:9], v[14:15]
	;; [unrolled: 1-line block ×5, first 2 shown]
	s_add_nc_u64 s[10:11], s[10:11], s[0:1]
	s_and_b32 vcc_lo, exec_lo, s20
	s_add_nc_u64 s[4:5], s[4:5], 8
	s_cbranch_vccnz .LBB205_17
.LBB205_9:                              ; =>This Inner Loop Header: Depth=1
	s_load_b64 s[20:21], s[4:5], 0x0
	v_add_nc_u64_e32 v[30:31], v[14:15], v[2:3]
	s_delay_alu instid0(VALU_DEP_2) | instskip(SKIP_4) | instid1(SALU_CYCLE_1)
	v_add_nc_u64_e32 v[32:33], v[20:21], v[2:3]
	v_add_nc_u64_e32 v[34:35], v[6:7], v[2:3]
	;; [unrolled: 1-line block ×3, first 2 shown]
	s_wait_kmcnt 0x0
	s_sub_nc_u64 s[20:21], s[20:21], s[6:7]
	s_mul_u64 s[20:21], s[20:21], s[14:15]
	s_delay_alu instid0(SALU_CYCLE_1) | instskip(NEXT) | instid1(SALU_CYCLE_1)
	s_add_nc_u64 s[20:21], s[20:21], s[12:13]
	v_add_nc_u64_e32 v[22:23], s[20:21], v[0:1]
	s_and_saveexec_b32 s22, s26
	s_cbranch_execz .LBB205_11
; %bb.10:                               ;   in Loop: Header=BB205_9 Depth=1
	v_dual_cndmask_b32 v25, v29, v35, s2 :: v_dual_cndmask_b32 v24, v28, v34, s2
	global_load_b64 v[24:25], v[24:25], off
	global_store_b64 v[30:31], v[22:23], off offset:-256
	s_wait_loadcnt 0x0
	global_store_b64 v[32:33], v[24:25], off offset:-256
.LBB205_11:                             ;   in Loop: Header=BB205_9 Depth=1
	s_wait_xcnt 0x0
	s_or_b32 exec_lo, exec_lo, s22
	v_add_nc_u64_e32 v[24:25], s[20:21], v[4:5]
	v_add_nc_u64_e32 v[26:27], s[10:11], v[12:13]
	s_and_saveexec_b32 s20, s3
	s_cbranch_execz .LBB205_13
; %bb.12:                               ;   in Loop: Header=BB205_9 Depth=1
	v_add_nc_u64_e32 v[34:35], 0x100, v[34:35]
	s_delay_alu instid0(VALU_DEP_1)
	v_dual_cndmask_b32 v35, v27, v35, s2 :: v_dual_cndmask_b32 v34, v26, v34, s2
	global_load_b64 v[34:35], v[34:35], off
	global_store_b64 v[30:31], v[24:25], off
	s_wait_loadcnt 0x0
	global_store_b64 v[32:33], v[34:35], off
.LBB205_13:                             ;   in Loop: Header=BB205_9 Depth=1
	s_wait_xcnt 0x0
	s_or_b32 exec_lo, exec_lo, s20
	v_add_nc_u64_e32 v[30:31], v[18:19], v[2:3]
	v_add_nc_u64_e32 v[32:33], v[16:17], v[2:3]
	;; [unrolled: 1-line block ×3, first 2 shown]
	s_and_saveexec_b32 s20, s27
	s_cbranch_execz .LBB205_15
; %bb.14:                               ;   in Loop: Header=BB205_9 Depth=1
	v_add_nc_u64_e32 v[28:29], 0x100, v[28:29]
	s_delay_alu instid0(VALU_DEP_1)
	v_dual_cndmask_b32 v29, v29, v35, s2 :: v_dual_cndmask_b32 v28, v28, v34, s2
	global_load_b64 v[28:29], v[28:29], off
	global_store_b64 v[30:31], v[22:23], off
	s_wait_loadcnt 0x0
	global_store_b64 v[32:33], v[28:29], off
.LBB205_15:                             ;   in Loop: Header=BB205_9 Depth=1
	s_wait_xcnt 0x0
	s_or_b32 exec_lo, exec_lo, s20
	s_and_saveexec_b32 s20, s28
	s_cbranch_execz .LBB205_8
; %bb.16:                               ;   in Loop: Header=BB205_9 Depth=1
	v_dual_cndmask_b32 v23, v27, v35, s2 :: v_dual_cndmask_b32 v22, v26, v34, s2
	global_load_b64 v[22:23], v[22:23], off offset:256
	global_store_b64 v[30:31], v[24:25], off offset:256
	s_wait_loadcnt 0x0
	global_store_b64 v[32:33], v[22:23], off offset:256
	s_branch .LBB205_8
.LBB205_17:
	s_endpgm
	.section	.rodata,"a",@progbits
	.p2align	6, 0x0
	.amdhsa_kernel _ZN9rocsparseL35bsr2csr_block_per_row_33_256_kernelILj1024ELj64ELj32E21rocsparse_complex_numIfEllEEv20rocsparse_direction_T4_S4_21rocsparse_index_base_PKT2_PKT3_PKS4_S4_S5_PS6_PS9_PS4_
		.amdhsa_group_segment_fixed_size 0
		.amdhsa_private_segment_fixed_size 0
		.amdhsa_kernarg_size 96
		.amdhsa_user_sgpr_count 2
		.amdhsa_user_sgpr_dispatch_ptr 0
		.amdhsa_user_sgpr_queue_ptr 0
		.amdhsa_user_sgpr_kernarg_segment_ptr 1
		.amdhsa_user_sgpr_dispatch_id 0
		.amdhsa_user_sgpr_kernarg_preload_length 0
		.amdhsa_user_sgpr_kernarg_preload_offset 0
		.amdhsa_user_sgpr_private_segment_size 0
		.amdhsa_wavefront_size32 1
		.amdhsa_uses_dynamic_stack 0
		.amdhsa_enable_private_segment 0
		.amdhsa_system_sgpr_workgroup_id_x 1
		.amdhsa_system_sgpr_workgroup_id_y 0
		.amdhsa_system_sgpr_workgroup_id_z 0
		.amdhsa_system_sgpr_workgroup_info 0
		.amdhsa_system_vgpr_workitem_id 0
		.amdhsa_next_free_vgpr 36
		.amdhsa_next_free_sgpr 30
		.amdhsa_named_barrier_count 0
		.amdhsa_reserve_vcc 1
		.amdhsa_float_round_mode_32 0
		.amdhsa_float_round_mode_16_64 0
		.amdhsa_float_denorm_mode_32 3
		.amdhsa_float_denorm_mode_16_64 3
		.amdhsa_fp16_overflow 0
		.amdhsa_memory_ordered 1
		.amdhsa_forward_progress 1
		.amdhsa_inst_pref_size 10
		.amdhsa_round_robin_scheduling 0
		.amdhsa_exception_fp_ieee_invalid_op 0
		.amdhsa_exception_fp_denorm_src 0
		.amdhsa_exception_fp_ieee_div_zero 0
		.amdhsa_exception_fp_ieee_overflow 0
		.amdhsa_exception_fp_ieee_underflow 0
		.amdhsa_exception_fp_ieee_inexact 0
		.amdhsa_exception_int_div_zero 0
	.end_amdhsa_kernel
	.section	.text._ZN9rocsparseL35bsr2csr_block_per_row_33_256_kernelILj1024ELj64ELj32E21rocsparse_complex_numIfEllEEv20rocsparse_direction_T4_S4_21rocsparse_index_base_PKT2_PKT3_PKS4_S4_S5_PS6_PS9_PS4_,"axG",@progbits,_ZN9rocsparseL35bsr2csr_block_per_row_33_256_kernelILj1024ELj64ELj32E21rocsparse_complex_numIfEllEEv20rocsparse_direction_T4_S4_21rocsparse_index_base_PKT2_PKT3_PKS4_S4_S5_PS6_PS9_PS4_,comdat
.Lfunc_end205:
	.size	_ZN9rocsparseL35bsr2csr_block_per_row_33_256_kernelILj1024ELj64ELj32E21rocsparse_complex_numIfEllEEv20rocsparse_direction_T4_S4_21rocsparse_index_base_PKT2_PKT3_PKS4_S4_S5_PS6_PS9_PS4_, .Lfunc_end205-_ZN9rocsparseL35bsr2csr_block_per_row_33_256_kernelILj1024ELj64ELj32E21rocsparse_complex_numIfEllEEv20rocsparse_direction_T4_S4_21rocsparse_index_base_PKT2_PKT3_PKS4_S4_S5_PS6_PS9_PS4_
                                        ; -- End function
	.set _ZN9rocsparseL35bsr2csr_block_per_row_33_256_kernelILj1024ELj64ELj32E21rocsparse_complex_numIfEllEEv20rocsparse_direction_T4_S4_21rocsparse_index_base_PKT2_PKT3_PKS4_S4_S5_PS6_PS9_PS4_.num_vgpr, 36
	.set _ZN9rocsparseL35bsr2csr_block_per_row_33_256_kernelILj1024ELj64ELj32E21rocsparse_complex_numIfEllEEv20rocsparse_direction_T4_S4_21rocsparse_index_base_PKT2_PKT3_PKS4_S4_S5_PS6_PS9_PS4_.num_agpr, 0
	.set _ZN9rocsparseL35bsr2csr_block_per_row_33_256_kernelILj1024ELj64ELj32E21rocsparse_complex_numIfEllEEv20rocsparse_direction_T4_S4_21rocsparse_index_base_PKT2_PKT3_PKS4_S4_S5_PS6_PS9_PS4_.numbered_sgpr, 30
	.set _ZN9rocsparseL35bsr2csr_block_per_row_33_256_kernelILj1024ELj64ELj32E21rocsparse_complex_numIfEllEEv20rocsparse_direction_T4_S4_21rocsparse_index_base_PKT2_PKT3_PKS4_S4_S5_PS6_PS9_PS4_.num_named_barrier, 0
	.set _ZN9rocsparseL35bsr2csr_block_per_row_33_256_kernelILj1024ELj64ELj32E21rocsparse_complex_numIfEllEEv20rocsparse_direction_T4_S4_21rocsparse_index_base_PKT2_PKT3_PKS4_S4_S5_PS6_PS9_PS4_.private_seg_size, 0
	.set _ZN9rocsparseL35bsr2csr_block_per_row_33_256_kernelILj1024ELj64ELj32E21rocsparse_complex_numIfEllEEv20rocsparse_direction_T4_S4_21rocsparse_index_base_PKT2_PKT3_PKS4_S4_S5_PS6_PS9_PS4_.uses_vcc, 1
	.set _ZN9rocsparseL35bsr2csr_block_per_row_33_256_kernelILj1024ELj64ELj32E21rocsparse_complex_numIfEllEEv20rocsparse_direction_T4_S4_21rocsparse_index_base_PKT2_PKT3_PKS4_S4_S5_PS6_PS9_PS4_.uses_flat_scratch, 0
	.set _ZN9rocsparseL35bsr2csr_block_per_row_33_256_kernelILj1024ELj64ELj32E21rocsparse_complex_numIfEllEEv20rocsparse_direction_T4_S4_21rocsparse_index_base_PKT2_PKT3_PKS4_S4_S5_PS6_PS9_PS4_.has_dyn_sized_stack, 0
	.set _ZN9rocsparseL35bsr2csr_block_per_row_33_256_kernelILj1024ELj64ELj32E21rocsparse_complex_numIfEllEEv20rocsparse_direction_T4_S4_21rocsparse_index_base_PKT2_PKT3_PKS4_S4_S5_PS6_PS9_PS4_.has_recursion, 0
	.set _ZN9rocsparseL35bsr2csr_block_per_row_33_256_kernelILj1024ELj64ELj32E21rocsparse_complex_numIfEllEEv20rocsparse_direction_T4_S4_21rocsparse_index_base_PKT2_PKT3_PKS4_S4_S5_PS6_PS9_PS4_.has_indirect_call, 0
	.section	.AMDGPU.csdata,"",@progbits
; Kernel info:
; codeLenInByte = 1168
; TotalNumSgprs: 32
; NumVgprs: 36
; ScratchSize: 0
; MemoryBound: 0
; FloatMode: 240
; IeeeMode: 1
; LDSByteSize: 0 bytes/workgroup (compile time only)
; SGPRBlocks: 0
; VGPRBlocks: 2
; NumSGPRsForWavesPerEU: 32
; NumVGPRsForWavesPerEU: 36
; NamedBarCnt: 0
; Occupancy: 16
; WaveLimiterHint : 1
; COMPUTE_PGM_RSRC2:SCRATCH_EN: 0
; COMPUTE_PGM_RSRC2:USER_SGPR: 2
; COMPUTE_PGM_RSRC2:TRAP_HANDLER: 0
; COMPUTE_PGM_RSRC2:TGID_X_EN: 1
; COMPUTE_PGM_RSRC2:TGID_Y_EN: 0
; COMPUTE_PGM_RSRC2:TGID_Z_EN: 0
; COMPUTE_PGM_RSRC2:TIDIG_COMP_CNT: 0
	.section	.text._ZN9rocsparseL35bsr2csr_block_per_row_33_256_kernelILj1024ELj128ELj32E21rocsparse_complex_numIfEllEEv20rocsparse_direction_T4_S4_21rocsparse_index_base_PKT2_PKT3_PKS4_S4_S5_PS6_PS9_PS4_,"axG",@progbits,_ZN9rocsparseL35bsr2csr_block_per_row_33_256_kernelILj1024ELj128ELj32E21rocsparse_complex_numIfEllEEv20rocsparse_direction_T4_S4_21rocsparse_index_base_PKT2_PKT3_PKS4_S4_S5_PS6_PS9_PS4_,comdat
	.globl	_ZN9rocsparseL35bsr2csr_block_per_row_33_256_kernelILj1024ELj128ELj32E21rocsparse_complex_numIfEllEEv20rocsparse_direction_T4_S4_21rocsparse_index_base_PKT2_PKT3_PKS4_S4_S5_PS6_PS9_PS4_ ; -- Begin function _ZN9rocsparseL35bsr2csr_block_per_row_33_256_kernelILj1024ELj128ELj32E21rocsparse_complex_numIfEllEEv20rocsparse_direction_T4_S4_21rocsparse_index_base_PKT2_PKT3_PKS4_S4_S5_PS6_PS9_PS4_
	.p2align	8
	.type	_ZN9rocsparseL35bsr2csr_block_per_row_33_256_kernelILj1024ELj128ELj32E21rocsparse_complex_numIfEllEEv20rocsparse_direction_T4_S4_21rocsparse_index_base_PKT2_PKT3_PKS4_S4_S5_PS6_PS9_PS4_,@function
_ZN9rocsparseL35bsr2csr_block_per_row_33_256_kernelILj1024ELj128ELj32E21rocsparse_complex_numIfEllEEv20rocsparse_direction_T4_S4_21rocsparse_index_base_PKT2_PKT3_PKS4_S4_S5_PS6_PS9_PS4_: ; @_ZN9rocsparseL35bsr2csr_block_per_row_33_256_kernelILj1024ELj128ELj32E21rocsparse_complex_numIfEllEEv20rocsparse_direction_T4_S4_21rocsparse_index_base_PKT2_PKT3_PKS4_S4_S5_PS6_PS9_PS4_
; %bb.0:
	s_load_b64 s[6:7], s[0:1], 0x28
	s_bfe_u32 s2, ttmp6, 0x4000c
	s_and_b32 s3, ttmp6, 15
	s_add_co_i32 s2, s2, 1
	s_getreg_b32 s4, hwreg(HW_REG_IB_STS2, 6, 4)
	s_mul_i32 s2, ttmp9, s2
	s_mov_b32 s13, 0
	s_add_co_i32 s3, s3, s2
	s_cmp_eq_u32 s4, 0
	s_mov_b32 s5, s13
	s_cselect_b32 s4, ttmp9, s3
	s_clause 0x1
	s_load_b32 s14, s[0:1], 0x40
	s_load_b64 s[2:3], s[0:1], 0x50
	s_lshl_b64 s[8:9], s[4:5], 3
	v_or_b32_e32 v1, s4, v0
	s_mov_b32 s15, s13
	s_wait_kmcnt 0x0
	s_add_nc_u64 s[6:7], s[6:7], s[8:9]
	s_load_b128 s[8:11], s[6:7], 0x0
	s_wait_xcnt 0x0
	s_mov_b32 s6, exec_lo
	v_cmpx_eq_u32_e32 0, v1
	s_cbranch_execz .LBB206_2
; %bb.1:
	v_mov_b64_e32 v[2:3], s[14:15]
	v_mov_b32_e32 v1, 0
	global_store_b64 v1, v[2:3], s[2:3]
.LBB206_2:
	s_wait_xcnt 0x0
	s_or_b32 exec_lo, exec_lo, s6
	s_clause 0x1
	s_load_b32 s12, s[0:1], 0x18
	s_load_b64 s[16:17], s[0:1], 0x38
	v_dual_mov_b32 v9, 0 :: v_dual_lshrrev_b32 v8, 5, v0
	s_wait_kmcnt 0x0
	s_sub_nc_u64 s[18:19], s[8:9], s[12:13]
	s_sub_nc_u64 s[20:21], s[10:11], s[12:13]
	s_mul_u64 s[30:31], s[16:17], s[18:19]
	s_mul_u64 s[24:25], s[16:17], s[4:5]
	v_cmp_gt_i64_e64 s4, s[16:17], v[8:9]
	s_sub_nc_u64 s[6:7], s[20:21], s[18:19]
	s_mul_u64 s[26:27], s[30:31], s[16:17]
	s_mul_u64 s[22:23], s[6:7], s[16:17]
	s_add_nc_u64 s[26:27], s[26:27], s[14:15]
	s_lshl_b64 s[24:25], s[24:25], 3
	s_add_nc_u64 s[26:27], s[26:27], s[22:23]
	s_add_nc_u64 s[24:25], s[2:3], s[24:25]
	s_and_saveexec_b32 s2, s4
	s_cbranch_execz .LBB206_4
; %bb.3:
	v_mad_nc_u64_u32 v[2:3], v8, s22, s[26:27]
	s_delay_alu instid0(VALU_DEP_1)
	v_mad_u32 v3, v8, s23, v3
	global_store_b64 v8, v[2:3], s[24:25] offset:8 scale_offset
.LBB206_4:
	s_wait_xcnt 0x0
	s_or_b32 exec_lo, exec_lo, s2
	v_dual_mov_b32 v3, v9 :: v_dual_bitop2_b32 v2, 32, v8 bitop3:0x54
	s_delay_alu instid0(VALU_DEP_1)
	v_cmp_gt_i64_e64 s5, s[16:17], v[2:3]
	s_and_saveexec_b32 s2, s5
	s_cbranch_execz .LBB206_6
; %bb.5:
	v_mad_nc_u64_u32 v[4:5], v2, s22, s[26:27]
	s_delay_alu instid0(VALU_DEP_1)
	v_mad_u32 v5, v2, s23, v5
	global_store_b64 v8, v[4:5], s[24:25] offset:264 scale_offset
.LBB206_6:
	s_wait_xcnt 0x0
	s_or_b32 exec_lo, exec_lo, s2
	v_dual_mov_b32 v3, v9 :: v_dual_bitop2_b32 v2, 64, v8 bitop3:0x54
	s_delay_alu instid0(VALU_DEP_1)
	v_cmp_gt_i64_e64 s2, s[16:17], v[2:3]
	s_and_saveexec_b32 s3, s2
	s_cbranch_execz .LBB206_8
; %bb.7:
	v_mad_nc_u64_u32 v[4:5], v2, s22, s[26:27]
	s_delay_alu instid0(VALU_DEP_1)
	v_mad_u32 v5, v2, s23, v5
	global_store_b64 v8, v[4:5], s[24:25] offset:520 scale_offset
.LBB206_8:
	s_wait_xcnt 0x0
	s_or_b32 exec_lo, exec_lo, s3
	v_or_b32_e32 v2, 0x60, v8
	v_mov_b32_e32 v3, v9
	s_delay_alu instid0(VALU_DEP_1)
	v_cmp_gt_i64_e64 s3, s[16:17], v[2:3]
	s_and_saveexec_b32 s28, s3
	s_cbranch_execz .LBB206_10
; %bb.9:
	v_mad_nc_u64_u32 v[4:5], v2, s22, s[26:27]
	s_delay_alu instid0(VALU_DEP_1)
	v_mad_u32 v5, v2, s23, v5
	global_store_b64 v8, v[4:5], s[24:25] offset:776 scale_offset
.LBB206_10:
	s_wait_xcnt 0x0
	s_or_b32 exec_lo, exec_lo, s28
	v_cmp_lt_i64_e64 s22, s[8:9], s[10:11]
	s_and_b32 vcc_lo, exec_lo, s22
	s_cbranch_vccz .LBB206_45
; %bb.11:
	v_mad_nc_u64_u32 v[16:17], v8, s6, s[30:31]
	s_clause 0x2
	s_load_b64 s[24:25], s[0:1], 0x30
	s_load_b64 s[26:27], s[0:1], 0x48
	s_load_b32 s33, s[0:1], 0x0
	v_dual_mov_b32 v1, 0 :: v_dual_bitop2_b32 v0, 31, v0 bitop3:0x40
	v_lshlrev_b32_e32 v24, 3, v8
	s_clause 0x1
	s_load_b64 s[22:23], s[0:1], 0x20
	s_load_b64 s[28:29], s[0:1], 0x58
	v_dual_mov_b32 v5, v1 :: v_dual_bitop2_b32 v2, 32, v0 bitop3:0x54
	v_dual_mov_b32 v3, v1 :: v_dual_bitop2_b32 v4, 64, v0 bitop3:0x54
	v_mov_b32_e32 v7, v1
	v_mad_u32 v17, v8, s7, v17
	v_or_b32_e32 v6, 0x60, v0
	v_cmp_gt_i64_e32 vcc_lo, s[16:17], v[0:1]
	s_wait_xcnt 0x0
	v_cmp_gt_i64_e64 s1, s[16:17], v[2:3]
	v_cmp_gt_i64_e64 s6, s[16:17], v[4:5]
	v_dual_mov_b32 v25, v1 :: v_dual_lshlrev_b32 v8, 3, v0
	v_cmp_gt_i64_e64 s7, s[16:17], v[6:7]
	v_mov_b32_e32 v9, v1
	s_wait_kmcnt 0x0
	s_cmp_eq_u32 s33, 0
	v_mad_nc_u64_u32 v[18:19], 0x60, s10, v[16:17]
	s_cselect_b32 s0, -1, 0
	s_and_b32 s33, s4, vcc_lo
	s_and_b32 s34, s4, s1
	s_lshl_b64 s[42:43], s[30:31], 3
	s_and_b32 s30, s4, s6
	s_and_b32 s31, s4, s7
	s_and_b32 s35, s5, vcc_lo
	s_and_b32 s36, s5, s1
	s_and_b32 s37, s5, s6
	;; [unrolled: 1-line block ×3, first 2 shown]
	v_mad_u32 v19, 0x60, s11, v19
	s_lshl_b64 s[4:5], s[10:11], 5
	v_add_nc_u64_e32 v[26:27], s[42:43], v[24:25]
	v_add_nc_u64_e32 v[20:21], s[4:5], v[16:17]
	s_lshl_b64 s[4:5], s[10:11], 6
	s_mul_u64 s[10:11], s[8:9], 0x60
	v_add_nc_u64_e32 v[22:23], s[4:5], v[16:17]
	s_lshl_b64 s[4:5], s[8:9], 5
	v_add_nc_u64_e32 v[34:35], s[42:43], v[8:9]
	v_mul_u64_e32 v[38:39], s[16:17], v[16:17]
	v_sub_nc_u64_e64 v[20:21], v[20:21], s[4:5]
	s_lshl_b64 s[4:5], s[8:9], 6
	v_sub_nc_u64_e64 v[18:19], v[18:19], s[10:11]
	v_sub_nc_u64_e64 v[22:23], v[22:23], s[4:5]
	v_add_nc_u64_e32 v[28:29], 0x300, v[26:27]
	v_add_nc_u64_e32 v[32:33], 0x100, v[26:27]
	;; [unrolled: 1-line block ×3, first 2 shown]
	v_mul_u64_e32 v[42:43], s[16:17], v[20:21]
	v_add_nc_u64_e32 v[40:41], 0x200, v[34:35]
	v_mul_u64_e32 v[46:47], s[16:17], v[18:19]
	v_mul_u64_e32 v[48:49], s[16:17], v[22:23]
	v_add_nc_u64_e32 v[30:31], 0x200, v[26:27]
	v_add_nc_u64_e32 v[44:45], 0x300, v[34:35]
	v_mad_nc_u64_u32 v[10:11], s16, v28, s[22:23]
	v_mad_nc_u64_u32 v[14:15], s16, v32, s[22:23]
	;; [unrolled: 1-line block ×8, first 2 shown]
	s_and_b32 s39, s2, vcc_lo
	s_and_b32 s40, s2, s1
	s_and_b32 s10, s2, s6
	v_mad_u32 v11, s17, v28, v11
	v_mad_u32 v15, s17, v32, v15
	;; [unrolled: 1-line block ×8, first 2 shown]
	s_and_b32 s11, s2, s7
	s_and_b32 s41, s3, vcc_lo
	s_and_b32 s1, s3, s1
	v_mad_u32 v11, s16, v29, v11
	v_mad_u32 v15, s16, v33, v15
	;; [unrolled: 1-line block ×4, first 2 shown]
	v_lshlrev_b64_e32 v[28:29], 3, v[38:39]
	v_lshlrev_b64_e32 v[32:33], 3, v[42:43]
	;; [unrolled: 1-line block ×4, first 2 shown]
	v_mad_u32 v13, s16, v31, v13
	v_mad_u32 v17, s16, v27, v17
	;; [unrolled: 1-line block ×4, first 2 shown]
	v_add_nc_u64_e32 v[26:27], s[28:29], v[28:29]
	v_add_nc_u64_e32 v[28:29], s[26:27], v[28:29]
	;; [unrolled: 1-line block ×8, first 2 shown]
	s_and_b32 s42, s3, s6
	s_and_b32 s43, s3, s7
	s_lshl_b64 s[2:3], s[8:9], 3
	s_lshl_b64 s[4:5], s[12:13], 3
	s_mul_u64 s[6:7], s[16:17], s[16:17]
	s_sub_nc_u64 s[4:5], s[2:3], s[4:5]
	s_lshl_b64 s[2:3], s[6:7], 3
	s_add_nc_u64 s[4:5], s[24:25], s[4:5]
	s_lshl_b64 s[6:7], s[16:17], 3
	s_branch .LBB206_13
.LBB206_12:                             ;   in Loop: Header=BB206_13 Depth=1
	s_wait_xcnt 0x0
	s_or_b32 exec_lo, exec_lo, s8
	s_add_nc_u64 s[18:19], s[18:19], 1
	v_add_nc_u64_e32 v[10:11], s[2:3], v[10:11]
	v_cmp_ge_i64_e64 s8, s[18:19], s[20:21]
	v_add_nc_u64_e32 v[12:13], s[2:3], v[12:13]
	v_add_nc_u64_e32 v[14:15], s[2:3], v[14:15]
	;; [unrolled: 1-line block ×11, first 2 shown]
	s_add_nc_u64 s[22:23], s[22:23], s[2:3]
	s_and_b32 vcc_lo, exec_lo, s8
	s_add_nc_u64 s[4:5], s[4:5], 8
	s_cbranch_vccnz .LBB206_45
.LBB206_13:                             ; =>This Inner Loop Header: Depth=1
	s_load_b64 s[8:9], s[4:5], 0x0
	v_add_nc_u64_e32 v[58:59], v[26:27], v[8:9]
	v_add_nc_u64_e32 v[60:61], v[28:29], v[8:9]
	;; [unrolled: 1-line block ×4, first 2 shown]
	s_wait_kmcnt 0x0
	s_sub_nc_u64 s[8:9], s[8:9], s[12:13]
	s_delay_alu instid0(SALU_CYCLE_1) | instskip(NEXT) | instid1(SALU_CYCLE_1)
	s_mul_u64 s[8:9], s[8:9], s[16:17]
	s_add_nc_u64 s[8:9], s[8:9], s[14:15]
	s_delay_alu instid0(SALU_CYCLE_1)
	v_add_nc_u64_e32 v[44:45], s[8:9], v[0:1]
	s_and_saveexec_b32 s24, s33
	s_cbranch_execz .LBB206_15
; %bb.14:                               ;   in Loop: Header=BB206_13 Depth=1
	v_dual_cndmask_b32 v43, v53, v63, s0 :: v_dual_cndmask_b32 v42, v52, v62, s0
	global_load_b64 v[42:43], v[42:43], off
	global_store_b64 v[58:59], v[44:45], off
	s_wait_loadcnt 0x0
	global_store_b64 v[60:61], v[42:43], off
.LBB206_15:                             ;   in Loop: Header=BB206_13 Depth=1
	s_wait_xcnt 0x0
	s_or_b32 exec_lo, exec_lo, s24
	v_add_nc_u64_e32 v[42:43], s[8:9], v[2:3]
	v_add_nc_u64_e32 v[50:51], s[22:23], v[20:21]
	s_and_saveexec_b32 s24, s34
	s_cbranch_execz .LBB206_17
; %bb.16:                               ;   in Loop: Header=BB206_13 Depth=1
	v_add_nc_u64_e32 v[46:47], 0x100, v[62:63]
	s_delay_alu instid0(VALU_DEP_1)
	v_dual_cndmask_b32 v47, v51, v47, s0 :: v_dual_cndmask_b32 v46, v50, v46, s0
	global_load_b64 v[46:47], v[46:47], off
	global_store_b64 v[58:59], v[42:43], off offset:256
	s_wait_loadcnt 0x0
	global_store_b64 v[60:61], v[46:47], off offset:256
.LBB206_17:                             ;   in Loop: Header=BB206_13 Depth=1
	s_wait_xcnt 0x0
	s_or_b32 exec_lo, exec_lo, s24
	v_add_nc_u64_e32 v[46:47], s[8:9], v[4:5]
	v_add_nc_u64_e32 v[54:55], s[22:23], v[22:23]
	s_and_saveexec_b32 s24, s30
	s_cbranch_execz .LBB206_19
; %bb.18:                               ;   in Loop: Header=BB206_13 Depth=1
	v_add_nc_u64_e32 v[48:49], 0x200, v[62:63]
	s_delay_alu instid0(VALU_DEP_1)
	v_dual_cndmask_b32 v49, v55, v49, s0 :: v_dual_cndmask_b32 v48, v54, v48, s0
	global_load_b64 v[48:49], v[48:49], off
	global_store_b64 v[58:59], v[46:47], off offset:512
	s_wait_loadcnt 0x0
	global_store_b64 v[60:61], v[48:49], off offset:512
.LBB206_19:                             ;   in Loop: Header=BB206_13 Depth=1
	;; [unrolled: 15-line block ×3, first 2 shown]
	s_wait_xcnt 0x0
	s_or_b32 exec_lo, exec_lo, s8
	v_add_nc_u64_e32 v[58:59], v[32:33], v[8:9]
	v_add_nc_u64_e32 v[60:61], v[30:31], v[8:9]
	;; [unrolled: 1-line block ×3, first 2 shown]
	s_and_saveexec_b32 s8, s35
	s_cbranch_execnz .LBB206_35
; %bb.22:                               ;   in Loop: Header=BB206_13 Depth=1
	s_or_b32 exec_lo, exec_lo, s8
	s_and_saveexec_b32 s8, s36
	s_cbranch_execnz .LBB206_36
.LBB206_23:                             ;   in Loop: Header=BB206_13 Depth=1
	s_or_b32 exec_lo, exec_lo, s8
	s_and_saveexec_b32 s8, s37
	s_cbranch_execnz .LBB206_37
.LBB206_24:                             ;   in Loop: Header=BB206_13 Depth=1
	s_or_b32 exec_lo, exec_lo, s8
	s_and_saveexec_b32 s8, s38
	s_cbranch_execz .LBB206_26
.LBB206_25:                             ;   in Loop: Header=BB206_13 Depth=1
	v_add_nc_u64_e32 v[62:63], 0x300, v[62:63]
	v_add_nc_u64_e32 v[64:65], 0x100, v[56:57]
	s_delay_alu instid0(VALU_DEP_1)
	v_dual_cndmask_b32 v63, v65, v63, s0 :: v_dual_cndmask_b32 v62, v64, v62, s0
	global_load_b64 v[62:63], v[62:63], off
	global_store_b64 v[58:59], v[48:49], off offset:768
	s_wait_loadcnt 0x0
	global_store_b64 v[60:61], v[62:63], off offset:768
.LBB206_26:                             ;   in Loop: Header=BB206_13 Depth=1
	s_wait_xcnt 0x0
	s_or_b32 exec_lo, exec_lo, s8
	v_add_nc_u64_e32 v[58:59], v[40:41], v[8:9]
	v_add_nc_u64_e32 v[60:61], v[38:39], v[8:9]
	;; [unrolled: 1-line block ×3, first 2 shown]
	s_and_saveexec_b32 s8, s39
	s_cbranch_execnz .LBB206_38
; %bb.27:                               ;   in Loop: Header=BB206_13 Depth=1
	s_or_b32 exec_lo, exec_lo, s8
	s_and_saveexec_b32 s8, s40
	s_cbranch_execnz .LBB206_39
.LBB206_28:                             ;   in Loop: Header=BB206_13 Depth=1
	s_or_b32 exec_lo, exec_lo, s8
	s_and_saveexec_b32 s8, s10
	s_cbranch_execnz .LBB206_40
.LBB206_29:                             ;   in Loop: Header=BB206_13 Depth=1
	s_or_b32 exec_lo, exec_lo, s8
	s_and_saveexec_b32 s8, s11
	s_cbranch_execz .LBB206_31
.LBB206_30:                             ;   in Loop: Header=BB206_13 Depth=1
	v_add_nc_u64_e32 v[62:63], 0x300, v[62:63]
	v_add_nc_u64_e32 v[64:65], 0x200, v[56:57]
	s_delay_alu instid0(VALU_DEP_1)
	v_dual_cndmask_b32 v63, v65, v63, s0 :: v_dual_cndmask_b32 v62, v64, v62, s0
	global_load_b64 v[62:63], v[62:63], off
	global_store_b64 v[58:59], v[48:49], off offset:768
	s_wait_loadcnt 0x0
	global_store_b64 v[60:61], v[62:63], off offset:768
.LBB206_31:                             ;   in Loop: Header=BB206_13 Depth=1
	s_wait_xcnt 0x0
	s_or_b32 exec_lo, exec_lo, s8
	v_add_nc_u64_e32 v[58:59], v[34:35], v[8:9]
	v_add_nc_u64_e32 v[60:61], v[36:37], v[8:9]
	;; [unrolled: 1-line block ×3, first 2 shown]
	s_and_saveexec_b32 s8, s41
	s_cbranch_execnz .LBB206_41
; %bb.32:                               ;   in Loop: Header=BB206_13 Depth=1
	s_or_b32 exec_lo, exec_lo, s8
	s_and_saveexec_b32 s8, s1
	s_cbranch_execnz .LBB206_42
.LBB206_33:                             ;   in Loop: Header=BB206_13 Depth=1
	s_or_b32 exec_lo, exec_lo, s8
	s_and_saveexec_b32 s8, s42
	s_cbranch_execnz .LBB206_43
.LBB206_34:                             ;   in Loop: Header=BB206_13 Depth=1
	s_or_b32 exec_lo, exec_lo, s8
	s_and_saveexec_b32 s8, s43
	s_cbranch_execz .LBB206_12
	s_branch .LBB206_44
.LBB206_35:                             ;   in Loop: Header=BB206_13 Depth=1
	v_add_nc_u64_e32 v[64:65], 0x100, v[52:53]
	s_delay_alu instid0(VALU_DEP_1)
	v_dual_cndmask_b32 v65, v65, v63, s0 :: v_dual_cndmask_b32 v64, v64, v62, s0
	global_load_b64 v[64:65], v[64:65], off
	global_store_b64 v[58:59], v[44:45], off
	s_wait_loadcnt 0x0
	global_store_b64 v[60:61], v[64:65], off
	s_wait_xcnt 0x0
	s_or_b32 exec_lo, exec_lo, s8
	s_and_saveexec_b32 s8, s36
	s_cbranch_execz .LBB206_23
.LBB206_36:                             ;   in Loop: Header=BB206_13 Depth=1
	s_delay_alu instid0(VALU_DEP_1)
	v_dual_cndmask_b32 v65, v51, v63, s0 :: v_dual_cndmask_b32 v64, v50, v62, s0
	global_load_b64 v[64:65], v[64:65], off offset:256
	global_store_b64 v[58:59], v[42:43], off offset:256
	s_wait_loadcnt 0x0
	global_store_b64 v[60:61], v[64:65], off offset:256
	s_wait_xcnt 0x0
	s_or_b32 exec_lo, exec_lo, s8
	s_and_saveexec_b32 s8, s37
	s_cbranch_execz .LBB206_24
.LBB206_37:                             ;   in Loop: Header=BB206_13 Depth=1
	v_add_nc_u64_e32 v[64:65], 0x200, v[62:63]
	v_add_nc_u64_e32 v[66:67], 0x100, v[54:55]
	s_delay_alu instid0(VALU_DEP_1)
	v_dual_cndmask_b32 v65, v67, v65, s0 :: v_dual_cndmask_b32 v64, v66, v64, s0
	global_load_b64 v[64:65], v[64:65], off
	global_store_b64 v[58:59], v[46:47], off offset:512
	s_wait_loadcnt 0x0
	global_store_b64 v[60:61], v[64:65], off offset:512
	s_wait_xcnt 0x0
	s_or_b32 exec_lo, exec_lo, s8
	s_and_saveexec_b32 s8, s38
	s_cbranch_execnz .LBB206_25
	s_branch .LBB206_26
.LBB206_38:                             ;   in Loop: Header=BB206_13 Depth=1
	v_add_nc_u64_e32 v[64:65], 0x200, v[52:53]
	s_delay_alu instid0(VALU_DEP_1)
	v_dual_cndmask_b32 v65, v65, v63, s0 :: v_dual_cndmask_b32 v64, v64, v62, s0
	global_load_b64 v[64:65], v[64:65], off
	global_store_b64 v[58:59], v[44:45], off
	s_wait_loadcnt 0x0
	global_store_b64 v[60:61], v[64:65], off
	s_wait_xcnt 0x0
	s_or_b32 exec_lo, exec_lo, s8
	s_and_saveexec_b32 s8, s40
	s_cbranch_execz .LBB206_28
.LBB206_39:                             ;   in Loop: Header=BB206_13 Depth=1
	s_delay_alu instid0(VALU_DEP_1) | instskip(SKIP_1) | instid1(VALU_DEP_1)
	v_add_nc_u64_e32 v[64:65], 0x100, v[62:63]
	v_add_nc_u64_e32 v[66:67], 0x200, v[50:51]
	v_dual_cndmask_b32 v65, v67, v65, s0 :: v_dual_cndmask_b32 v64, v66, v64, s0
	global_load_b64 v[64:65], v[64:65], off
	global_store_b64 v[58:59], v[42:43], off offset:256
	s_wait_loadcnt 0x0
	global_store_b64 v[60:61], v[64:65], off offset:256
	s_wait_xcnt 0x0
	s_or_b32 exec_lo, exec_lo, s8
	s_and_saveexec_b32 s8, s10
	s_cbranch_execz .LBB206_29
.LBB206_40:                             ;   in Loop: Header=BB206_13 Depth=1
	v_dual_cndmask_b32 v65, v55, v63, s0 :: v_dual_cndmask_b32 v64, v54, v62, s0
	global_load_b64 v[64:65], v[64:65], off offset:512
	global_store_b64 v[58:59], v[46:47], off offset:512
	s_wait_loadcnt 0x0
	global_store_b64 v[60:61], v[64:65], off offset:512
	s_wait_xcnt 0x0
	s_or_b32 exec_lo, exec_lo, s8
	s_and_saveexec_b32 s8, s11
	s_cbranch_execnz .LBB206_30
	s_branch .LBB206_31
.LBB206_41:                             ;   in Loop: Header=BB206_13 Depth=1
	v_add_nc_u64_e32 v[52:53], 0x300, v[52:53]
	s_delay_alu instid0(VALU_DEP_1)
	v_dual_cndmask_b32 v53, v53, v63, s0 :: v_dual_cndmask_b32 v52, v52, v62, s0
	global_load_b64 v[52:53], v[52:53], off
	global_store_b64 v[58:59], v[44:45], off
	s_wait_loadcnt 0x0
	global_store_b64 v[60:61], v[52:53], off
	s_wait_xcnt 0x0
	s_or_b32 exec_lo, exec_lo, s8
	s_and_saveexec_b32 s8, s1
	s_cbranch_execz .LBB206_33
.LBB206_42:                             ;   in Loop: Header=BB206_13 Depth=1
	s_delay_alu instid0(VALU_DEP_1) | instskip(SKIP_1) | instid1(VALU_DEP_1)
	v_add_nc_u64_e32 v[44:45], 0x100, v[62:63]
	v_add_nc_u64_e32 v[50:51], 0x300, v[50:51]
	v_dual_cndmask_b32 v45, v51, v45, s0 :: v_dual_cndmask_b32 v44, v50, v44, s0
	global_load_b64 v[44:45], v[44:45], off
	global_store_b64 v[58:59], v[42:43], off offset:256
	s_wait_loadcnt 0x0
	global_store_b64 v[60:61], v[44:45], off offset:256
	s_wait_xcnt 0x0
	s_or_b32 exec_lo, exec_lo, s8
	s_and_saveexec_b32 s8, s42
	s_cbranch_execz .LBB206_34
.LBB206_43:                             ;   in Loop: Header=BB206_13 Depth=1
	v_add_nc_u64_e32 v[42:43], 0x200, v[62:63]
	v_add_nc_u64_e32 v[44:45], 0x300, v[54:55]
	s_delay_alu instid0(VALU_DEP_1)
	v_dual_cndmask_b32 v43, v45, v43, s0 :: v_dual_cndmask_b32 v42, v44, v42, s0
	global_load_b64 v[42:43], v[42:43], off
	global_store_b64 v[58:59], v[46:47], off offset:512
	s_wait_loadcnt 0x0
	global_store_b64 v[60:61], v[42:43], off offset:512
	s_wait_xcnt 0x0
	s_or_b32 exec_lo, exec_lo, s8
	s_and_saveexec_b32 s8, s43
	s_cbranch_execz .LBB206_12
.LBB206_44:                             ;   in Loop: Header=BB206_13 Depth=1
	v_dual_cndmask_b32 v43, v57, v63, s0 :: v_dual_cndmask_b32 v42, v56, v62, s0
	global_load_b64 v[42:43], v[42:43], off offset:768
	global_store_b64 v[58:59], v[48:49], off offset:768
	s_wait_loadcnt 0x0
	global_store_b64 v[60:61], v[42:43], off offset:768
	s_branch .LBB206_12
.LBB206_45:
	s_sendmsg sendmsg(MSG_DEALLOC_VGPRS)
	s_endpgm
	.section	.rodata,"a",@progbits
	.p2align	6, 0x0
	.amdhsa_kernel _ZN9rocsparseL35bsr2csr_block_per_row_33_256_kernelILj1024ELj128ELj32E21rocsparse_complex_numIfEllEEv20rocsparse_direction_T4_S4_21rocsparse_index_base_PKT2_PKT3_PKS4_S4_S5_PS6_PS9_PS4_
		.amdhsa_group_segment_fixed_size 0
		.amdhsa_private_segment_fixed_size 0
		.amdhsa_kernarg_size 96
		.amdhsa_user_sgpr_count 2
		.amdhsa_user_sgpr_dispatch_ptr 0
		.amdhsa_user_sgpr_queue_ptr 0
		.amdhsa_user_sgpr_kernarg_segment_ptr 1
		.amdhsa_user_sgpr_dispatch_id 0
		.amdhsa_user_sgpr_kernarg_preload_length 0
		.amdhsa_user_sgpr_kernarg_preload_offset 0
		.amdhsa_user_sgpr_private_segment_size 0
		.amdhsa_wavefront_size32 1
		.amdhsa_uses_dynamic_stack 0
		.amdhsa_enable_private_segment 0
		.amdhsa_system_sgpr_workgroup_id_x 1
		.amdhsa_system_sgpr_workgroup_id_y 0
		.amdhsa_system_sgpr_workgroup_id_z 0
		.amdhsa_system_sgpr_workgroup_info 0
		.amdhsa_system_vgpr_workitem_id 0
		.amdhsa_next_free_vgpr 68
		.amdhsa_next_free_sgpr 44
		.amdhsa_named_barrier_count 0
		.amdhsa_reserve_vcc 1
		.amdhsa_float_round_mode_32 0
		.amdhsa_float_round_mode_16_64 0
		.amdhsa_float_denorm_mode_32 3
		.amdhsa_float_denorm_mode_16_64 3
		.amdhsa_fp16_overflow 0
		.amdhsa_memory_ordered 1
		.amdhsa_forward_progress 1
		.amdhsa_inst_pref_size 22
		.amdhsa_round_robin_scheduling 0
		.amdhsa_exception_fp_ieee_invalid_op 0
		.amdhsa_exception_fp_denorm_src 0
		.amdhsa_exception_fp_ieee_div_zero 0
		.amdhsa_exception_fp_ieee_overflow 0
		.amdhsa_exception_fp_ieee_underflow 0
		.amdhsa_exception_fp_ieee_inexact 0
		.amdhsa_exception_int_div_zero 0
	.end_amdhsa_kernel
	.section	.text._ZN9rocsparseL35bsr2csr_block_per_row_33_256_kernelILj1024ELj128ELj32E21rocsparse_complex_numIfEllEEv20rocsparse_direction_T4_S4_21rocsparse_index_base_PKT2_PKT3_PKS4_S4_S5_PS6_PS9_PS4_,"axG",@progbits,_ZN9rocsparseL35bsr2csr_block_per_row_33_256_kernelILj1024ELj128ELj32E21rocsparse_complex_numIfEllEEv20rocsparse_direction_T4_S4_21rocsparse_index_base_PKT2_PKT3_PKS4_S4_S5_PS6_PS9_PS4_,comdat
.Lfunc_end206:
	.size	_ZN9rocsparseL35bsr2csr_block_per_row_33_256_kernelILj1024ELj128ELj32E21rocsparse_complex_numIfEllEEv20rocsparse_direction_T4_S4_21rocsparse_index_base_PKT2_PKT3_PKS4_S4_S5_PS6_PS9_PS4_, .Lfunc_end206-_ZN9rocsparseL35bsr2csr_block_per_row_33_256_kernelILj1024ELj128ELj32E21rocsparse_complex_numIfEllEEv20rocsparse_direction_T4_S4_21rocsparse_index_base_PKT2_PKT3_PKS4_S4_S5_PS6_PS9_PS4_
                                        ; -- End function
	.set _ZN9rocsparseL35bsr2csr_block_per_row_33_256_kernelILj1024ELj128ELj32E21rocsparse_complex_numIfEllEEv20rocsparse_direction_T4_S4_21rocsparse_index_base_PKT2_PKT3_PKS4_S4_S5_PS6_PS9_PS4_.num_vgpr, 68
	.set _ZN9rocsparseL35bsr2csr_block_per_row_33_256_kernelILj1024ELj128ELj32E21rocsparse_complex_numIfEllEEv20rocsparse_direction_T4_S4_21rocsparse_index_base_PKT2_PKT3_PKS4_S4_S5_PS6_PS9_PS4_.num_agpr, 0
	.set _ZN9rocsparseL35bsr2csr_block_per_row_33_256_kernelILj1024ELj128ELj32E21rocsparse_complex_numIfEllEEv20rocsparse_direction_T4_S4_21rocsparse_index_base_PKT2_PKT3_PKS4_S4_S5_PS6_PS9_PS4_.numbered_sgpr, 44
	.set _ZN9rocsparseL35bsr2csr_block_per_row_33_256_kernelILj1024ELj128ELj32E21rocsparse_complex_numIfEllEEv20rocsparse_direction_T4_S4_21rocsparse_index_base_PKT2_PKT3_PKS4_S4_S5_PS6_PS9_PS4_.num_named_barrier, 0
	.set _ZN9rocsparseL35bsr2csr_block_per_row_33_256_kernelILj1024ELj128ELj32E21rocsparse_complex_numIfEllEEv20rocsparse_direction_T4_S4_21rocsparse_index_base_PKT2_PKT3_PKS4_S4_S5_PS6_PS9_PS4_.private_seg_size, 0
	.set _ZN9rocsparseL35bsr2csr_block_per_row_33_256_kernelILj1024ELj128ELj32E21rocsparse_complex_numIfEllEEv20rocsparse_direction_T4_S4_21rocsparse_index_base_PKT2_PKT3_PKS4_S4_S5_PS6_PS9_PS4_.uses_vcc, 1
	.set _ZN9rocsparseL35bsr2csr_block_per_row_33_256_kernelILj1024ELj128ELj32E21rocsparse_complex_numIfEllEEv20rocsparse_direction_T4_S4_21rocsparse_index_base_PKT2_PKT3_PKS4_S4_S5_PS6_PS9_PS4_.uses_flat_scratch, 0
	.set _ZN9rocsparseL35bsr2csr_block_per_row_33_256_kernelILj1024ELj128ELj32E21rocsparse_complex_numIfEllEEv20rocsparse_direction_T4_S4_21rocsparse_index_base_PKT2_PKT3_PKS4_S4_S5_PS6_PS9_PS4_.has_dyn_sized_stack, 0
	.set _ZN9rocsparseL35bsr2csr_block_per_row_33_256_kernelILj1024ELj128ELj32E21rocsparse_complex_numIfEllEEv20rocsparse_direction_T4_S4_21rocsparse_index_base_PKT2_PKT3_PKS4_S4_S5_PS6_PS9_PS4_.has_recursion, 0
	.set _ZN9rocsparseL35bsr2csr_block_per_row_33_256_kernelILj1024ELj128ELj32E21rocsparse_complex_numIfEllEEv20rocsparse_direction_T4_S4_21rocsparse_index_base_PKT2_PKT3_PKS4_S4_S5_PS6_PS9_PS4_.has_indirect_call, 0
	.section	.AMDGPU.csdata,"",@progbits
; Kernel info:
; codeLenInByte = 2776
; TotalNumSgprs: 46
; NumVgprs: 68
; ScratchSize: 0
; MemoryBound: 0
; FloatMode: 240
; IeeeMode: 1
; LDSByteSize: 0 bytes/workgroup (compile time only)
; SGPRBlocks: 0
; VGPRBlocks: 4
; NumSGPRsForWavesPerEU: 46
; NumVGPRsForWavesPerEU: 68
; NamedBarCnt: 0
; Occupancy: 12
; WaveLimiterHint : 1
; COMPUTE_PGM_RSRC2:SCRATCH_EN: 0
; COMPUTE_PGM_RSRC2:USER_SGPR: 2
; COMPUTE_PGM_RSRC2:TRAP_HANDLER: 0
; COMPUTE_PGM_RSRC2:TGID_X_EN: 1
; COMPUTE_PGM_RSRC2:TGID_Y_EN: 0
; COMPUTE_PGM_RSRC2:TGID_Z_EN: 0
; COMPUTE_PGM_RSRC2:TIDIG_COMP_CNT: 0
	.section	.text._ZN9rocsparseL35bsr2csr_block_per_row_33_256_kernelILj1024ELj256ELj32E21rocsparse_complex_numIfEllEEv20rocsparse_direction_T4_S4_21rocsparse_index_base_PKT2_PKT3_PKS4_S4_S5_PS6_PS9_PS4_,"axG",@progbits,_ZN9rocsparseL35bsr2csr_block_per_row_33_256_kernelILj1024ELj256ELj32E21rocsparse_complex_numIfEllEEv20rocsparse_direction_T4_S4_21rocsparse_index_base_PKT2_PKT3_PKS4_S4_S5_PS6_PS9_PS4_,comdat
	.globl	_ZN9rocsparseL35bsr2csr_block_per_row_33_256_kernelILj1024ELj256ELj32E21rocsparse_complex_numIfEllEEv20rocsparse_direction_T4_S4_21rocsparse_index_base_PKT2_PKT3_PKS4_S4_S5_PS6_PS9_PS4_ ; -- Begin function _ZN9rocsparseL35bsr2csr_block_per_row_33_256_kernelILj1024ELj256ELj32E21rocsparse_complex_numIfEllEEv20rocsparse_direction_T4_S4_21rocsparse_index_base_PKT2_PKT3_PKS4_S4_S5_PS6_PS9_PS4_
	.p2align	8
	.type	_ZN9rocsparseL35bsr2csr_block_per_row_33_256_kernelILj1024ELj256ELj32E21rocsparse_complex_numIfEllEEv20rocsparse_direction_T4_S4_21rocsparse_index_base_PKT2_PKT3_PKS4_S4_S5_PS6_PS9_PS4_,@function
_ZN9rocsparseL35bsr2csr_block_per_row_33_256_kernelILj1024ELj256ELj32E21rocsparse_complex_numIfEllEEv20rocsparse_direction_T4_S4_21rocsparse_index_base_PKT2_PKT3_PKS4_S4_S5_PS6_PS9_PS4_: ; @_ZN9rocsparseL35bsr2csr_block_per_row_33_256_kernelILj1024ELj256ELj32E21rocsparse_complex_numIfEllEEv20rocsparse_direction_T4_S4_21rocsparse_index_base_PKT2_PKT3_PKS4_S4_S5_PS6_PS9_PS4_
; %bb.0:
	s_load_b64 s[6:7], s[0:1], 0x28
	s_bfe_u32 s2, ttmp6, 0x4000c
	s_and_b32 s3, ttmp6, 15
	s_add_co_i32 s2, s2, 1
	s_getreg_b32 s4, hwreg(HW_REG_IB_STS2, 6, 4)
	s_mul_i32 s2, ttmp9, s2
	s_mov_b32 s17, 0
	s_add_co_i32 s3, s3, s2
	s_cmp_eq_u32 s4, 0
	s_clause 0x1
	s_load_b32 s18, s[0:1], 0x40
	s_load_b64 s[4:5], s[0:1], 0x50
	s_cselect_b32 s2, ttmp9, s3
	s_mov_b32 s3, s17
	v_or_b32_e32 v1, s2, v0
	s_lshl_b64 s[8:9], s[2:3], 3
	s_mov_b32 s19, s17
	s_wait_kmcnt 0x0
	s_add_nc_u64 s[6:7], s[6:7], s[8:9]
	s_load_b128 s[12:15], s[6:7], 0x0
	s_wait_xcnt 0x0
	s_mov_b32 s6, exec_lo
	v_cmpx_eq_u32_e32 0, v1
	s_cbranch_execz .LBB207_2
; %bb.1:
	v_mov_b64_e32 v[2:3], s[18:19]
	v_mov_b32_e32 v1, 0
	global_store_b64 v1, v[2:3], s[4:5]
.LBB207_2:
	s_wait_xcnt 0x0
	s_or_b32 exec_lo, exec_lo, s6
	s_clause 0x1
	s_load_b32 s16, s[0:1], 0x18
	s_load_b64 s[20:21], s[0:1], 0x38
	v_dual_mov_b32 v53, 0 :: v_dual_lshrrev_b32 v52, 5, v0
	s_wait_kmcnt 0x0
	s_sub_nc_u64 s[22:23], s[12:13], s[16:17]
	s_sub_nc_u64 s[24:25], s[14:15], s[16:17]
	s_mul_u64 s[8:9], s[20:21], s[22:23]
	s_mul_u64 s[6:7], s[20:21], s[2:3]
	v_cmp_gt_i64_e64 s2, s[20:21], v[52:53]
	s_sub_nc_u64 s[42:43], s[24:25], s[22:23]
	s_mul_u64 s[8:9], s[8:9], s[20:21]
	s_mul_u64 s[10:11], s[42:43], s[20:21]
	s_add_nc_u64 s[8:9], s[8:9], s[18:19]
	s_lshl_b64 s[6:7], s[6:7], 3
	s_add_nc_u64 s[28:29], s[8:9], s[10:11]
	s_add_nc_u64 s[26:27], s[4:5], s[6:7]
	s_and_saveexec_b32 s3, s2
	s_cbranch_execz .LBB207_4
; %bb.3:
	v_mad_nc_u64_u32 v[2:3], v52, s10, s[28:29]
	s_delay_alu instid0(VALU_DEP_1)
	v_mad_u32 v3, v52, s11, v3
	global_store_b64 v52, v[2:3], s[26:27] offset:8 scale_offset
.LBB207_4:
	s_wait_xcnt 0x0
	s_or_b32 exec_lo, exec_lo, s3
	v_dual_mov_b32 v3, v53 :: v_dual_bitop2_b32 v2, 32, v52 bitop3:0x54
	s_delay_alu instid0(VALU_DEP_1)
	v_cmp_gt_i64_e64 s3, s[20:21], v[2:3]
	s_and_saveexec_b32 s4, s3
	s_cbranch_execz .LBB207_6
; %bb.5:
	v_mad_nc_u64_u32 v[4:5], v2, s10, s[28:29]
	s_delay_alu instid0(VALU_DEP_1)
	v_mad_u32 v5, v2, s11, v5
	global_store_b64 v52, v[4:5], s[26:27] offset:264 scale_offset
.LBB207_6:
	s_wait_xcnt 0x0
	s_or_b32 exec_lo, exec_lo, s4
	v_dual_mov_b32 v3, v53 :: v_dual_bitop2_b32 v2, 64, v52 bitop3:0x54
	s_delay_alu instid0(VALU_DEP_1)
	v_cmp_gt_i64_e64 s4, s[20:21], v[2:3]
	s_and_saveexec_b32 s5, s4
	s_cbranch_execz .LBB207_8
; %bb.7:
	v_mad_nc_u64_u32 v[4:5], v2, s10, s[28:29]
	s_delay_alu instid0(VALU_DEP_1)
	v_mad_u32 v5, v2, s11, v5
	global_store_b64 v52, v[4:5], s[26:27] offset:520 scale_offset
.LBB207_8:
	s_wait_xcnt 0x0
	s_or_b32 exec_lo, exec_lo, s5
	v_or_b32_e32 v2, 0x60, v52
	v_mov_b32_e32 v3, v53
	s_delay_alu instid0(VALU_DEP_1)
	v_cmp_gt_i64_e64 s5, s[20:21], v[2:3]
	s_and_saveexec_b32 s6, s5
	s_cbranch_execz .LBB207_10
; %bb.9:
	v_mad_nc_u64_u32 v[4:5], v2, s10, s[28:29]
	s_delay_alu instid0(VALU_DEP_1)
	v_mad_u32 v5, v2, s11, v5
	global_store_b64 v52, v[4:5], s[26:27] offset:776 scale_offset
.LBB207_10:
	s_wait_xcnt 0x0
	s_or_b32 exec_lo, exec_lo, s6
	v_or_b32_e32 v2, 0x80, v52
	v_mov_b32_e32 v3, v53
	;; [unrolled: 14-line block ×5, first 2 shown]
	s_delay_alu instid0(VALU_DEP_1)
	v_cmp_gt_i64_e64 s9, s[20:21], v[2:3]
	s_and_saveexec_b32 s30, s9
	s_cbranch_execz .LBB207_18
; %bb.17:
	v_mad_nc_u64_u32 v[4:5], v2, s10, s[28:29]
	s_delay_alu instid0(VALU_DEP_1)
	v_mad_u32 v5, v2, s11, v5
	global_store_b64 v52, v[4:5], s[26:27] offset:1800 scale_offset
.LBB207_18:
	s_wait_xcnt 0x0
	s_or_b32 exec_lo, exec_lo, s30
	v_cmp_lt_i64_e64 s10, s[12:13], s[14:15]
	s_and_b32 vcc_lo, exec_lo, s10
	s_cbranch_vccz .LBB207_149
; %bb.19:
	v_dual_mov_b32 v1, 0 :: v_dual_bitop2_b32 v2, 31, v0 bitop3:0x40
	v_mul_u64_e32 v[4:5], s[42:43], v[52:53]
	s_clause 0x4
	s_load_b64 s[28:29], s[0:1], 0x20
	s_load_b64 s[30:31], s[0:1], 0x30
	;; [unrolled: 1-line block ×3, first 2 shown]
	s_load_b32 s15, s[0:1], 0x0
	s_load_b64 s[26:27], s[0:1], 0x58
	v_dual_mov_b32 v3, v1 :: v_dual_bitop2_b32 v10, 32, v2 bitop3:0x54
	v_mul_u64_e32 v[8:9], s[20:21], v[52:53]
	v_dual_mov_b32 v11, v1 :: v_dual_bitop2_b32 v12, 64, v2 bitop3:0x54
	s_delay_alu instid0(VALU_DEP_3)
	v_mul_u64_e32 v[6:7], s[20:21], v[2:3]
	v_dual_mov_b32 v13, v1 :: v_dual_mov_b32 v15, v1
	v_or_b32_e32 v14, 0x60, v2
	v_or_b32_e32 v16, 0x80, v2
	v_dual_mov_b32 v17, v1 :: v_dual_mov_b32 v19, v1
	v_or_b32_e32 v18, 0xa0, v2
	v_or_b32_e32 v20, 0xc0, v2
	v_dual_mov_b32 v21, v1 :: v_dual_mov_b32 v23, v1
	v_or_b32_e32 v22, 0xe0, v2
	v_cmp_gt_i64_e32 vcc_lo, s[20:21], v[2:3]
	s_wait_kmcnt 0x0
	s_cmp_eq_u32 s15, 0
	v_cmp_gt_i64_e64 s1, s[20:21], v[10:11]
	s_cselect_b32 s0, -1, 0
	s_lshl_b64 s[40:41], s[20:21], 5
	s_lshl_b64 s[96:97], s[42:43], 5
	v_cmp_gt_i64_e64 s10, s[20:21], v[12:13]
	v_cmp_gt_i64_e64 s11, s[20:21], v[14:15]
	;; [unrolled: 1-line block ×6, first 2 shown]
	v_add_nc_u64_e32 v[30:31], s[96:97], v[4:5]
	v_dual_mov_b32 v53, v1 :: v_dual_lshlrev_b32 v52, 3, v52
	s_mul_u64 s[36:37], s[20:21], s[20:21]
	s_and_b32 s33, s2, vcc_lo
	s_mul_u64 s[38:39], s[22:23], s[36:37]
	s_and_b32 s44, s2, s1
	s_delay_alu instid0(VALU_DEP_2)
	v_add_nc_u64_e32 v[34:35], s[96:97], v[30:31]
	v_add_nc_u64_e32 v[24:25], s[40:41], v[6:7]
	s_and_b32 s45, s2, s10
	s_and_b32 s46, s2, s11
	;; [unrolled: 1-line block ×5, first 2 shown]
	v_add_nc_u64_e32 v[38:39], s[96:97], v[34:35]
	v_add_nc_u64_e32 v[26:27], s[40:41], v[24:25]
	s_and_b32 s50, s2, s15
	s_and_b32 s42, s3, vcc_lo
	s_and_b32 s43, s3, s1
	s_and_b32 s51, s3, s10
	;; [unrolled: 1-line block ×3, first 2 shown]
	v_add_nc_u64_e32 v[42:43], s[96:97], v[38:39]
	v_add_nc_u64_e32 v[28:29], s[40:41], v[26:27]
	s_and_b32 s53, s3, s12
	s_and_b32 s54, s3, s13
	;; [unrolled: 1-line block ×4, first 2 shown]
	s_and_b32 s57, s4, vcc_lo
	v_add_nc_u64_e32 v[46:47], s[96:97], v[42:43]
	v_add_nc_u64_e32 v[32:33], s[40:41], v[28:29]
	s_and_b32 s58, s4, s1
	s_and_b32 s59, s4, s10
	;; [unrolled: 1-line block ×5, first 2 shown]
	v_add_nc_u64_e32 v[48:49], s[96:97], v[46:47]
	v_add_nc_u64_e32 v[36:37], s[40:41], v[32:33]
	s_and_b32 s63, s4, s14
	s_and_b32 s64, s4, s15
	s_and_b32 s65, s5, vcc_lo
	s_and_b32 s66, s5, s1
	s_and_b32 s67, s5, s10
	v_add_nc_u64_e32 v[50:51], s[96:97], v[48:49]
	v_add_nc_u64_e32 v[40:41], s[40:41], v[36:37]
	s_and_b32 s68, s5, s11
	s_and_b32 s69, s5, s12
	;; [unrolled: 1-line block ×5, first 2 shown]
	s_and_b32 s73, s6, vcc_lo
	v_add_nc_u64_e32 v[44:45], s[40:41], v[40:41]
	s_and_b32 s74, s6, s1
	s_and_b32 s75, s6, s10
	s_and_b32 s76, s6, s11
	s_and_b32 s77, s6, s12
	s_and_b32 s78, s6, s13
	s_and_b32 s79, s6, s14
	s_and_b32 s80, s6, s15
	s_and_b32 s81, s7, vcc_lo
	s_and_b32 s82, s7, s1
	s_and_b32 s83, s7, s10
	s_and_b32 s84, s7, s11
	s_and_b32 s85, s7, s12
	s_and_b32 s86, s7, s13
	s_and_b32 s87, s7, s14
	s_and_b32 s88, s7, s15
	s_and_b32 s89, s8, vcc_lo
	s_and_b32 s90, s8, s1
	s_and_b32 s91, s8, s10
	s_and_b32 s92, s8, s11
	s_and_b32 s93, s8, s12
	s_and_b32 s94, s8, s13
	s_and_b32 s95, s8, s14
	s_and_b32 s8, s8, s15
	s_and_b32 s96, s9, vcc_lo
	s_and_b32 s1, s9, s1
	s_and_b32 s10, s9, s10
	;; [unrolled: 1-line block ×7, first 2 shown]
	s_mov_b64 s[2:3], s[22:23]
	s_branch .LBB207_21
.LBB207_20:                             ;   in Loop: Header=BB207_21 Depth=1
	s_wait_xcnt 0x0
	s_or_b32 exec_lo, exec_lo, s4
	s_add_nc_u64 s[2:3], s[2:3], 1
	s_delay_alu instid0(SALU_CYCLE_1)
	v_cmp_ge_i64_e64 s4, s[2:3], s[24:25]
	s_and_b32 vcc_lo, exec_lo, s4
	s_cbranch_vccnz .LBB207_149
.LBB207_21:                             ; =>This Inner Loop Header: Depth=1
	s_sub_nc_u64 s[4:5], s[2:3], s[22:23]
	s_lshl_b64 s[6:7], s[2:3], 3
	v_add_nc_u64_e32 v[54:55], s[4:5], v[4:5]
	s_add_nc_u64 s[6:7], s[30:31], s[6:7]
	s_mul_u64 s[98:99], s[2:3], s[36:37]
	s_load_b64 s[6:7], s[6:7], 0x0
	s_lshl_b64 s[98:99], s[98:99], 3
	s_delay_alu instid0(SALU_CYCLE_1) | instskip(NEXT) | instid1(VALU_DEP_1)
	s_add_nc_u64 s[98:99], s[28:29], s[98:99]
	v_mad_nc_u64_u32 v[56:57], v54, s20, s[38:39]
	v_add_nc_u64_e32 v[72:73], s[98:99], v[52:53]
	v_lshl_add_u64 v[86:87], v[8:9], 3, s[98:99]
	s_delay_alu instid0(VALU_DEP_2) | instskip(NEXT) | instid1(VALU_DEP_4)
	v_lshl_add_u64 v[70:71], v[6:7], 3, v[72:73]
	v_mad_u32 v0, v55, s20, v57
	s_wait_kmcnt 0x0
	s_sub_nc_u64 s[6:7], s[6:7], s[16:17]
	s_delay_alu instid0(SALU_CYCLE_1) | instskip(NEXT) | instid1(SALU_CYCLE_1)
	s_mul_u64 s[6:7], s[6:7], s[20:21]
	s_add_nc_u64 s[6:7], s[6:7], s[18:19]
	s_delay_alu instid0(VALU_DEP_1) | instskip(SKIP_2) | instid1(VALU_DEP_3)
	v_mad_u32 v57, v54, s21, v0
	v_add_nc_u64_e32 v[54:55], s[6:7], v[2:3]
	v_lshlrev_b32_e32 v0, 3, v2
	v_add_nc_u64_e32 v[56:57], v[56:57], v[2:3]
	s_delay_alu instid0(VALU_DEP_1)
	v_lshlrev_b64_e32 v[88:89], 3, v[56:57]
	s_and_saveexec_b32 s15, s33
	s_cbranch_execz .LBB207_23
; %bb.22:                               ;   in Loop: Header=BB207_21 Depth=1
	v_add_nc_u64_e32 v[56:57], v[86:87], v[0:1]
	s_delay_alu instid0(VALU_DEP_2) | instskip(SKIP_1) | instid1(VALU_DEP_3)
	v_add_nc_u64_e32 v[58:59], s[26:27], v[88:89]
	v_add_nc_u64_e32 v[60:61], s[34:35], v[88:89]
	v_dual_cndmask_b32 v57, v71, v57, s0 :: v_dual_cndmask_b32 v56, v70, v56, s0
	global_load_b64 v[56:57], v[56:57], off
	global_store_b64 v[58:59], v[54:55], off
	s_wait_loadcnt 0x0
	global_store_b64 v[60:61], v[56:57], off
.LBB207_23:                             ;   in Loop: Header=BB207_21 Depth=1
	s_wait_xcnt 0x0
	s_or_b32 exec_lo, exec_lo, s15
	v_add_nc_u64_e32 v[56:57], s[6:7], v[10:11]
	v_lshl_add_u64 v[84:85], v[24:25], 3, v[72:73]
	s_and_saveexec_b32 s15, s44
	s_cbranch_execz .LBB207_25
; %bb.24:                               ;   in Loop: Header=BB207_21 Depth=1
	v_add_nc_u64_e32 v[58:59], v[86:87], v[0:1]
	v_add_nc_u64_e32 v[60:61], s[26:27], v[88:89]
	v_add_nc_u64_e32 v[62:63], s[34:35], v[88:89]
	s_delay_alu instid0(VALU_DEP_3) | instskip(NEXT) | instid1(VALU_DEP_1)
	v_add_nc_u64_e32 v[58:59], 0x100, v[58:59]
	v_dual_cndmask_b32 v59, v85, v59, s0 :: v_dual_cndmask_b32 v58, v84, v58, s0
	global_load_b64 v[58:59], v[58:59], off
	global_store_b64 v[60:61], v[56:57], off offset:256
	s_wait_loadcnt 0x0
	global_store_b64 v[62:63], v[58:59], off offset:256
.LBB207_25:                             ;   in Loop: Header=BB207_21 Depth=1
	s_wait_xcnt 0x0
	s_or_b32 exec_lo, exec_lo, s15
	v_add_nc_u64_e32 v[58:59], s[6:7], v[12:13]
	v_lshl_add_u64 v[82:83], v[26:27], 3, v[72:73]
	s_and_saveexec_b32 s15, s45
	s_cbranch_execz .LBB207_27
; %bb.26:                               ;   in Loop: Header=BB207_21 Depth=1
	v_add_nc_u64_e32 v[60:61], v[86:87], v[0:1]
	v_add_nc_u64_e32 v[62:63], s[26:27], v[88:89]
	v_add_nc_u64_e32 v[64:65], s[34:35], v[88:89]
	s_delay_alu instid0(VALU_DEP_3) | instskip(NEXT) | instid1(VALU_DEP_1)
	v_add_nc_u64_e32 v[60:61], 0x200, v[60:61]
	v_dual_cndmask_b32 v61, v83, v61, s0 :: v_dual_cndmask_b32 v60, v82, v60, s0
	global_load_b64 v[60:61], v[60:61], off
	global_store_b64 v[62:63], v[58:59], off offset:512
	s_wait_loadcnt 0x0
	global_store_b64 v[64:65], v[60:61], off offset:512
.LBB207_27:                             ;   in Loop: Header=BB207_21 Depth=1
	;; [unrolled: 18-line block ×7, first 2 shown]
	s_wait_xcnt 0x0
	s_or_b32 exec_lo, exec_lo, s6
	v_add_nc_u64_e32 v[88:89], s[4:5], v[30:31]
	v_lshl_add_u64 v[86:87], s[40:41], 3, v[86:87]
	s_delay_alu instid0(VALU_DEP_2) | instskip(NEXT) | instid1(VALU_DEP_1)
	v_mad_nc_u64_u32 v[90:91], v88, s20, s[38:39]
	v_mad_u32 v89, v89, s20, v91
	s_delay_alu instid0(VALU_DEP_1) | instskip(NEXT) | instid1(VALU_DEP_1)
	v_mad_u32 v91, v88, s21, v89
	v_add_nc_u64_e32 v[88:89], v[90:91], v[2:3]
	s_delay_alu instid0(VALU_DEP_1)
	v_lshlrev_b64_e32 v[88:89], 3, v[88:89]
	s_and_saveexec_b32 s6, s42
	s_cbranch_execnz .LBB207_99
; %bb.38:                               ;   in Loop: Header=BB207_21 Depth=1
	s_or_b32 exec_lo, exec_lo, s6
	s_and_saveexec_b32 s6, s43
	s_cbranch_execnz .LBB207_100
.LBB207_39:                             ;   in Loop: Header=BB207_21 Depth=1
	s_or_b32 exec_lo, exec_lo, s6
	s_and_saveexec_b32 s6, s51
	s_cbranch_execnz .LBB207_101
.LBB207_40:                             ;   in Loop: Header=BB207_21 Depth=1
	s_or_b32 exec_lo, exec_lo, s6
	s_and_saveexec_b32 s6, s52
	s_cbranch_execnz .LBB207_102
.LBB207_41:                             ;   in Loop: Header=BB207_21 Depth=1
	s_or_b32 exec_lo, exec_lo, s6
	s_and_saveexec_b32 s6, s53
	s_cbranch_execnz .LBB207_103
.LBB207_42:                             ;   in Loop: Header=BB207_21 Depth=1
	s_or_b32 exec_lo, exec_lo, s6
	s_and_saveexec_b32 s6, s54
	s_cbranch_execnz .LBB207_104
.LBB207_43:                             ;   in Loop: Header=BB207_21 Depth=1
	s_or_b32 exec_lo, exec_lo, s6
	s_and_saveexec_b32 s6, s55
	s_cbranch_execnz .LBB207_105
.LBB207_44:                             ;   in Loop: Header=BB207_21 Depth=1
	s_or_b32 exec_lo, exec_lo, s6
	s_and_saveexec_b32 s6, s56
	s_cbranch_execz .LBB207_46
.LBB207_45:                             ;   in Loop: Header=BB207_21 Depth=1
	v_add_nc_u64_e32 v[90:91], v[86:87], v[0:1]
	v_add_nc_u64_e32 v[92:93], 0x100, v[72:73]
	s_delay_alu instid0(VALU_DEP_2) | instskip(NEXT) | instid1(VALU_DEP_1)
	v_add_nc_u64_e32 v[90:91], 0x700, v[90:91]
	v_dual_cndmask_b32 v91, v93, v91, s0 :: v_dual_cndmask_b32 v90, v92, v90, s0
	v_add_nc_u64_e32 v[92:93], s[26:27], v[88:89]
	v_add_nc_u64_e32 v[88:89], s[34:35], v[88:89]
	global_load_b64 v[90:91], v[90:91], off
	global_store_b64 v[92:93], v[68:69], off offset:1792
	s_wait_loadcnt 0x0
	global_store_b64 v[88:89], v[90:91], off offset:1792
.LBB207_46:                             ;   in Loop: Header=BB207_21 Depth=1
	s_wait_xcnt 0x0
	s_or_b32 exec_lo, exec_lo, s6
	v_add_nc_u64_e32 v[88:89], s[4:5], v[34:35]
	v_lshl_add_u64 v[86:87], s[40:41], 3, v[86:87]
	s_delay_alu instid0(VALU_DEP_2) | instskip(NEXT) | instid1(VALU_DEP_1)
	v_mad_nc_u64_u32 v[90:91], v88, s20, s[38:39]
	v_mad_u32 v89, v89, s20, v91
	s_delay_alu instid0(VALU_DEP_1) | instskip(NEXT) | instid1(VALU_DEP_1)
	v_mad_u32 v91, v88, s21, v89
	v_add_nc_u64_e32 v[88:89], v[90:91], v[2:3]
	s_delay_alu instid0(VALU_DEP_1)
	v_lshlrev_b64_e32 v[88:89], 3, v[88:89]
	s_and_saveexec_b32 s6, s57
	s_cbranch_execnz .LBB207_106
; %bb.47:                               ;   in Loop: Header=BB207_21 Depth=1
	s_or_b32 exec_lo, exec_lo, s6
	s_and_saveexec_b32 s6, s58
	s_cbranch_execnz .LBB207_107
.LBB207_48:                             ;   in Loop: Header=BB207_21 Depth=1
	s_or_b32 exec_lo, exec_lo, s6
	s_and_saveexec_b32 s6, s59
	s_cbranch_execnz .LBB207_108
.LBB207_49:                             ;   in Loop: Header=BB207_21 Depth=1
	s_or_b32 exec_lo, exec_lo, s6
	s_and_saveexec_b32 s6, s60
	s_cbranch_execnz .LBB207_109
.LBB207_50:                             ;   in Loop: Header=BB207_21 Depth=1
	s_or_b32 exec_lo, exec_lo, s6
	s_and_saveexec_b32 s6, s61
	s_cbranch_execnz .LBB207_110
.LBB207_51:                             ;   in Loop: Header=BB207_21 Depth=1
	s_or_b32 exec_lo, exec_lo, s6
	s_and_saveexec_b32 s6, s62
	s_cbranch_execnz .LBB207_111
.LBB207_52:                             ;   in Loop: Header=BB207_21 Depth=1
	s_or_b32 exec_lo, exec_lo, s6
	s_and_saveexec_b32 s6, s63
	s_cbranch_execnz .LBB207_112
.LBB207_53:                             ;   in Loop: Header=BB207_21 Depth=1
	s_or_b32 exec_lo, exec_lo, s6
	s_and_saveexec_b32 s6, s64
	s_cbranch_execz .LBB207_55
.LBB207_54:                             ;   in Loop: Header=BB207_21 Depth=1
	v_add_nc_u64_e32 v[90:91], v[86:87], v[0:1]
	v_add_nc_u64_e32 v[92:93], 0x200, v[72:73]
	s_delay_alu instid0(VALU_DEP_2) | instskip(NEXT) | instid1(VALU_DEP_1)
	v_add_nc_u64_e32 v[90:91], 0x700, v[90:91]
	v_dual_cndmask_b32 v91, v93, v91, s0 :: v_dual_cndmask_b32 v90, v92, v90, s0
	v_add_nc_u64_e32 v[92:93], s[26:27], v[88:89]
	v_add_nc_u64_e32 v[88:89], s[34:35], v[88:89]
	global_load_b64 v[90:91], v[90:91], off
	global_store_b64 v[92:93], v[68:69], off offset:1792
	s_wait_loadcnt 0x0
	global_store_b64 v[88:89], v[90:91], off offset:1792
.LBB207_55:                             ;   in Loop: Header=BB207_21 Depth=1
	s_wait_xcnt 0x0
	s_or_b32 exec_lo, exec_lo, s6
	v_add_nc_u64_e32 v[88:89], s[4:5], v[38:39]
	v_lshl_add_u64 v[86:87], s[40:41], 3, v[86:87]
	s_delay_alu instid0(VALU_DEP_2) | instskip(NEXT) | instid1(VALU_DEP_1)
	v_mad_nc_u64_u32 v[90:91], v88, s20, s[38:39]
	v_mad_u32 v89, v89, s20, v91
	s_delay_alu instid0(VALU_DEP_1) | instskip(NEXT) | instid1(VALU_DEP_1)
	v_mad_u32 v91, v88, s21, v89
	v_add_nc_u64_e32 v[88:89], v[90:91], v[2:3]
	s_delay_alu instid0(VALU_DEP_1)
	v_lshlrev_b64_e32 v[88:89], 3, v[88:89]
	s_and_saveexec_b32 s6, s65
	s_cbranch_execnz .LBB207_113
; %bb.56:                               ;   in Loop: Header=BB207_21 Depth=1
	s_or_b32 exec_lo, exec_lo, s6
	s_and_saveexec_b32 s6, s66
	s_cbranch_execnz .LBB207_114
.LBB207_57:                             ;   in Loop: Header=BB207_21 Depth=1
	s_or_b32 exec_lo, exec_lo, s6
	s_and_saveexec_b32 s6, s67
	s_cbranch_execnz .LBB207_115
.LBB207_58:                             ;   in Loop: Header=BB207_21 Depth=1
	s_or_b32 exec_lo, exec_lo, s6
	s_and_saveexec_b32 s6, s68
	s_cbranch_execnz .LBB207_116
.LBB207_59:                             ;   in Loop: Header=BB207_21 Depth=1
	s_or_b32 exec_lo, exec_lo, s6
	s_and_saveexec_b32 s6, s69
	s_cbranch_execnz .LBB207_117
.LBB207_60:                             ;   in Loop: Header=BB207_21 Depth=1
	s_or_b32 exec_lo, exec_lo, s6
	s_and_saveexec_b32 s6, s70
	s_cbranch_execnz .LBB207_118
.LBB207_61:                             ;   in Loop: Header=BB207_21 Depth=1
	s_or_b32 exec_lo, exec_lo, s6
	s_and_saveexec_b32 s6, s71
	s_cbranch_execnz .LBB207_119
.LBB207_62:                             ;   in Loop: Header=BB207_21 Depth=1
	s_or_b32 exec_lo, exec_lo, s6
	s_and_saveexec_b32 s6, s72
	s_cbranch_execz .LBB207_64
.LBB207_63:                             ;   in Loop: Header=BB207_21 Depth=1
	v_add_nc_u64_e32 v[90:91], v[86:87], v[0:1]
	v_add_nc_u64_e32 v[92:93], 0x300, v[72:73]
	s_delay_alu instid0(VALU_DEP_2) | instskip(NEXT) | instid1(VALU_DEP_1)
	v_add_nc_u64_e32 v[90:91], 0x700, v[90:91]
	v_dual_cndmask_b32 v91, v93, v91, s0 :: v_dual_cndmask_b32 v90, v92, v90, s0
	v_add_nc_u64_e32 v[92:93], s[26:27], v[88:89]
	v_add_nc_u64_e32 v[88:89], s[34:35], v[88:89]
	global_load_b64 v[90:91], v[90:91], off
	global_store_b64 v[92:93], v[68:69], off offset:1792
	s_wait_loadcnt 0x0
	global_store_b64 v[88:89], v[90:91], off offset:1792
.LBB207_64:                             ;   in Loop: Header=BB207_21 Depth=1
	s_wait_xcnt 0x0
	s_or_b32 exec_lo, exec_lo, s6
	v_add_nc_u64_e32 v[88:89], s[4:5], v[42:43]
	v_lshl_add_u64 v[86:87], s[40:41], 3, v[86:87]
	s_delay_alu instid0(VALU_DEP_2) | instskip(NEXT) | instid1(VALU_DEP_1)
	v_mad_nc_u64_u32 v[90:91], v88, s20, s[38:39]
	v_mad_u32 v89, v89, s20, v91
	s_delay_alu instid0(VALU_DEP_1) | instskip(NEXT) | instid1(VALU_DEP_1)
	v_mad_u32 v91, v88, s21, v89
	v_add_nc_u64_e32 v[88:89], v[90:91], v[2:3]
	s_delay_alu instid0(VALU_DEP_1)
	v_lshlrev_b64_e32 v[88:89], 3, v[88:89]
	s_and_saveexec_b32 s6, s73
	s_cbranch_execnz .LBB207_120
; %bb.65:                               ;   in Loop: Header=BB207_21 Depth=1
	s_or_b32 exec_lo, exec_lo, s6
	s_and_saveexec_b32 s6, s74
	s_cbranch_execnz .LBB207_121
.LBB207_66:                             ;   in Loop: Header=BB207_21 Depth=1
	s_or_b32 exec_lo, exec_lo, s6
	s_and_saveexec_b32 s6, s75
	s_cbranch_execnz .LBB207_122
.LBB207_67:                             ;   in Loop: Header=BB207_21 Depth=1
	s_or_b32 exec_lo, exec_lo, s6
	s_and_saveexec_b32 s6, s76
	s_cbranch_execnz .LBB207_123
.LBB207_68:                             ;   in Loop: Header=BB207_21 Depth=1
	s_or_b32 exec_lo, exec_lo, s6
	s_and_saveexec_b32 s6, s77
	s_cbranch_execnz .LBB207_124
.LBB207_69:                             ;   in Loop: Header=BB207_21 Depth=1
	s_or_b32 exec_lo, exec_lo, s6
	s_and_saveexec_b32 s6, s78
	s_cbranch_execnz .LBB207_125
.LBB207_70:                             ;   in Loop: Header=BB207_21 Depth=1
	s_or_b32 exec_lo, exec_lo, s6
	s_and_saveexec_b32 s6, s79
	s_cbranch_execnz .LBB207_126
.LBB207_71:                             ;   in Loop: Header=BB207_21 Depth=1
	s_or_b32 exec_lo, exec_lo, s6
	s_and_saveexec_b32 s6, s80
	s_cbranch_execz .LBB207_73
.LBB207_72:                             ;   in Loop: Header=BB207_21 Depth=1
	v_add_nc_u64_e32 v[90:91], v[86:87], v[0:1]
	v_add_nc_u64_e32 v[92:93], 0x400, v[72:73]
	s_delay_alu instid0(VALU_DEP_2) | instskip(NEXT) | instid1(VALU_DEP_1)
	v_add_nc_u64_e32 v[90:91], 0x700, v[90:91]
	v_dual_cndmask_b32 v91, v93, v91, s0 :: v_dual_cndmask_b32 v90, v92, v90, s0
	v_add_nc_u64_e32 v[92:93], s[26:27], v[88:89]
	v_add_nc_u64_e32 v[88:89], s[34:35], v[88:89]
	global_load_b64 v[90:91], v[90:91], off
	global_store_b64 v[92:93], v[68:69], off offset:1792
	s_wait_loadcnt 0x0
	global_store_b64 v[88:89], v[90:91], off offset:1792
.LBB207_73:                             ;   in Loop: Header=BB207_21 Depth=1
	s_wait_xcnt 0x0
	s_or_b32 exec_lo, exec_lo, s6
	v_add_nc_u64_e32 v[88:89], s[4:5], v[46:47]
	v_lshl_add_u64 v[86:87], s[40:41], 3, v[86:87]
	s_delay_alu instid0(VALU_DEP_2) | instskip(NEXT) | instid1(VALU_DEP_1)
	v_mad_nc_u64_u32 v[90:91], v88, s20, s[38:39]
	v_mad_u32 v89, v89, s20, v91
	s_delay_alu instid0(VALU_DEP_1) | instskip(NEXT) | instid1(VALU_DEP_1)
	v_mad_u32 v91, v88, s21, v89
	v_add_nc_u64_e32 v[88:89], v[90:91], v[2:3]
	s_delay_alu instid0(VALU_DEP_1)
	v_lshlrev_b64_e32 v[88:89], 3, v[88:89]
	s_and_saveexec_b32 s6, s81
	s_cbranch_execnz .LBB207_127
; %bb.74:                               ;   in Loop: Header=BB207_21 Depth=1
	s_or_b32 exec_lo, exec_lo, s6
	s_and_saveexec_b32 s6, s82
	s_cbranch_execnz .LBB207_128
.LBB207_75:                             ;   in Loop: Header=BB207_21 Depth=1
	s_or_b32 exec_lo, exec_lo, s6
	s_and_saveexec_b32 s6, s83
	s_cbranch_execnz .LBB207_129
.LBB207_76:                             ;   in Loop: Header=BB207_21 Depth=1
	s_or_b32 exec_lo, exec_lo, s6
	s_and_saveexec_b32 s6, s84
	s_cbranch_execnz .LBB207_130
.LBB207_77:                             ;   in Loop: Header=BB207_21 Depth=1
	s_or_b32 exec_lo, exec_lo, s6
	s_and_saveexec_b32 s6, s85
	s_cbranch_execnz .LBB207_131
.LBB207_78:                             ;   in Loop: Header=BB207_21 Depth=1
	s_or_b32 exec_lo, exec_lo, s6
	s_and_saveexec_b32 s6, s86
	s_cbranch_execnz .LBB207_132
.LBB207_79:                             ;   in Loop: Header=BB207_21 Depth=1
	s_or_b32 exec_lo, exec_lo, s6
	s_and_saveexec_b32 s6, s87
	s_cbranch_execnz .LBB207_133
.LBB207_80:                             ;   in Loop: Header=BB207_21 Depth=1
	s_or_b32 exec_lo, exec_lo, s6
	s_and_saveexec_b32 s6, s88
	s_cbranch_execz .LBB207_82
.LBB207_81:                             ;   in Loop: Header=BB207_21 Depth=1
	v_add_nc_u64_e32 v[90:91], v[86:87], v[0:1]
	v_add_nc_u64_e32 v[92:93], 0x500, v[72:73]
	s_delay_alu instid0(VALU_DEP_2) | instskip(NEXT) | instid1(VALU_DEP_1)
	v_add_nc_u64_e32 v[90:91], 0x700, v[90:91]
	v_dual_cndmask_b32 v91, v93, v91, s0 :: v_dual_cndmask_b32 v90, v92, v90, s0
	v_add_nc_u64_e32 v[92:93], s[26:27], v[88:89]
	v_add_nc_u64_e32 v[88:89], s[34:35], v[88:89]
	global_load_b64 v[90:91], v[90:91], off
	global_store_b64 v[92:93], v[68:69], off offset:1792
	s_wait_loadcnt 0x0
	global_store_b64 v[88:89], v[90:91], off offset:1792
.LBB207_82:                             ;   in Loop: Header=BB207_21 Depth=1
	s_wait_xcnt 0x0
	s_or_b32 exec_lo, exec_lo, s6
	v_add_nc_u64_e32 v[88:89], s[4:5], v[48:49]
	v_lshl_add_u64 v[86:87], s[40:41], 3, v[86:87]
	s_delay_alu instid0(VALU_DEP_2) | instskip(NEXT) | instid1(VALU_DEP_1)
	v_mad_nc_u64_u32 v[90:91], v88, s20, s[38:39]
	v_mad_u32 v89, v89, s20, v91
	s_delay_alu instid0(VALU_DEP_1) | instskip(NEXT) | instid1(VALU_DEP_1)
	v_mad_u32 v91, v88, s21, v89
	v_add_nc_u64_e32 v[88:89], v[90:91], v[2:3]
	s_delay_alu instid0(VALU_DEP_1)
	v_lshlrev_b64_e32 v[88:89], 3, v[88:89]
	s_and_saveexec_b32 s6, s89
	s_cbranch_execnz .LBB207_134
; %bb.83:                               ;   in Loop: Header=BB207_21 Depth=1
	s_or_b32 exec_lo, exec_lo, s6
	s_and_saveexec_b32 s6, s90
	s_cbranch_execnz .LBB207_135
.LBB207_84:                             ;   in Loop: Header=BB207_21 Depth=1
	s_or_b32 exec_lo, exec_lo, s6
	s_and_saveexec_b32 s6, s91
	s_cbranch_execnz .LBB207_136
.LBB207_85:                             ;   in Loop: Header=BB207_21 Depth=1
	s_or_b32 exec_lo, exec_lo, s6
	s_and_saveexec_b32 s6, s92
	s_cbranch_execnz .LBB207_137
.LBB207_86:                             ;   in Loop: Header=BB207_21 Depth=1
	s_or_b32 exec_lo, exec_lo, s6
	s_and_saveexec_b32 s6, s93
	s_cbranch_execnz .LBB207_138
.LBB207_87:                             ;   in Loop: Header=BB207_21 Depth=1
	s_or_b32 exec_lo, exec_lo, s6
	s_and_saveexec_b32 s6, s94
	s_cbranch_execnz .LBB207_139
.LBB207_88:                             ;   in Loop: Header=BB207_21 Depth=1
	s_or_b32 exec_lo, exec_lo, s6
	s_and_saveexec_b32 s6, s95
	s_cbranch_execnz .LBB207_140
.LBB207_89:                             ;   in Loop: Header=BB207_21 Depth=1
	s_or_b32 exec_lo, exec_lo, s6
	s_and_saveexec_b32 s6, s8
	s_cbranch_execz .LBB207_91
.LBB207_90:                             ;   in Loop: Header=BB207_21 Depth=1
	v_add_nc_u64_e32 v[90:91], v[86:87], v[0:1]
	v_add_nc_u64_e32 v[92:93], 0x600, v[72:73]
	s_delay_alu instid0(VALU_DEP_2) | instskip(NEXT) | instid1(VALU_DEP_1)
	v_add_nc_u64_e32 v[90:91], 0x700, v[90:91]
	v_dual_cndmask_b32 v91, v93, v91, s0 :: v_dual_cndmask_b32 v90, v92, v90, s0
	v_add_nc_u64_e32 v[92:93], s[26:27], v[88:89]
	v_add_nc_u64_e32 v[88:89], s[34:35], v[88:89]
	global_load_b64 v[90:91], v[90:91], off
	global_store_b64 v[92:93], v[68:69], off offset:1792
	s_wait_loadcnt 0x0
	global_store_b64 v[88:89], v[90:91], off offset:1792
.LBB207_91:                             ;   in Loop: Header=BB207_21 Depth=1
	s_wait_xcnt 0x0
	s_or_b32 exec_lo, exec_lo, s6
	v_add_nc_u64_e32 v[88:89], s[4:5], v[50:51]
	v_lshl_add_u64 v[86:87], s[40:41], 3, v[86:87]
	s_delay_alu instid0(VALU_DEP_2) | instskip(NEXT) | instid1(VALU_DEP_1)
	v_mad_nc_u64_u32 v[90:91], v88, s20, s[38:39]
	v_mad_u32 v89, v89, s20, v91
	s_delay_alu instid0(VALU_DEP_1) | instskip(NEXT) | instid1(VALU_DEP_1)
	v_mad_u32 v91, v88, s21, v89
	v_add_nc_u64_e32 v[88:89], v[90:91], v[2:3]
	s_delay_alu instid0(VALU_DEP_1)
	v_lshlrev_b64_e32 v[88:89], 3, v[88:89]
	s_and_saveexec_b32 s4, s96
	s_cbranch_execnz .LBB207_141
; %bb.92:                               ;   in Loop: Header=BB207_21 Depth=1
	s_or_b32 exec_lo, exec_lo, s4
	s_and_saveexec_b32 s4, s1
	s_cbranch_execnz .LBB207_142
.LBB207_93:                             ;   in Loop: Header=BB207_21 Depth=1
	s_or_b32 exec_lo, exec_lo, s4
	s_and_saveexec_b32 s4, s10
	s_cbranch_execnz .LBB207_143
.LBB207_94:                             ;   in Loop: Header=BB207_21 Depth=1
	s_or_b32 exec_lo, exec_lo, s4
	s_and_saveexec_b32 s4, s11
	s_cbranch_execnz .LBB207_144
.LBB207_95:                             ;   in Loop: Header=BB207_21 Depth=1
	s_or_b32 exec_lo, exec_lo, s4
	s_and_saveexec_b32 s4, s12
	s_cbranch_execnz .LBB207_145
.LBB207_96:                             ;   in Loop: Header=BB207_21 Depth=1
	s_or_b32 exec_lo, exec_lo, s4
	s_and_saveexec_b32 s4, s13
	s_cbranch_execnz .LBB207_146
.LBB207_97:                             ;   in Loop: Header=BB207_21 Depth=1
	s_or_b32 exec_lo, exec_lo, s4
	s_and_saveexec_b32 s4, s14
	s_cbranch_execnz .LBB207_147
.LBB207_98:                             ;   in Loop: Header=BB207_21 Depth=1
	s_or_b32 exec_lo, exec_lo, s4
	s_and_saveexec_b32 s4, s9
	s_cbranch_execz .LBB207_20
	s_branch .LBB207_148
.LBB207_99:                             ;   in Loop: Header=BB207_21 Depth=1
	v_add_nc_u64_e32 v[90:91], v[86:87], v[0:1]
	v_add_nc_u64_e32 v[92:93], 0x100, v[70:71]
	s_delay_alu instid0(VALU_DEP_3) | instskip(NEXT) | instid1(VALU_DEP_2)
	v_add_nc_u64_e32 v[94:95], s[34:35], v[88:89]
	v_dual_cndmask_b32 v91, v93, v91, s0 :: v_dual_cndmask_b32 v90, v92, v90, s0
	v_add_nc_u64_e32 v[92:93], s[26:27], v[88:89]
	global_load_b64 v[90:91], v[90:91], off
	global_store_b64 v[92:93], v[54:55], off
	s_wait_loadcnt 0x0
	global_store_b64 v[94:95], v[90:91], off
	s_wait_xcnt 0x0
	s_or_b32 exec_lo, exec_lo, s6
	s_and_saveexec_b32 s6, s43
	s_cbranch_execz .LBB207_39
.LBB207_100:                            ;   in Loop: Header=BB207_21 Depth=1
	v_add_nc_u64_e32 v[90:91], v[86:87], v[0:1]
	v_add_nc_u64_e32 v[92:93], s[26:27], v[88:89]
	;; [unrolled: 1-line block ×3, first 2 shown]
	s_delay_alu instid0(VALU_DEP_3)
	v_dual_cndmask_b32 v91, v85, v91, s0 :: v_dual_cndmask_b32 v90, v84, v90, s0
	global_load_b64 v[90:91], v[90:91], off offset:256
	global_store_b64 v[92:93], v[56:57], off offset:256
	s_wait_loadcnt 0x0
	global_store_b64 v[94:95], v[90:91], off offset:256
	s_wait_xcnt 0x0
	s_or_b32 exec_lo, exec_lo, s6
	s_and_saveexec_b32 s6, s51
	s_cbranch_execz .LBB207_40
.LBB207_101:                            ;   in Loop: Header=BB207_21 Depth=1
	v_add_nc_u64_e32 v[90:91], v[86:87], v[0:1]
	v_add_nc_u64_e32 v[92:93], 0x100, v[82:83]
	;; [unrolled: 1-line block ×3, first 2 shown]
	s_delay_alu instid0(VALU_DEP_3) | instskip(NEXT) | instid1(VALU_DEP_1)
	v_add_nc_u64_e32 v[90:91], 0x200, v[90:91]
	v_dual_cndmask_b32 v91, v93, v91, s0 :: v_dual_cndmask_b32 v90, v92, v90, s0
	v_add_nc_u64_e32 v[92:93], s[26:27], v[88:89]
	global_load_b64 v[90:91], v[90:91], off
	global_store_b64 v[92:93], v[58:59], off offset:512
	s_wait_loadcnt 0x0
	global_store_b64 v[94:95], v[90:91], off offset:512
	s_wait_xcnt 0x0
	s_or_b32 exec_lo, exec_lo, s6
	s_and_saveexec_b32 s6, s52
	s_cbranch_execz .LBB207_41
.LBB207_102:                            ;   in Loop: Header=BB207_21 Depth=1
	v_add_nc_u64_e32 v[90:91], v[86:87], v[0:1]
	v_add_nc_u64_e32 v[92:93], 0x100, v[80:81]
	;; [unrolled: 1-line block ×3, first 2 shown]
	s_delay_alu instid0(VALU_DEP_3) | instskip(NEXT) | instid1(VALU_DEP_1)
	v_add_nc_u64_e32 v[90:91], 0x300, v[90:91]
	v_dual_cndmask_b32 v91, v93, v91, s0 :: v_dual_cndmask_b32 v90, v92, v90, s0
	v_add_nc_u64_e32 v[92:93], s[26:27], v[88:89]
	global_load_b64 v[90:91], v[90:91], off
	global_store_b64 v[92:93], v[60:61], off offset:768
	s_wait_loadcnt 0x0
	global_store_b64 v[94:95], v[90:91], off offset:768
	s_wait_xcnt 0x0
	s_or_b32 exec_lo, exec_lo, s6
	s_and_saveexec_b32 s6, s53
	s_cbranch_execz .LBB207_42
.LBB207_103:                            ;   in Loop: Header=BB207_21 Depth=1
	v_add_nc_u64_e32 v[90:91], v[86:87], v[0:1]
	v_add_nc_u64_e32 v[92:93], 0x100, v[78:79]
	;; [unrolled: 1-line block ×3, first 2 shown]
	s_delay_alu instid0(VALU_DEP_3) | instskip(NEXT) | instid1(VALU_DEP_1)
	v_add_nc_u64_e32 v[90:91], 0x400, v[90:91]
	v_dual_cndmask_b32 v91, v93, v91, s0 :: v_dual_cndmask_b32 v90, v92, v90, s0
	v_add_nc_u64_e32 v[92:93], s[26:27], v[88:89]
	global_load_b64 v[90:91], v[90:91], off
	global_store_b64 v[92:93], v[62:63], off offset:1024
	s_wait_loadcnt 0x0
	global_store_b64 v[94:95], v[90:91], off offset:1024
	s_wait_xcnt 0x0
	s_or_b32 exec_lo, exec_lo, s6
	s_and_saveexec_b32 s6, s54
	s_cbranch_execz .LBB207_43
.LBB207_104:                            ;   in Loop: Header=BB207_21 Depth=1
	v_add_nc_u64_e32 v[90:91], v[86:87], v[0:1]
	v_add_nc_u64_e32 v[92:93], 0x100, v[76:77]
	;; [unrolled: 1-line block ×3, first 2 shown]
	s_delay_alu instid0(VALU_DEP_3) | instskip(NEXT) | instid1(VALU_DEP_1)
	v_add_nc_u64_e32 v[90:91], 0x500, v[90:91]
	v_dual_cndmask_b32 v91, v93, v91, s0 :: v_dual_cndmask_b32 v90, v92, v90, s0
	v_add_nc_u64_e32 v[92:93], s[26:27], v[88:89]
	global_load_b64 v[90:91], v[90:91], off
	global_store_b64 v[92:93], v[64:65], off offset:1280
	s_wait_loadcnt 0x0
	global_store_b64 v[94:95], v[90:91], off offset:1280
	s_wait_xcnt 0x0
	s_or_b32 exec_lo, exec_lo, s6
	s_and_saveexec_b32 s6, s55
	s_cbranch_execz .LBB207_44
.LBB207_105:                            ;   in Loop: Header=BB207_21 Depth=1
	v_add_nc_u64_e32 v[90:91], v[86:87], v[0:1]
	v_add_nc_u64_e32 v[92:93], 0x100, v[74:75]
	;; [unrolled: 1-line block ×3, first 2 shown]
	s_delay_alu instid0(VALU_DEP_3) | instskip(NEXT) | instid1(VALU_DEP_1)
	v_add_nc_u64_e32 v[90:91], 0x600, v[90:91]
	v_dual_cndmask_b32 v91, v93, v91, s0 :: v_dual_cndmask_b32 v90, v92, v90, s0
	v_add_nc_u64_e32 v[92:93], s[26:27], v[88:89]
	global_load_b64 v[90:91], v[90:91], off
	global_store_b64 v[92:93], v[66:67], off offset:1536
	s_wait_loadcnt 0x0
	global_store_b64 v[94:95], v[90:91], off offset:1536
	s_wait_xcnt 0x0
	s_or_b32 exec_lo, exec_lo, s6
	s_and_saveexec_b32 s6, s56
	s_cbranch_execnz .LBB207_45
	s_branch .LBB207_46
.LBB207_106:                            ;   in Loop: Header=BB207_21 Depth=1
	v_add_nc_u64_e32 v[90:91], v[86:87], v[0:1]
	v_add_nc_u64_e32 v[92:93], 0x200, v[70:71]
	s_delay_alu instid0(VALU_DEP_3) | instskip(NEXT) | instid1(VALU_DEP_2)
	v_add_nc_u64_e32 v[94:95], s[34:35], v[88:89]
	v_dual_cndmask_b32 v91, v93, v91, s0 :: v_dual_cndmask_b32 v90, v92, v90, s0
	v_add_nc_u64_e32 v[92:93], s[26:27], v[88:89]
	global_load_b64 v[90:91], v[90:91], off
	global_store_b64 v[92:93], v[54:55], off
	s_wait_loadcnt 0x0
	global_store_b64 v[94:95], v[90:91], off
	s_wait_xcnt 0x0
	s_or_b32 exec_lo, exec_lo, s6
	s_and_saveexec_b32 s6, s58
	s_cbranch_execz .LBB207_48
.LBB207_107:                            ;   in Loop: Header=BB207_21 Depth=1
	v_add_nc_u64_e32 v[90:91], v[86:87], v[0:1]
	v_add_nc_u64_e32 v[92:93], 0x200, v[84:85]
	;; [unrolled: 1-line block ×3, first 2 shown]
	s_delay_alu instid0(VALU_DEP_3) | instskip(NEXT) | instid1(VALU_DEP_1)
	v_add_nc_u64_e32 v[90:91], 0x100, v[90:91]
	v_dual_cndmask_b32 v91, v93, v91, s0 :: v_dual_cndmask_b32 v90, v92, v90, s0
	v_add_nc_u64_e32 v[92:93], s[26:27], v[88:89]
	global_load_b64 v[90:91], v[90:91], off
	global_store_b64 v[92:93], v[56:57], off offset:256
	s_wait_loadcnt 0x0
	global_store_b64 v[94:95], v[90:91], off offset:256
	s_wait_xcnt 0x0
	s_or_b32 exec_lo, exec_lo, s6
	s_and_saveexec_b32 s6, s59
	s_cbranch_execz .LBB207_49
.LBB207_108:                            ;   in Loop: Header=BB207_21 Depth=1
	v_add_nc_u64_e32 v[90:91], v[86:87], v[0:1]
	v_add_nc_u64_e32 v[92:93], s[26:27], v[88:89]
	;; [unrolled: 1-line block ×3, first 2 shown]
	s_delay_alu instid0(VALU_DEP_3)
	v_dual_cndmask_b32 v91, v83, v91, s0 :: v_dual_cndmask_b32 v90, v82, v90, s0
	global_load_b64 v[90:91], v[90:91], off offset:512
	global_store_b64 v[92:93], v[58:59], off offset:512
	s_wait_loadcnt 0x0
	global_store_b64 v[94:95], v[90:91], off offset:512
	s_wait_xcnt 0x0
	s_or_b32 exec_lo, exec_lo, s6
	s_and_saveexec_b32 s6, s60
	s_cbranch_execz .LBB207_50
.LBB207_109:                            ;   in Loop: Header=BB207_21 Depth=1
	v_add_nc_u64_e32 v[90:91], v[86:87], v[0:1]
	v_add_nc_u64_e32 v[92:93], 0x200, v[80:81]
	;; [unrolled: 1-line block ×3, first 2 shown]
	s_delay_alu instid0(VALU_DEP_3) | instskip(NEXT) | instid1(VALU_DEP_1)
	v_add_nc_u64_e32 v[90:91], 0x300, v[90:91]
	v_dual_cndmask_b32 v91, v93, v91, s0 :: v_dual_cndmask_b32 v90, v92, v90, s0
	v_add_nc_u64_e32 v[92:93], s[26:27], v[88:89]
	global_load_b64 v[90:91], v[90:91], off
	global_store_b64 v[92:93], v[60:61], off offset:768
	s_wait_loadcnt 0x0
	global_store_b64 v[94:95], v[90:91], off offset:768
	s_wait_xcnt 0x0
	s_or_b32 exec_lo, exec_lo, s6
	s_and_saveexec_b32 s6, s61
	s_cbranch_execz .LBB207_51
.LBB207_110:                            ;   in Loop: Header=BB207_21 Depth=1
	v_add_nc_u64_e32 v[90:91], v[86:87], v[0:1]
	v_add_nc_u64_e32 v[92:93], 0x200, v[78:79]
	;; [unrolled: 1-line block ×3, first 2 shown]
	s_delay_alu instid0(VALU_DEP_3) | instskip(NEXT) | instid1(VALU_DEP_1)
	v_add_nc_u64_e32 v[90:91], 0x400, v[90:91]
	v_dual_cndmask_b32 v91, v93, v91, s0 :: v_dual_cndmask_b32 v90, v92, v90, s0
	v_add_nc_u64_e32 v[92:93], s[26:27], v[88:89]
	global_load_b64 v[90:91], v[90:91], off
	global_store_b64 v[92:93], v[62:63], off offset:1024
	s_wait_loadcnt 0x0
	global_store_b64 v[94:95], v[90:91], off offset:1024
	s_wait_xcnt 0x0
	s_or_b32 exec_lo, exec_lo, s6
	s_and_saveexec_b32 s6, s62
	s_cbranch_execz .LBB207_52
.LBB207_111:                            ;   in Loop: Header=BB207_21 Depth=1
	v_add_nc_u64_e32 v[90:91], v[86:87], v[0:1]
	v_add_nc_u64_e32 v[92:93], 0x200, v[76:77]
	;; [unrolled: 1-line block ×3, first 2 shown]
	s_delay_alu instid0(VALU_DEP_3) | instskip(NEXT) | instid1(VALU_DEP_1)
	v_add_nc_u64_e32 v[90:91], 0x500, v[90:91]
	v_dual_cndmask_b32 v91, v93, v91, s0 :: v_dual_cndmask_b32 v90, v92, v90, s0
	v_add_nc_u64_e32 v[92:93], s[26:27], v[88:89]
	global_load_b64 v[90:91], v[90:91], off
	global_store_b64 v[92:93], v[64:65], off offset:1280
	s_wait_loadcnt 0x0
	global_store_b64 v[94:95], v[90:91], off offset:1280
	s_wait_xcnt 0x0
	s_or_b32 exec_lo, exec_lo, s6
	s_and_saveexec_b32 s6, s63
	s_cbranch_execz .LBB207_53
.LBB207_112:                            ;   in Loop: Header=BB207_21 Depth=1
	v_add_nc_u64_e32 v[90:91], v[86:87], v[0:1]
	v_add_nc_u64_e32 v[92:93], 0x200, v[74:75]
	;; [unrolled: 1-line block ×3, first 2 shown]
	s_delay_alu instid0(VALU_DEP_3) | instskip(NEXT) | instid1(VALU_DEP_1)
	v_add_nc_u64_e32 v[90:91], 0x600, v[90:91]
	v_dual_cndmask_b32 v91, v93, v91, s0 :: v_dual_cndmask_b32 v90, v92, v90, s0
	v_add_nc_u64_e32 v[92:93], s[26:27], v[88:89]
	global_load_b64 v[90:91], v[90:91], off
	global_store_b64 v[92:93], v[66:67], off offset:1536
	s_wait_loadcnt 0x0
	global_store_b64 v[94:95], v[90:91], off offset:1536
	s_wait_xcnt 0x0
	s_or_b32 exec_lo, exec_lo, s6
	s_and_saveexec_b32 s6, s64
	s_cbranch_execnz .LBB207_54
	s_branch .LBB207_55
.LBB207_113:                            ;   in Loop: Header=BB207_21 Depth=1
	v_add_nc_u64_e32 v[90:91], v[86:87], v[0:1]
	v_add_nc_u64_e32 v[92:93], 0x300, v[70:71]
	s_delay_alu instid0(VALU_DEP_3) | instskip(NEXT) | instid1(VALU_DEP_2)
	v_add_nc_u64_e32 v[94:95], s[34:35], v[88:89]
	v_dual_cndmask_b32 v91, v93, v91, s0 :: v_dual_cndmask_b32 v90, v92, v90, s0
	v_add_nc_u64_e32 v[92:93], s[26:27], v[88:89]
	global_load_b64 v[90:91], v[90:91], off
	global_store_b64 v[92:93], v[54:55], off
	s_wait_loadcnt 0x0
	global_store_b64 v[94:95], v[90:91], off
	s_wait_xcnt 0x0
	s_or_b32 exec_lo, exec_lo, s6
	s_and_saveexec_b32 s6, s66
	s_cbranch_execz .LBB207_57
.LBB207_114:                            ;   in Loop: Header=BB207_21 Depth=1
	v_add_nc_u64_e32 v[90:91], v[86:87], v[0:1]
	v_add_nc_u64_e32 v[92:93], 0x300, v[84:85]
	;; [unrolled: 1-line block ×3, first 2 shown]
	s_delay_alu instid0(VALU_DEP_3) | instskip(NEXT) | instid1(VALU_DEP_1)
	v_add_nc_u64_e32 v[90:91], 0x100, v[90:91]
	v_dual_cndmask_b32 v91, v93, v91, s0 :: v_dual_cndmask_b32 v90, v92, v90, s0
	v_add_nc_u64_e32 v[92:93], s[26:27], v[88:89]
	global_load_b64 v[90:91], v[90:91], off
	global_store_b64 v[92:93], v[56:57], off offset:256
	s_wait_loadcnt 0x0
	global_store_b64 v[94:95], v[90:91], off offset:256
	s_wait_xcnt 0x0
	s_or_b32 exec_lo, exec_lo, s6
	s_and_saveexec_b32 s6, s67
	s_cbranch_execz .LBB207_58
.LBB207_115:                            ;   in Loop: Header=BB207_21 Depth=1
	v_add_nc_u64_e32 v[90:91], v[86:87], v[0:1]
	v_add_nc_u64_e32 v[92:93], 0x300, v[82:83]
	;; [unrolled: 1-line block ×3, first 2 shown]
	s_delay_alu instid0(VALU_DEP_3) | instskip(NEXT) | instid1(VALU_DEP_1)
	v_add_nc_u64_e32 v[90:91], 0x200, v[90:91]
	v_dual_cndmask_b32 v91, v93, v91, s0 :: v_dual_cndmask_b32 v90, v92, v90, s0
	v_add_nc_u64_e32 v[92:93], s[26:27], v[88:89]
	global_load_b64 v[90:91], v[90:91], off
	global_store_b64 v[92:93], v[58:59], off offset:512
	s_wait_loadcnt 0x0
	global_store_b64 v[94:95], v[90:91], off offset:512
	s_wait_xcnt 0x0
	s_or_b32 exec_lo, exec_lo, s6
	s_and_saveexec_b32 s6, s68
	s_cbranch_execz .LBB207_59
.LBB207_116:                            ;   in Loop: Header=BB207_21 Depth=1
	v_add_nc_u64_e32 v[90:91], v[86:87], v[0:1]
	v_add_nc_u64_e32 v[92:93], s[26:27], v[88:89]
	v_add_nc_u64_e32 v[94:95], s[34:35], v[88:89]
	s_delay_alu instid0(VALU_DEP_3)
	v_dual_cndmask_b32 v91, v81, v91, s0 :: v_dual_cndmask_b32 v90, v80, v90, s0
	global_load_b64 v[90:91], v[90:91], off offset:768
	global_store_b64 v[92:93], v[60:61], off offset:768
	s_wait_loadcnt 0x0
	global_store_b64 v[94:95], v[90:91], off offset:768
	s_wait_xcnt 0x0
	s_or_b32 exec_lo, exec_lo, s6
	s_and_saveexec_b32 s6, s69
	s_cbranch_execz .LBB207_60
.LBB207_117:                            ;   in Loop: Header=BB207_21 Depth=1
	v_add_nc_u64_e32 v[90:91], v[86:87], v[0:1]
	v_add_nc_u64_e32 v[92:93], 0x300, v[78:79]
	;; [unrolled: 1-line block ×3, first 2 shown]
	s_delay_alu instid0(VALU_DEP_3) | instskip(NEXT) | instid1(VALU_DEP_1)
	v_add_nc_u64_e32 v[90:91], 0x400, v[90:91]
	v_dual_cndmask_b32 v91, v93, v91, s0 :: v_dual_cndmask_b32 v90, v92, v90, s0
	v_add_nc_u64_e32 v[92:93], s[26:27], v[88:89]
	global_load_b64 v[90:91], v[90:91], off
	global_store_b64 v[92:93], v[62:63], off offset:1024
	s_wait_loadcnt 0x0
	global_store_b64 v[94:95], v[90:91], off offset:1024
	s_wait_xcnt 0x0
	s_or_b32 exec_lo, exec_lo, s6
	s_and_saveexec_b32 s6, s70
	s_cbranch_execz .LBB207_61
.LBB207_118:                            ;   in Loop: Header=BB207_21 Depth=1
	v_add_nc_u64_e32 v[90:91], v[86:87], v[0:1]
	v_add_nc_u64_e32 v[92:93], 0x300, v[76:77]
	;; [unrolled: 1-line block ×3, first 2 shown]
	s_delay_alu instid0(VALU_DEP_3) | instskip(NEXT) | instid1(VALU_DEP_1)
	v_add_nc_u64_e32 v[90:91], 0x500, v[90:91]
	v_dual_cndmask_b32 v91, v93, v91, s0 :: v_dual_cndmask_b32 v90, v92, v90, s0
	v_add_nc_u64_e32 v[92:93], s[26:27], v[88:89]
	global_load_b64 v[90:91], v[90:91], off
	global_store_b64 v[92:93], v[64:65], off offset:1280
	s_wait_loadcnt 0x0
	global_store_b64 v[94:95], v[90:91], off offset:1280
	s_wait_xcnt 0x0
	s_or_b32 exec_lo, exec_lo, s6
	s_and_saveexec_b32 s6, s71
	s_cbranch_execz .LBB207_62
.LBB207_119:                            ;   in Loop: Header=BB207_21 Depth=1
	v_add_nc_u64_e32 v[90:91], v[86:87], v[0:1]
	v_add_nc_u64_e32 v[92:93], 0x300, v[74:75]
	;; [unrolled: 1-line block ×3, first 2 shown]
	s_delay_alu instid0(VALU_DEP_3) | instskip(NEXT) | instid1(VALU_DEP_1)
	v_add_nc_u64_e32 v[90:91], 0x600, v[90:91]
	v_dual_cndmask_b32 v91, v93, v91, s0 :: v_dual_cndmask_b32 v90, v92, v90, s0
	v_add_nc_u64_e32 v[92:93], s[26:27], v[88:89]
	global_load_b64 v[90:91], v[90:91], off
	global_store_b64 v[92:93], v[66:67], off offset:1536
	s_wait_loadcnt 0x0
	global_store_b64 v[94:95], v[90:91], off offset:1536
	s_wait_xcnt 0x0
	s_or_b32 exec_lo, exec_lo, s6
	s_and_saveexec_b32 s6, s72
	s_cbranch_execnz .LBB207_63
	s_branch .LBB207_64
.LBB207_120:                            ;   in Loop: Header=BB207_21 Depth=1
	v_add_nc_u64_e32 v[90:91], v[86:87], v[0:1]
	v_add_nc_u64_e32 v[92:93], 0x400, v[70:71]
	s_delay_alu instid0(VALU_DEP_3) | instskip(NEXT) | instid1(VALU_DEP_2)
	v_add_nc_u64_e32 v[94:95], s[34:35], v[88:89]
	v_dual_cndmask_b32 v91, v93, v91, s0 :: v_dual_cndmask_b32 v90, v92, v90, s0
	v_add_nc_u64_e32 v[92:93], s[26:27], v[88:89]
	global_load_b64 v[90:91], v[90:91], off
	global_store_b64 v[92:93], v[54:55], off
	s_wait_loadcnt 0x0
	global_store_b64 v[94:95], v[90:91], off
	s_wait_xcnt 0x0
	s_or_b32 exec_lo, exec_lo, s6
	s_and_saveexec_b32 s6, s74
	s_cbranch_execz .LBB207_66
.LBB207_121:                            ;   in Loop: Header=BB207_21 Depth=1
	v_add_nc_u64_e32 v[90:91], v[86:87], v[0:1]
	v_add_nc_u64_e32 v[92:93], 0x400, v[84:85]
	;; [unrolled: 1-line block ×3, first 2 shown]
	s_delay_alu instid0(VALU_DEP_3) | instskip(NEXT) | instid1(VALU_DEP_1)
	v_add_nc_u64_e32 v[90:91], 0x100, v[90:91]
	v_dual_cndmask_b32 v91, v93, v91, s0 :: v_dual_cndmask_b32 v90, v92, v90, s0
	v_add_nc_u64_e32 v[92:93], s[26:27], v[88:89]
	global_load_b64 v[90:91], v[90:91], off
	global_store_b64 v[92:93], v[56:57], off offset:256
	s_wait_loadcnt 0x0
	global_store_b64 v[94:95], v[90:91], off offset:256
	s_wait_xcnt 0x0
	s_or_b32 exec_lo, exec_lo, s6
	s_and_saveexec_b32 s6, s75
	s_cbranch_execz .LBB207_67
.LBB207_122:                            ;   in Loop: Header=BB207_21 Depth=1
	v_add_nc_u64_e32 v[90:91], v[86:87], v[0:1]
	v_add_nc_u64_e32 v[92:93], 0x400, v[82:83]
	v_add_nc_u64_e32 v[94:95], s[34:35], v[88:89]
	s_delay_alu instid0(VALU_DEP_3) | instskip(NEXT) | instid1(VALU_DEP_1)
	v_add_nc_u64_e32 v[90:91], 0x200, v[90:91]
	v_dual_cndmask_b32 v91, v93, v91, s0 :: v_dual_cndmask_b32 v90, v92, v90, s0
	v_add_nc_u64_e32 v[92:93], s[26:27], v[88:89]
	global_load_b64 v[90:91], v[90:91], off
	global_store_b64 v[92:93], v[58:59], off offset:512
	s_wait_loadcnt 0x0
	global_store_b64 v[94:95], v[90:91], off offset:512
	s_wait_xcnt 0x0
	s_or_b32 exec_lo, exec_lo, s6
	s_and_saveexec_b32 s6, s76
	s_cbranch_execz .LBB207_68
.LBB207_123:                            ;   in Loop: Header=BB207_21 Depth=1
	v_add_nc_u64_e32 v[90:91], v[86:87], v[0:1]
	v_add_nc_u64_e32 v[92:93], 0x400, v[80:81]
	;; [unrolled: 1-line block ×3, first 2 shown]
	s_delay_alu instid0(VALU_DEP_3) | instskip(NEXT) | instid1(VALU_DEP_1)
	v_add_nc_u64_e32 v[90:91], 0x300, v[90:91]
	v_dual_cndmask_b32 v91, v93, v91, s0 :: v_dual_cndmask_b32 v90, v92, v90, s0
	v_add_nc_u64_e32 v[92:93], s[26:27], v[88:89]
	global_load_b64 v[90:91], v[90:91], off
	global_store_b64 v[92:93], v[60:61], off offset:768
	s_wait_loadcnt 0x0
	global_store_b64 v[94:95], v[90:91], off offset:768
	s_wait_xcnt 0x0
	s_or_b32 exec_lo, exec_lo, s6
	s_and_saveexec_b32 s6, s77
	s_cbranch_execz .LBB207_69
.LBB207_124:                            ;   in Loop: Header=BB207_21 Depth=1
	v_add_nc_u64_e32 v[90:91], v[86:87], v[0:1]
	v_add_nc_u64_e32 v[92:93], s[26:27], v[88:89]
	;; [unrolled: 1-line block ×3, first 2 shown]
	s_delay_alu instid0(VALU_DEP_3)
	v_dual_cndmask_b32 v91, v79, v91, s0 :: v_dual_cndmask_b32 v90, v78, v90, s0
	global_load_b64 v[90:91], v[90:91], off offset:1024
	global_store_b64 v[92:93], v[62:63], off offset:1024
	s_wait_loadcnt 0x0
	global_store_b64 v[94:95], v[90:91], off offset:1024
	s_wait_xcnt 0x0
	s_or_b32 exec_lo, exec_lo, s6
	s_and_saveexec_b32 s6, s78
	s_cbranch_execz .LBB207_70
.LBB207_125:                            ;   in Loop: Header=BB207_21 Depth=1
	v_add_nc_u64_e32 v[90:91], v[86:87], v[0:1]
	v_add_nc_u64_e32 v[92:93], 0x400, v[76:77]
	;; [unrolled: 1-line block ×3, first 2 shown]
	s_delay_alu instid0(VALU_DEP_3) | instskip(NEXT) | instid1(VALU_DEP_1)
	v_add_nc_u64_e32 v[90:91], 0x500, v[90:91]
	v_dual_cndmask_b32 v91, v93, v91, s0 :: v_dual_cndmask_b32 v90, v92, v90, s0
	v_add_nc_u64_e32 v[92:93], s[26:27], v[88:89]
	global_load_b64 v[90:91], v[90:91], off
	global_store_b64 v[92:93], v[64:65], off offset:1280
	s_wait_loadcnt 0x0
	global_store_b64 v[94:95], v[90:91], off offset:1280
	s_wait_xcnt 0x0
	s_or_b32 exec_lo, exec_lo, s6
	s_and_saveexec_b32 s6, s79
	s_cbranch_execz .LBB207_71
.LBB207_126:                            ;   in Loop: Header=BB207_21 Depth=1
	v_add_nc_u64_e32 v[90:91], v[86:87], v[0:1]
	v_add_nc_u64_e32 v[92:93], 0x400, v[74:75]
	;; [unrolled: 1-line block ×3, first 2 shown]
	s_delay_alu instid0(VALU_DEP_3) | instskip(NEXT) | instid1(VALU_DEP_1)
	v_add_nc_u64_e32 v[90:91], 0x600, v[90:91]
	v_dual_cndmask_b32 v91, v93, v91, s0 :: v_dual_cndmask_b32 v90, v92, v90, s0
	v_add_nc_u64_e32 v[92:93], s[26:27], v[88:89]
	global_load_b64 v[90:91], v[90:91], off
	global_store_b64 v[92:93], v[66:67], off offset:1536
	s_wait_loadcnt 0x0
	global_store_b64 v[94:95], v[90:91], off offset:1536
	s_wait_xcnt 0x0
	s_or_b32 exec_lo, exec_lo, s6
	s_and_saveexec_b32 s6, s80
	s_cbranch_execnz .LBB207_72
	s_branch .LBB207_73
.LBB207_127:                            ;   in Loop: Header=BB207_21 Depth=1
	v_add_nc_u64_e32 v[90:91], v[86:87], v[0:1]
	v_add_nc_u64_e32 v[92:93], 0x500, v[70:71]
	s_delay_alu instid0(VALU_DEP_3) | instskip(NEXT) | instid1(VALU_DEP_2)
	v_add_nc_u64_e32 v[94:95], s[34:35], v[88:89]
	v_dual_cndmask_b32 v91, v93, v91, s0 :: v_dual_cndmask_b32 v90, v92, v90, s0
	v_add_nc_u64_e32 v[92:93], s[26:27], v[88:89]
	global_load_b64 v[90:91], v[90:91], off
	global_store_b64 v[92:93], v[54:55], off
	s_wait_loadcnt 0x0
	global_store_b64 v[94:95], v[90:91], off
	s_wait_xcnt 0x0
	s_or_b32 exec_lo, exec_lo, s6
	s_and_saveexec_b32 s6, s82
	s_cbranch_execz .LBB207_75
.LBB207_128:                            ;   in Loop: Header=BB207_21 Depth=1
	v_add_nc_u64_e32 v[90:91], v[86:87], v[0:1]
	v_add_nc_u64_e32 v[92:93], 0x500, v[84:85]
	;; [unrolled: 1-line block ×3, first 2 shown]
	s_delay_alu instid0(VALU_DEP_3) | instskip(NEXT) | instid1(VALU_DEP_1)
	v_add_nc_u64_e32 v[90:91], 0x100, v[90:91]
	v_dual_cndmask_b32 v91, v93, v91, s0 :: v_dual_cndmask_b32 v90, v92, v90, s0
	v_add_nc_u64_e32 v[92:93], s[26:27], v[88:89]
	global_load_b64 v[90:91], v[90:91], off
	global_store_b64 v[92:93], v[56:57], off offset:256
	s_wait_loadcnt 0x0
	global_store_b64 v[94:95], v[90:91], off offset:256
	s_wait_xcnt 0x0
	s_or_b32 exec_lo, exec_lo, s6
	s_and_saveexec_b32 s6, s83
	s_cbranch_execz .LBB207_76
.LBB207_129:                            ;   in Loop: Header=BB207_21 Depth=1
	v_add_nc_u64_e32 v[90:91], v[86:87], v[0:1]
	v_add_nc_u64_e32 v[92:93], 0x500, v[82:83]
	;; [unrolled: 1-line block ×3, first 2 shown]
	s_delay_alu instid0(VALU_DEP_3) | instskip(NEXT) | instid1(VALU_DEP_1)
	v_add_nc_u64_e32 v[90:91], 0x200, v[90:91]
	v_dual_cndmask_b32 v91, v93, v91, s0 :: v_dual_cndmask_b32 v90, v92, v90, s0
	v_add_nc_u64_e32 v[92:93], s[26:27], v[88:89]
	global_load_b64 v[90:91], v[90:91], off
	global_store_b64 v[92:93], v[58:59], off offset:512
	s_wait_loadcnt 0x0
	global_store_b64 v[94:95], v[90:91], off offset:512
	s_wait_xcnt 0x0
	s_or_b32 exec_lo, exec_lo, s6
	s_and_saveexec_b32 s6, s84
	s_cbranch_execz .LBB207_77
.LBB207_130:                            ;   in Loop: Header=BB207_21 Depth=1
	v_add_nc_u64_e32 v[90:91], v[86:87], v[0:1]
	v_add_nc_u64_e32 v[92:93], 0x500, v[80:81]
	;; [unrolled: 1-line block ×3, first 2 shown]
	s_delay_alu instid0(VALU_DEP_3) | instskip(NEXT) | instid1(VALU_DEP_1)
	v_add_nc_u64_e32 v[90:91], 0x300, v[90:91]
	v_dual_cndmask_b32 v91, v93, v91, s0 :: v_dual_cndmask_b32 v90, v92, v90, s0
	v_add_nc_u64_e32 v[92:93], s[26:27], v[88:89]
	global_load_b64 v[90:91], v[90:91], off
	global_store_b64 v[92:93], v[60:61], off offset:768
	s_wait_loadcnt 0x0
	global_store_b64 v[94:95], v[90:91], off offset:768
	s_wait_xcnt 0x0
	s_or_b32 exec_lo, exec_lo, s6
	s_and_saveexec_b32 s6, s85
	s_cbranch_execz .LBB207_78
.LBB207_131:                            ;   in Loop: Header=BB207_21 Depth=1
	v_add_nc_u64_e32 v[90:91], v[86:87], v[0:1]
	v_add_nc_u64_e32 v[92:93], 0x500, v[78:79]
	;; [unrolled: 1-line block ×3, first 2 shown]
	s_delay_alu instid0(VALU_DEP_3) | instskip(NEXT) | instid1(VALU_DEP_1)
	v_add_nc_u64_e32 v[90:91], 0x400, v[90:91]
	v_dual_cndmask_b32 v91, v93, v91, s0 :: v_dual_cndmask_b32 v90, v92, v90, s0
	v_add_nc_u64_e32 v[92:93], s[26:27], v[88:89]
	global_load_b64 v[90:91], v[90:91], off
	global_store_b64 v[92:93], v[62:63], off offset:1024
	s_wait_loadcnt 0x0
	global_store_b64 v[94:95], v[90:91], off offset:1024
	s_wait_xcnt 0x0
	s_or_b32 exec_lo, exec_lo, s6
	s_and_saveexec_b32 s6, s86
	s_cbranch_execz .LBB207_79
.LBB207_132:                            ;   in Loop: Header=BB207_21 Depth=1
	v_add_nc_u64_e32 v[90:91], v[86:87], v[0:1]
	v_add_nc_u64_e32 v[92:93], s[26:27], v[88:89]
	;; [unrolled: 1-line block ×3, first 2 shown]
	s_delay_alu instid0(VALU_DEP_3)
	v_dual_cndmask_b32 v91, v77, v91, s0 :: v_dual_cndmask_b32 v90, v76, v90, s0
	global_load_b64 v[90:91], v[90:91], off offset:1280
	global_store_b64 v[92:93], v[64:65], off offset:1280
	s_wait_loadcnt 0x0
	global_store_b64 v[94:95], v[90:91], off offset:1280
	s_wait_xcnt 0x0
	s_or_b32 exec_lo, exec_lo, s6
	s_and_saveexec_b32 s6, s87
	s_cbranch_execz .LBB207_80
.LBB207_133:                            ;   in Loop: Header=BB207_21 Depth=1
	v_add_nc_u64_e32 v[90:91], v[86:87], v[0:1]
	v_add_nc_u64_e32 v[92:93], 0x500, v[74:75]
	;; [unrolled: 1-line block ×3, first 2 shown]
	s_delay_alu instid0(VALU_DEP_3) | instskip(NEXT) | instid1(VALU_DEP_1)
	v_add_nc_u64_e32 v[90:91], 0x600, v[90:91]
	v_dual_cndmask_b32 v91, v93, v91, s0 :: v_dual_cndmask_b32 v90, v92, v90, s0
	v_add_nc_u64_e32 v[92:93], s[26:27], v[88:89]
	global_load_b64 v[90:91], v[90:91], off
	global_store_b64 v[92:93], v[66:67], off offset:1536
	s_wait_loadcnt 0x0
	global_store_b64 v[94:95], v[90:91], off offset:1536
	s_wait_xcnt 0x0
	s_or_b32 exec_lo, exec_lo, s6
	s_and_saveexec_b32 s6, s88
	s_cbranch_execnz .LBB207_81
	s_branch .LBB207_82
.LBB207_134:                            ;   in Loop: Header=BB207_21 Depth=1
	v_add_nc_u64_e32 v[90:91], v[86:87], v[0:1]
	v_add_nc_u64_e32 v[92:93], 0x600, v[70:71]
	s_delay_alu instid0(VALU_DEP_3) | instskip(NEXT) | instid1(VALU_DEP_2)
	v_add_nc_u64_e32 v[94:95], s[34:35], v[88:89]
	v_dual_cndmask_b32 v91, v93, v91, s0 :: v_dual_cndmask_b32 v90, v92, v90, s0
	v_add_nc_u64_e32 v[92:93], s[26:27], v[88:89]
	global_load_b64 v[90:91], v[90:91], off
	global_store_b64 v[92:93], v[54:55], off
	s_wait_loadcnt 0x0
	global_store_b64 v[94:95], v[90:91], off
	s_wait_xcnt 0x0
	s_or_b32 exec_lo, exec_lo, s6
	s_and_saveexec_b32 s6, s90
	s_cbranch_execz .LBB207_84
.LBB207_135:                            ;   in Loop: Header=BB207_21 Depth=1
	v_add_nc_u64_e32 v[90:91], v[86:87], v[0:1]
	v_add_nc_u64_e32 v[92:93], 0x600, v[84:85]
	;; [unrolled: 1-line block ×3, first 2 shown]
	s_delay_alu instid0(VALU_DEP_3) | instskip(NEXT) | instid1(VALU_DEP_1)
	v_add_nc_u64_e32 v[90:91], 0x100, v[90:91]
	v_dual_cndmask_b32 v91, v93, v91, s0 :: v_dual_cndmask_b32 v90, v92, v90, s0
	v_add_nc_u64_e32 v[92:93], s[26:27], v[88:89]
	global_load_b64 v[90:91], v[90:91], off
	global_store_b64 v[92:93], v[56:57], off offset:256
	s_wait_loadcnt 0x0
	global_store_b64 v[94:95], v[90:91], off offset:256
	s_wait_xcnt 0x0
	s_or_b32 exec_lo, exec_lo, s6
	s_and_saveexec_b32 s6, s91
	s_cbranch_execz .LBB207_85
.LBB207_136:                            ;   in Loop: Header=BB207_21 Depth=1
	v_add_nc_u64_e32 v[90:91], v[86:87], v[0:1]
	v_add_nc_u64_e32 v[92:93], 0x600, v[82:83]
	v_add_nc_u64_e32 v[94:95], s[34:35], v[88:89]
	s_delay_alu instid0(VALU_DEP_3) | instskip(NEXT) | instid1(VALU_DEP_1)
	v_add_nc_u64_e32 v[90:91], 0x200, v[90:91]
	v_dual_cndmask_b32 v91, v93, v91, s0 :: v_dual_cndmask_b32 v90, v92, v90, s0
	v_add_nc_u64_e32 v[92:93], s[26:27], v[88:89]
	global_load_b64 v[90:91], v[90:91], off
	global_store_b64 v[92:93], v[58:59], off offset:512
	s_wait_loadcnt 0x0
	global_store_b64 v[94:95], v[90:91], off offset:512
	s_wait_xcnt 0x0
	s_or_b32 exec_lo, exec_lo, s6
	s_and_saveexec_b32 s6, s92
	s_cbranch_execz .LBB207_86
.LBB207_137:                            ;   in Loop: Header=BB207_21 Depth=1
	v_add_nc_u64_e32 v[90:91], v[86:87], v[0:1]
	v_add_nc_u64_e32 v[92:93], 0x600, v[80:81]
	;; [unrolled: 1-line block ×3, first 2 shown]
	s_delay_alu instid0(VALU_DEP_3) | instskip(NEXT) | instid1(VALU_DEP_1)
	v_add_nc_u64_e32 v[90:91], 0x300, v[90:91]
	v_dual_cndmask_b32 v91, v93, v91, s0 :: v_dual_cndmask_b32 v90, v92, v90, s0
	v_add_nc_u64_e32 v[92:93], s[26:27], v[88:89]
	global_load_b64 v[90:91], v[90:91], off
	global_store_b64 v[92:93], v[60:61], off offset:768
	s_wait_loadcnt 0x0
	global_store_b64 v[94:95], v[90:91], off offset:768
	s_wait_xcnt 0x0
	s_or_b32 exec_lo, exec_lo, s6
	s_and_saveexec_b32 s6, s93
	s_cbranch_execz .LBB207_87
.LBB207_138:                            ;   in Loop: Header=BB207_21 Depth=1
	v_add_nc_u64_e32 v[90:91], v[86:87], v[0:1]
	v_add_nc_u64_e32 v[92:93], 0x600, v[78:79]
	;; [unrolled: 1-line block ×3, first 2 shown]
	s_delay_alu instid0(VALU_DEP_3) | instskip(NEXT) | instid1(VALU_DEP_1)
	v_add_nc_u64_e32 v[90:91], 0x400, v[90:91]
	v_dual_cndmask_b32 v91, v93, v91, s0 :: v_dual_cndmask_b32 v90, v92, v90, s0
	v_add_nc_u64_e32 v[92:93], s[26:27], v[88:89]
	global_load_b64 v[90:91], v[90:91], off
	global_store_b64 v[92:93], v[62:63], off offset:1024
	s_wait_loadcnt 0x0
	global_store_b64 v[94:95], v[90:91], off offset:1024
	s_wait_xcnt 0x0
	s_or_b32 exec_lo, exec_lo, s6
	s_and_saveexec_b32 s6, s94
	s_cbranch_execz .LBB207_88
.LBB207_139:                            ;   in Loop: Header=BB207_21 Depth=1
	v_add_nc_u64_e32 v[90:91], v[86:87], v[0:1]
	v_add_nc_u64_e32 v[92:93], 0x600, v[76:77]
	;; [unrolled: 1-line block ×3, first 2 shown]
	s_delay_alu instid0(VALU_DEP_3) | instskip(NEXT) | instid1(VALU_DEP_1)
	v_add_nc_u64_e32 v[90:91], 0x500, v[90:91]
	v_dual_cndmask_b32 v91, v93, v91, s0 :: v_dual_cndmask_b32 v90, v92, v90, s0
	v_add_nc_u64_e32 v[92:93], s[26:27], v[88:89]
	global_load_b64 v[90:91], v[90:91], off
	global_store_b64 v[92:93], v[64:65], off offset:1280
	s_wait_loadcnt 0x0
	global_store_b64 v[94:95], v[90:91], off offset:1280
	s_wait_xcnt 0x0
	s_or_b32 exec_lo, exec_lo, s6
	s_and_saveexec_b32 s6, s95
	s_cbranch_execz .LBB207_89
.LBB207_140:                            ;   in Loop: Header=BB207_21 Depth=1
	v_add_nc_u64_e32 v[90:91], v[86:87], v[0:1]
	v_add_nc_u64_e32 v[92:93], s[26:27], v[88:89]
	v_add_nc_u64_e32 v[94:95], s[34:35], v[88:89]
	s_delay_alu instid0(VALU_DEP_3)
	v_dual_cndmask_b32 v91, v75, v91, s0 :: v_dual_cndmask_b32 v90, v74, v90, s0
	global_load_b64 v[90:91], v[90:91], off offset:1536
	global_store_b64 v[92:93], v[66:67], off offset:1536
	s_wait_loadcnt 0x0
	global_store_b64 v[94:95], v[90:91], off offset:1536
	s_wait_xcnt 0x0
	s_or_b32 exec_lo, exec_lo, s6
	s_and_saveexec_b32 s6, s8
	s_cbranch_execnz .LBB207_90
	s_branch .LBB207_91
.LBB207_141:                            ;   in Loop: Header=BB207_21 Depth=1
	v_add_nc_u64_e32 v[90:91], v[86:87], v[0:1]
	v_add_nc_u64_e32 v[70:71], 0x700, v[70:71]
	s_delay_alu instid0(VALU_DEP_3) | instskip(NEXT) | instid1(VALU_DEP_2)
	v_add_nc_u64_e32 v[92:93], s[34:35], v[88:89]
	v_dual_cndmask_b32 v71, v71, v91, s0 :: v_dual_cndmask_b32 v70, v70, v90, s0
	v_add_nc_u64_e32 v[90:91], s[26:27], v[88:89]
	global_load_b64 v[70:71], v[70:71], off
	global_store_b64 v[90:91], v[54:55], off
	s_wait_loadcnt 0x0
	global_store_b64 v[92:93], v[70:71], off
	s_wait_xcnt 0x0
	s_or_b32 exec_lo, exec_lo, s4
	s_and_saveexec_b32 s4, s1
	s_cbranch_execz .LBB207_93
.LBB207_142:                            ;   in Loop: Header=BB207_21 Depth=1
	v_add_nc_u64_e32 v[54:55], v[86:87], v[0:1]
	v_add_nc_u64_e32 v[70:71], 0x700, v[84:85]
	;; [unrolled: 1-line block ×3, first 2 shown]
	s_delay_alu instid0(VALU_DEP_3) | instskip(NEXT) | instid1(VALU_DEP_1)
	v_add_nc_u64_e32 v[54:55], 0x100, v[54:55]
	v_dual_cndmask_b32 v55, v71, v55, s0 :: v_dual_cndmask_b32 v54, v70, v54, s0
	v_add_nc_u64_e32 v[70:71], s[26:27], v[88:89]
	global_load_b64 v[54:55], v[54:55], off
	global_store_b64 v[70:71], v[56:57], off offset:256
	s_wait_loadcnt 0x0
	global_store_b64 v[84:85], v[54:55], off offset:256
	s_wait_xcnt 0x0
	s_or_b32 exec_lo, exec_lo, s4
	s_and_saveexec_b32 s4, s10
	s_cbranch_execz .LBB207_94
.LBB207_143:                            ;   in Loop: Header=BB207_21 Depth=1
	v_add_nc_u64_e32 v[54:55], v[86:87], v[0:1]
	v_add_nc_u64_e32 v[56:57], 0x700, v[82:83]
	;; [unrolled: 1-line block ×3, first 2 shown]
	s_delay_alu instid0(VALU_DEP_3) | instskip(NEXT) | instid1(VALU_DEP_1)
	v_add_nc_u64_e32 v[54:55], 0x200, v[54:55]
	v_dual_cndmask_b32 v55, v57, v55, s0 :: v_dual_cndmask_b32 v54, v56, v54, s0
	v_add_nc_u64_e32 v[56:57], s[26:27], v[88:89]
	global_load_b64 v[54:55], v[54:55], off
	global_store_b64 v[56:57], v[58:59], off offset:512
	s_wait_loadcnt 0x0
	global_store_b64 v[70:71], v[54:55], off offset:512
	s_wait_xcnt 0x0
	s_or_b32 exec_lo, exec_lo, s4
	s_and_saveexec_b32 s4, s11
	s_cbranch_execz .LBB207_95
.LBB207_144:                            ;   in Loop: Header=BB207_21 Depth=1
	v_add_nc_u64_e32 v[54:55], v[86:87], v[0:1]
	v_add_nc_u64_e32 v[56:57], 0x700, v[80:81]
	;; [unrolled: 1-line block ×3, first 2 shown]
	s_delay_alu instid0(VALU_DEP_3) | instskip(NEXT) | instid1(VALU_DEP_1)
	v_add_nc_u64_e32 v[54:55], 0x300, v[54:55]
	v_dual_cndmask_b32 v55, v57, v55, s0 :: v_dual_cndmask_b32 v54, v56, v54, s0
	v_add_nc_u64_e32 v[56:57], s[26:27], v[88:89]
	global_load_b64 v[54:55], v[54:55], off
	global_store_b64 v[56:57], v[60:61], off offset:768
	s_wait_loadcnt 0x0
	global_store_b64 v[58:59], v[54:55], off offset:768
	s_wait_xcnt 0x0
	s_or_b32 exec_lo, exec_lo, s4
	s_and_saveexec_b32 s4, s12
	s_cbranch_execz .LBB207_96
.LBB207_145:                            ;   in Loop: Header=BB207_21 Depth=1
	v_add_nc_u64_e32 v[54:55], v[86:87], v[0:1]
	v_add_nc_u64_e32 v[56:57], 0x700, v[78:79]
	;; [unrolled: 1-line block ×3, first 2 shown]
	s_delay_alu instid0(VALU_DEP_3) | instskip(NEXT) | instid1(VALU_DEP_1)
	v_add_nc_u64_e32 v[54:55], 0x400, v[54:55]
	v_dual_cndmask_b32 v55, v57, v55, s0 :: v_dual_cndmask_b32 v54, v56, v54, s0
	v_add_nc_u64_e32 v[56:57], s[26:27], v[88:89]
	global_load_b64 v[54:55], v[54:55], off
	global_store_b64 v[56:57], v[62:63], off offset:1024
	s_wait_loadcnt 0x0
	global_store_b64 v[58:59], v[54:55], off offset:1024
	s_wait_xcnt 0x0
	s_or_b32 exec_lo, exec_lo, s4
	s_and_saveexec_b32 s4, s13
	s_cbranch_execz .LBB207_97
.LBB207_146:                            ;   in Loop: Header=BB207_21 Depth=1
	v_add_nc_u64_e32 v[54:55], v[86:87], v[0:1]
	v_add_nc_u64_e32 v[56:57], 0x700, v[76:77]
	;; [unrolled: 1-line block ×3, first 2 shown]
	s_delay_alu instid0(VALU_DEP_3) | instskip(NEXT) | instid1(VALU_DEP_1)
	v_add_nc_u64_e32 v[54:55], 0x500, v[54:55]
	v_dual_cndmask_b32 v55, v57, v55, s0 :: v_dual_cndmask_b32 v54, v56, v54, s0
	v_add_nc_u64_e32 v[56:57], s[26:27], v[88:89]
	global_load_b64 v[54:55], v[54:55], off
	global_store_b64 v[56:57], v[64:65], off offset:1280
	s_wait_loadcnt 0x0
	global_store_b64 v[58:59], v[54:55], off offset:1280
	s_wait_xcnt 0x0
	s_or_b32 exec_lo, exec_lo, s4
	s_and_saveexec_b32 s4, s14
	s_cbranch_execz .LBB207_98
.LBB207_147:                            ;   in Loop: Header=BB207_21 Depth=1
	v_add_nc_u64_e32 v[54:55], v[86:87], v[0:1]
	v_add_nc_u64_e32 v[56:57], 0x700, v[74:75]
	;; [unrolled: 1-line block ×3, first 2 shown]
	s_delay_alu instid0(VALU_DEP_3) | instskip(NEXT) | instid1(VALU_DEP_1)
	v_add_nc_u64_e32 v[54:55], 0x600, v[54:55]
	v_dual_cndmask_b32 v55, v57, v55, s0 :: v_dual_cndmask_b32 v54, v56, v54, s0
	v_add_nc_u64_e32 v[56:57], s[26:27], v[88:89]
	global_load_b64 v[54:55], v[54:55], off
	global_store_b64 v[56:57], v[66:67], off offset:1536
	s_wait_loadcnt 0x0
	global_store_b64 v[58:59], v[54:55], off offset:1536
	s_wait_xcnt 0x0
	s_or_b32 exec_lo, exec_lo, s4
	s_and_saveexec_b32 s4, s9
	s_cbranch_execz .LBB207_20
.LBB207_148:                            ;   in Loop: Header=BB207_21 Depth=1
	v_add_nc_u64_e32 v[54:55], v[86:87], v[0:1]
	v_add_nc_u64_e32 v[56:57], s[26:27], v[88:89]
	;; [unrolled: 1-line block ×3, first 2 shown]
	s_delay_alu instid0(VALU_DEP_3)
	v_dual_cndmask_b32 v55, v73, v55, s0 :: v_dual_cndmask_b32 v54, v72, v54, s0
	global_load_b64 v[54:55], v[54:55], off offset:1792
	global_store_b64 v[56:57], v[68:69], off offset:1792
	s_wait_loadcnt 0x0
	global_store_b64 v[58:59], v[54:55], off offset:1792
	s_branch .LBB207_20
.LBB207_149:
	s_sendmsg sendmsg(MSG_DEALLOC_VGPRS)
	s_endpgm
	.section	.rodata,"a",@progbits
	.p2align	6, 0x0
	.amdhsa_kernel _ZN9rocsparseL35bsr2csr_block_per_row_33_256_kernelILj1024ELj256ELj32E21rocsparse_complex_numIfEllEEv20rocsparse_direction_T4_S4_21rocsparse_index_base_PKT2_PKT3_PKS4_S4_S5_PS6_PS9_PS4_
		.amdhsa_group_segment_fixed_size 0
		.amdhsa_private_segment_fixed_size 0
		.amdhsa_kernarg_size 96
		.amdhsa_user_sgpr_count 2
		.amdhsa_user_sgpr_dispatch_ptr 0
		.amdhsa_user_sgpr_queue_ptr 0
		.amdhsa_user_sgpr_kernarg_segment_ptr 1
		.amdhsa_user_sgpr_dispatch_id 0
		.amdhsa_user_sgpr_kernarg_preload_length 0
		.amdhsa_user_sgpr_kernarg_preload_offset 0
		.amdhsa_user_sgpr_private_segment_size 0
		.amdhsa_wavefront_size32 1
		.amdhsa_uses_dynamic_stack 0
		.amdhsa_enable_private_segment 0
		.amdhsa_system_sgpr_workgroup_id_x 1
		.amdhsa_system_sgpr_workgroup_id_y 0
		.amdhsa_system_sgpr_workgroup_id_z 0
		.amdhsa_system_sgpr_workgroup_info 0
		.amdhsa_system_vgpr_workitem_id 0
		.amdhsa_next_free_vgpr 96
		.amdhsa_next_free_sgpr 100
		.amdhsa_named_barrier_count 0
		.amdhsa_reserve_vcc 1
		.amdhsa_float_round_mode_32 0
		.amdhsa_float_round_mode_16_64 0
		.amdhsa_float_denorm_mode_32 3
		.amdhsa_float_denorm_mode_16_64 3
		.amdhsa_fp16_overflow 0
		.amdhsa_memory_ordered 1
		.amdhsa_forward_progress 1
		.amdhsa_inst_pref_size 69
		.amdhsa_round_robin_scheduling 0
		.amdhsa_exception_fp_ieee_invalid_op 0
		.amdhsa_exception_fp_denorm_src 0
		.amdhsa_exception_fp_ieee_div_zero 0
		.amdhsa_exception_fp_ieee_overflow 0
		.amdhsa_exception_fp_ieee_underflow 0
		.amdhsa_exception_fp_ieee_inexact 0
		.amdhsa_exception_int_div_zero 0
	.end_amdhsa_kernel
	.section	.text._ZN9rocsparseL35bsr2csr_block_per_row_33_256_kernelILj1024ELj256ELj32E21rocsparse_complex_numIfEllEEv20rocsparse_direction_T4_S4_21rocsparse_index_base_PKT2_PKT3_PKS4_S4_S5_PS6_PS9_PS4_,"axG",@progbits,_ZN9rocsparseL35bsr2csr_block_per_row_33_256_kernelILj1024ELj256ELj32E21rocsparse_complex_numIfEllEEv20rocsparse_direction_T4_S4_21rocsparse_index_base_PKT2_PKT3_PKS4_S4_S5_PS6_PS9_PS4_,comdat
.Lfunc_end207:
	.size	_ZN9rocsparseL35bsr2csr_block_per_row_33_256_kernelILj1024ELj256ELj32E21rocsparse_complex_numIfEllEEv20rocsparse_direction_T4_S4_21rocsparse_index_base_PKT2_PKT3_PKS4_S4_S5_PS6_PS9_PS4_, .Lfunc_end207-_ZN9rocsparseL35bsr2csr_block_per_row_33_256_kernelILj1024ELj256ELj32E21rocsparse_complex_numIfEllEEv20rocsparse_direction_T4_S4_21rocsparse_index_base_PKT2_PKT3_PKS4_S4_S5_PS6_PS9_PS4_
                                        ; -- End function
	.set _ZN9rocsparseL35bsr2csr_block_per_row_33_256_kernelILj1024ELj256ELj32E21rocsparse_complex_numIfEllEEv20rocsparse_direction_T4_S4_21rocsparse_index_base_PKT2_PKT3_PKS4_S4_S5_PS6_PS9_PS4_.num_vgpr, 96
	.set _ZN9rocsparseL35bsr2csr_block_per_row_33_256_kernelILj1024ELj256ELj32E21rocsparse_complex_numIfEllEEv20rocsparse_direction_T4_S4_21rocsparse_index_base_PKT2_PKT3_PKS4_S4_S5_PS6_PS9_PS4_.num_agpr, 0
	.set _ZN9rocsparseL35bsr2csr_block_per_row_33_256_kernelILj1024ELj256ELj32E21rocsparse_complex_numIfEllEEv20rocsparse_direction_T4_S4_21rocsparse_index_base_PKT2_PKT3_PKS4_S4_S5_PS6_PS9_PS4_.numbered_sgpr, 100
	.set _ZN9rocsparseL35bsr2csr_block_per_row_33_256_kernelILj1024ELj256ELj32E21rocsparse_complex_numIfEllEEv20rocsparse_direction_T4_S4_21rocsparse_index_base_PKT2_PKT3_PKS4_S4_S5_PS6_PS9_PS4_.num_named_barrier, 0
	.set _ZN9rocsparseL35bsr2csr_block_per_row_33_256_kernelILj1024ELj256ELj32E21rocsparse_complex_numIfEllEEv20rocsparse_direction_T4_S4_21rocsparse_index_base_PKT2_PKT3_PKS4_S4_S5_PS6_PS9_PS4_.private_seg_size, 0
	.set _ZN9rocsparseL35bsr2csr_block_per_row_33_256_kernelILj1024ELj256ELj32E21rocsparse_complex_numIfEllEEv20rocsparse_direction_T4_S4_21rocsparse_index_base_PKT2_PKT3_PKS4_S4_S5_PS6_PS9_PS4_.uses_vcc, 1
	.set _ZN9rocsparseL35bsr2csr_block_per_row_33_256_kernelILj1024ELj256ELj32E21rocsparse_complex_numIfEllEEv20rocsparse_direction_T4_S4_21rocsparse_index_base_PKT2_PKT3_PKS4_S4_S5_PS6_PS9_PS4_.uses_flat_scratch, 0
	.set _ZN9rocsparseL35bsr2csr_block_per_row_33_256_kernelILj1024ELj256ELj32E21rocsparse_complex_numIfEllEEv20rocsparse_direction_T4_S4_21rocsparse_index_base_PKT2_PKT3_PKS4_S4_S5_PS6_PS9_PS4_.has_dyn_sized_stack, 0
	.set _ZN9rocsparseL35bsr2csr_block_per_row_33_256_kernelILj1024ELj256ELj32E21rocsparse_complex_numIfEllEEv20rocsparse_direction_T4_S4_21rocsparse_index_base_PKT2_PKT3_PKS4_S4_S5_PS6_PS9_PS4_.has_recursion, 0
	.set _ZN9rocsparseL35bsr2csr_block_per_row_33_256_kernelILj1024ELj256ELj32E21rocsparse_complex_numIfEllEEv20rocsparse_direction_T4_S4_21rocsparse_index_base_PKT2_PKT3_PKS4_S4_S5_PS6_PS9_PS4_.has_indirect_call, 0
	.section	.AMDGPU.csdata,"",@progbits
; Kernel info:
; codeLenInByte = 8808
; TotalNumSgprs: 102
; NumVgprs: 96
; ScratchSize: 0
; MemoryBound: 0
; FloatMode: 240
; IeeeMode: 1
; LDSByteSize: 0 bytes/workgroup (compile time only)
; SGPRBlocks: 0
; VGPRBlocks: 5
; NumSGPRsForWavesPerEU: 102
; NumVGPRsForWavesPerEU: 96
; NamedBarCnt: 0
; Occupancy: 10
; WaveLimiterHint : 1
; COMPUTE_PGM_RSRC2:SCRATCH_EN: 0
; COMPUTE_PGM_RSRC2:USER_SGPR: 2
; COMPUTE_PGM_RSRC2:TRAP_HANDLER: 0
; COMPUTE_PGM_RSRC2:TGID_X_EN: 1
; COMPUTE_PGM_RSRC2:TGID_Y_EN: 0
; COMPUTE_PGM_RSRC2:TGID_Z_EN: 0
; COMPUTE_PGM_RSRC2:TIDIG_COMP_CNT: 0
	.section	.text._ZN9rocsparseL35bsr2csr_block_dim_equals_one_kernelILj1024EdiiEEvT2_S1_21rocsparse_index_base_PKT0_PKT1_PKS1_S2_PS3_PS6_PS1_,"axG",@progbits,_ZN9rocsparseL35bsr2csr_block_dim_equals_one_kernelILj1024EdiiEEvT2_S1_21rocsparse_index_base_PKT0_PKT1_PKS1_S2_PS3_PS6_PS1_,comdat
	.globl	_ZN9rocsparseL35bsr2csr_block_dim_equals_one_kernelILj1024EdiiEEvT2_S1_21rocsparse_index_base_PKT0_PKT1_PKS1_S2_PS3_PS6_PS1_ ; -- Begin function _ZN9rocsparseL35bsr2csr_block_dim_equals_one_kernelILj1024EdiiEEvT2_S1_21rocsparse_index_base_PKT0_PKT1_PKS1_S2_PS3_PS6_PS1_
	.p2align	8
	.type	_ZN9rocsparseL35bsr2csr_block_dim_equals_one_kernelILj1024EdiiEEvT2_S1_21rocsparse_index_base_PKT0_PKT1_PKS1_S2_PS3_PS6_PS1_,@function
_ZN9rocsparseL35bsr2csr_block_dim_equals_one_kernelILj1024EdiiEEvT2_S1_21rocsparse_index_base_PKT0_PKT1_PKS1_S2_PS3_PS6_PS1_: ; @_ZN9rocsparseL35bsr2csr_block_dim_equals_one_kernelILj1024EdiiEEvT2_S1_21rocsparse_index_base_PKT0_PKT1_PKS1_S2_PS3_PS6_PS1_
; %bb.0:
	s_clause 0x5
	s_load_b64 s[2:3], s[0:1], 0x40
	s_load_b32 s14, s[0:1], 0x0
	s_load_b32 s11, s[0:1], 0x8
	s_load_b128 s[4:7], s[0:1], 0x10
	s_load_b96 s[8:10], s[0:1], 0x20
	s_load_b64 s[12:13], s[0:1], 0x30
	s_bfe_u32 s15, ttmp6, 0x4000c
	s_and_b32 s16, ttmp6, 15
	s_add_co_i32 s15, s15, 1
	s_getreg_b32 s17, hwreg(HW_REG_IB_STS2, 6, 4)
	s_mul_i32 s15, ttmp9, s15
	s_delay_alu instid0(SALU_CYCLE_1) | instskip(SKIP_2) | instid1(SALU_CYCLE_1)
	s_add_co_i32 s16, s16, s15
	s_cmp_eq_u32 s17, 0
	s_cselect_b32 s15, ttmp9, s16
	v_lshl_or_b32 v0, s15, 10, v0
	s_mov_b32 s15, exec_lo
	s_wait_kmcnt 0x0
	s_delay_alu instid0(VALU_DEP_1)
	v_cmpx_gt_i32_e64 s14, v0
	s_cbranch_execz .LBB208_6
; %bb.1:
	s_load_b64 s[16:17], s[0:1], 0x38
	s_mov_b32 s18, exec_lo
                                        ; implicit-def: $sgpr19
	v_cmpx_ne_u32_e32 0, v0
	s_xor_b32 s18, exec_lo, s18
; %bb.2:
	s_sub_co_i32 s19, s10, s11
; %bb.3:
	s_or_saveexec_b32 s18, s18
	v_mov_b32_e32 v1, s19
	s_xor_b32 exec_lo, exec_lo, s18
	s_cbranch_execz .LBB208_5
; %bb.4:
	s_load_b32 s19, s[6:7], 0x0
	s_sub_co_i32 s20, s10, s11
	s_delay_alu instid0(SALU_CYCLE_1) | instskip(SKIP_2) | instid1(SALU_CYCLE_1)
	v_mov_b32_e32 v1, s20
	s_wait_kmcnt 0x0
	s_add_co_i32 s19, s20, s19
	v_dual_mov_b32 v2, 0 :: v_dual_mov_b32 v3, s19
	global_store_b32 v2, v3, s[16:17]
.LBB208_5:
	s_wait_xcnt 0x0
	s_or_b32 exec_lo, exec_lo, s18
	global_load_b32 v2, v0, s[6:7] offset:4 scale_offset
	s_wait_loadcnt 0x0
	v_add_nc_u32_e32 v1, v1, v2
	s_wait_kmcnt 0x0
	global_store_b32 v0, v1, s[16:17] offset:4 scale_offset
.LBB208_6:
	s_wait_xcnt 0x0
	s_or_b32 exec_lo, exec_lo, s15
	s_ashr_i32 s15, s14, 31
	s_delay_alu instid0(SALU_CYCLE_1) | instskip(NEXT) | instid1(SALU_CYCLE_1)
	s_lshl_b64 s[14:15], s[14:15], 2
	s_add_nc_u64 s[14:15], s[6:7], s[14:15]
	s_clause 0x1
	s_load_b32 s16, s[14:15], 0x0
	s_load_b32 s17, s[6:7], 0x0
	s_wait_xcnt 0x0
	s_mov_b32 s7, exec_lo
	s_wait_kmcnt 0x0
	s_sub_co_i32 s6, s16, s17
	s_delay_alu instid0(SALU_CYCLE_1)
	v_cmpx_gt_i32_e64 s6, v0
	s_cbranch_execz .LBB208_9
; %bb.7:
	s_load_b32 s1, s[0:1], 0x48
	s_wait_xcnt 0x0
	s_sub_co_i32 s0, s10, s11
	s_mov_b32 s7, 0
	s_wait_kmcnt 0x0
	s_lshl_b32 s1, s1, 10
.LBB208_8:                              ; =>This Inner Loop Header: Depth=1
	s_clause 0x1
	global_load_b32 v1, v0, s[8:9] scale_offset
	global_load_b64 v[2:3], v0, s[4:5] scale_offset
	s_wait_loadcnt 0x1
	v_add_nc_u32_e32 v1, s0, v1
	global_store_b32 v0, v1, s[2:3] scale_offset
	s_wait_loadcnt 0x0
	global_store_b64 v0, v[2:3], s[12:13] scale_offset
	s_wait_xcnt 0x0
	v_add_nc_u32_e32 v0, s1, v0
	s_delay_alu instid0(VALU_DEP_1) | instskip(SKIP_1) | instid1(SALU_CYCLE_1)
	v_cmp_le_i32_e32 vcc_lo, s6, v0
	s_or_b32 s7, vcc_lo, s7
	s_and_not1_b32 exec_lo, exec_lo, s7
	s_cbranch_execnz .LBB208_8
.LBB208_9:
	s_endpgm
	.section	.rodata,"a",@progbits
	.p2align	6, 0x0
	.amdhsa_kernel _ZN9rocsparseL35bsr2csr_block_dim_equals_one_kernelILj1024EdiiEEvT2_S1_21rocsparse_index_base_PKT0_PKT1_PKS1_S2_PS3_PS6_PS1_
		.amdhsa_group_segment_fixed_size 0
		.amdhsa_private_segment_fixed_size 0
		.amdhsa_kernarg_size 328
		.amdhsa_user_sgpr_count 2
		.amdhsa_user_sgpr_dispatch_ptr 0
		.amdhsa_user_sgpr_queue_ptr 0
		.amdhsa_user_sgpr_kernarg_segment_ptr 1
		.amdhsa_user_sgpr_dispatch_id 0
		.amdhsa_user_sgpr_kernarg_preload_length 0
		.amdhsa_user_sgpr_kernarg_preload_offset 0
		.amdhsa_user_sgpr_private_segment_size 0
		.amdhsa_wavefront_size32 1
		.amdhsa_uses_dynamic_stack 0
		.amdhsa_enable_private_segment 0
		.amdhsa_system_sgpr_workgroup_id_x 1
		.amdhsa_system_sgpr_workgroup_id_y 0
		.amdhsa_system_sgpr_workgroup_id_z 0
		.amdhsa_system_sgpr_workgroup_info 0
		.amdhsa_system_vgpr_workitem_id 0
		.amdhsa_next_free_vgpr 4
		.amdhsa_next_free_sgpr 21
		.amdhsa_named_barrier_count 0
		.amdhsa_reserve_vcc 1
		.amdhsa_float_round_mode_32 0
		.amdhsa_float_round_mode_16_64 0
		.amdhsa_float_denorm_mode_32 3
		.amdhsa_float_denorm_mode_16_64 3
		.amdhsa_fp16_overflow 0
		.amdhsa_memory_ordered 1
		.amdhsa_forward_progress 1
		.amdhsa_inst_pref_size 4
		.amdhsa_round_robin_scheduling 0
		.amdhsa_exception_fp_ieee_invalid_op 0
		.amdhsa_exception_fp_denorm_src 0
		.amdhsa_exception_fp_ieee_div_zero 0
		.amdhsa_exception_fp_ieee_overflow 0
		.amdhsa_exception_fp_ieee_underflow 0
		.amdhsa_exception_fp_ieee_inexact 0
		.amdhsa_exception_int_div_zero 0
	.end_amdhsa_kernel
	.section	.text._ZN9rocsparseL35bsr2csr_block_dim_equals_one_kernelILj1024EdiiEEvT2_S1_21rocsparse_index_base_PKT0_PKT1_PKS1_S2_PS3_PS6_PS1_,"axG",@progbits,_ZN9rocsparseL35bsr2csr_block_dim_equals_one_kernelILj1024EdiiEEvT2_S1_21rocsparse_index_base_PKT0_PKT1_PKS1_S2_PS3_PS6_PS1_,comdat
.Lfunc_end208:
	.size	_ZN9rocsparseL35bsr2csr_block_dim_equals_one_kernelILj1024EdiiEEvT2_S1_21rocsparse_index_base_PKT0_PKT1_PKS1_S2_PS3_PS6_PS1_, .Lfunc_end208-_ZN9rocsparseL35bsr2csr_block_dim_equals_one_kernelILj1024EdiiEEvT2_S1_21rocsparse_index_base_PKT0_PKT1_PKS1_S2_PS3_PS6_PS1_
                                        ; -- End function
	.set _ZN9rocsparseL35bsr2csr_block_dim_equals_one_kernelILj1024EdiiEEvT2_S1_21rocsparse_index_base_PKT0_PKT1_PKS1_S2_PS3_PS6_PS1_.num_vgpr, 4
	.set _ZN9rocsparseL35bsr2csr_block_dim_equals_one_kernelILj1024EdiiEEvT2_S1_21rocsparse_index_base_PKT0_PKT1_PKS1_S2_PS3_PS6_PS1_.num_agpr, 0
	.set _ZN9rocsparseL35bsr2csr_block_dim_equals_one_kernelILj1024EdiiEEvT2_S1_21rocsparse_index_base_PKT0_PKT1_PKS1_S2_PS3_PS6_PS1_.numbered_sgpr, 21
	.set _ZN9rocsparseL35bsr2csr_block_dim_equals_one_kernelILj1024EdiiEEvT2_S1_21rocsparse_index_base_PKT0_PKT1_PKS1_S2_PS3_PS6_PS1_.num_named_barrier, 0
	.set _ZN9rocsparseL35bsr2csr_block_dim_equals_one_kernelILj1024EdiiEEvT2_S1_21rocsparse_index_base_PKT0_PKT1_PKS1_S2_PS3_PS6_PS1_.private_seg_size, 0
	.set _ZN9rocsparseL35bsr2csr_block_dim_equals_one_kernelILj1024EdiiEEvT2_S1_21rocsparse_index_base_PKT0_PKT1_PKS1_S2_PS3_PS6_PS1_.uses_vcc, 1
	.set _ZN9rocsparseL35bsr2csr_block_dim_equals_one_kernelILj1024EdiiEEvT2_S1_21rocsparse_index_base_PKT0_PKT1_PKS1_S2_PS3_PS6_PS1_.uses_flat_scratch, 0
	.set _ZN9rocsparseL35bsr2csr_block_dim_equals_one_kernelILj1024EdiiEEvT2_S1_21rocsparse_index_base_PKT0_PKT1_PKS1_S2_PS3_PS6_PS1_.has_dyn_sized_stack, 0
	.set _ZN9rocsparseL35bsr2csr_block_dim_equals_one_kernelILj1024EdiiEEvT2_S1_21rocsparse_index_base_PKT0_PKT1_PKS1_S2_PS3_PS6_PS1_.has_recursion, 0
	.set _ZN9rocsparseL35bsr2csr_block_dim_equals_one_kernelILj1024EdiiEEvT2_S1_21rocsparse_index_base_PKT0_PKT1_PKS1_S2_PS3_PS6_PS1_.has_indirect_call, 0
	.section	.AMDGPU.csdata,"",@progbits
; Kernel info:
; codeLenInByte = 456
; TotalNumSgprs: 23
; NumVgprs: 4
; ScratchSize: 0
; MemoryBound: 0
; FloatMode: 240
; IeeeMode: 1
; LDSByteSize: 0 bytes/workgroup (compile time only)
; SGPRBlocks: 0
; VGPRBlocks: 0
; NumSGPRsForWavesPerEU: 23
; NumVGPRsForWavesPerEU: 4
; NamedBarCnt: 0
; Occupancy: 16
; WaveLimiterHint : 0
; COMPUTE_PGM_RSRC2:SCRATCH_EN: 0
; COMPUTE_PGM_RSRC2:USER_SGPR: 2
; COMPUTE_PGM_RSRC2:TRAP_HANDLER: 0
; COMPUTE_PGM_RSRC2:TGID_X_EN: 1
; COMPUTE_PGM_RSRC2:TGID_Y_EN: 0
; COMPUTE_PGM_RSRC2:TGID_Z_EN: 0
; COMPUTE_PGM_RSRC2:TIDIG_COMP_CNT: 0
	.section	.text._ZN9rocsparseL32bsr2csr_block_per_row_2_7_kernelILj256ELj2EdiiEEv20rocsparse_direction_T3_S2_21rocsparse_index_base_PKT1_PKT2_PKS2_S2_S3_PS4_PS7_PS2_,"axG",@progbits,_ZN9rocsparseL32bsr2csr_block_per_row_2_7_kernelILj256ELj2EdiiEEv20rocsparse_direction_T3_S2_21rocsparse_index_base_PKT1_PKT2_PKS2_S2_S3_PS4_PS7_PS2_,comdat
	.globl	_ZN9rocsparseL32bsr2csr_block_per_row_2_7_kernelILj256ELj2EdiiEEv20rocsparse_direction_T3_S2_21rocsparse_index_base_PKT1_PKT2_PKS2_S2_S3_PS4_PS7_PS2_ ; -- Begin function _ZN9rocsparseL32bsr2csr_block_per_row_2_7_kernelILj256ELj2EdiiEEv20rocsparse_direction_T3_S2_21rocsparse_index_base_PKT1_PKT2_PKS2_S2_S3_PS4_PS7_PS2_
	.p2align	8
	.type	_ZN9rocsparseL32bsr2csr_block_per_row_2_7_kernelILj256ELj2EdiiEEv20rocsparse_direction_T3_S2_21rocsparse_index_base_PKT1_PKT2_PKS2_S2_S3_PS4_PS7_PS2_,@function
_ZN9rocsparseL32bsr2csr_block_per_row_2_7_kernelILj256ELj2EdiiEEv20rocsparse_direction_T3_S2_21rocsparse_index_base_PKT1_PKT2_PKS2_S2_S3_PS4_PS7_PS2_: ; @_ZN9rocsparseL32bsr2csr_block_per_row_2_7_kernelILj256ELj2EdiiEEv20rocsparse_direction_T3_S2_21rocsparse_index_base_PKT1_PKT2_PKS2_S2_S3_PS4_PS7_PS2_
; %bb.0:
	s_load_b64 s[6:7], s[0:1], 0x18
	s_bfe_u32 s2, ttmp6, 0x4000c
	s_and_b32 s3, ttmp6, 15
	s_add_co_i32 s2, s2, 1
	s_getreg_b32 s4, hwreg(HW_REG_IB_STS2, 6, 4)
	s_mul_i32 s2, ttmp9, s2
	s_delay_alu instid0(SALU_CYCLE_1)
	s_add_co_i32 s3, s3, s2
	s_cmp_eq_u32 s4, 0
	s_cselect_b32 s4, ttmp9, s3
	s_clause 0x1
	s_load_b32 s12, s[0:1], 0x2c
	s_load_b64 s[2:3], s[0:1], 0x38
	s_ashr_i32 s5, s4, 31
	v_or_b32_e32 v1, s4, v0
	s_lshl_b64 s[8:9], s[4:5], 2
	s_mov_b32 s5, exec_lo
	s_wait_kmcnt 0x0
	s_add_nc_u64 s[6:7], s[6:7], s[8:9]
	s_load_b64 s[10:11], s[6:7], 0x0
	v_cmpx_eq_u32_e32 0, v1
	s_cbranch_execz .LBB209_2
; %bb.1:
	v_dual_mov_b32 v1, 0 :: v_dual_mov_b32 v2, s12
	global_store_b32 v1, v2, s[2:3]
.LBB209_2:
	s_wait_xcnt 0x0
	s_or_b32 exec_lo, exec_lo, s5
	s_load_b32 s13, s[0:1], 0xc
	v_dual_lshrrev_b32 v0, 1, v0 :: v_dual_bitop2_b32 v1, 1, v0 bitop3:0x40
	s_delay_alu instid0(VALU_DEP_1) | instskip(NEXT) | instid1(VALU_DEP_1)
	v_lshl_or_b32 v4, s4, 1, v1
	v_add_nc_u32_e32 v4, 1, v4
	s_wait_kmcnt 0x0
	s_sub_co_i32 s5, s10, s13
	s_sub_co_i32 s11, s11, s13
	s_lshl_b32 s4, s5, 2
	s_sub_co_i32 s6, s11, s5
	v_add_nc_u32_e32 v2, s5, v0
	s_lshl_b32 s6, s6, 1
	s_delay_alu instid0(SALU_CYCLE_1)
	v_mul_lo_u32 v3, s6, v1
	s_add_co_i32 s6, s6, s12
	s_delay_alu instid0(VALU_DEP_1) | instid1(SALU_CYCLE_1)
	v_add3_u32 v5, s6, s4, v3
	global_store_b32 v4, v5, s[2:3] scale_offset
	s_wait_xcnt 0x0
	s_mov_b32 s2, exec_lo
	v_cmpx_gt_i32_e64 s11, v2
	s_cbranch_execz .LBB209_5
; %bb.3:
	s_clause 0x4
	s_load_b64 s[2:3], s[0:1], 0x20
	s_load_b64 s[4:5], s[0:1], 0x30
	s_load_b32 s14, s[0:1], 0x0
	s_load_b64 s[6:7], s[0:1], 0x10
	s_load_b64 s[8:9], s[0:1], 0x40
	v_dual_lshlrev_b32 v0, 1, v0 :: v_dual_lshlrev_b32 v4, 2, v2
	s_wait_xcnt 0x0
	s_mov_b32 s1, 0
	s_wait_kmcnt 0x0
	s_cmp_eq_u32 s14, 0
	s_cselect_b32 vcc_lo, -1, 0
	s_lshl_b32 s0, s10, 2
	s_delay_alu instid0(SALU_CYCLE_1) | instskip(SKIP_3) | instid1(VALU_DEP_3)
	v_add3_u32 v0, v3, s0, v0
	s_lshl_b32 s0, s13, 2
	v_lshl_or_b32 v3, v1, 1, v4
	v_or_b32_e32 v4, v4, v1
	v_subrev_nc_u32_e32 v0, s0, v0
.LBB209_4:                              ; =>This Inner Loop Header: Depth=1
	global_load_b32 v1, v2, s[2:3] scale_offset
	v_dual_add_nc_u32 v5, 1, v3 :: v_dual_add_nc_u32 v6, 2, v4
	v_cndmask_b32_e32 v10, v4, v3, vcc_lo
	s_wait_xcnt 0x0
	v_add_nc_u32_e32 v2, 0x80, v2
	v_add_nc_u32_e32 v3, 0x200, v3
	v_dual_cndmask_b32 v5, v6, v5 :: v_dual_add_nc_u32 v4, 0x200, v4
	s_clause 0x1
	global_load_b64 v[6:7], v10, s[6:7] scale_offset
	global_load_b64 v[8:9], v5, s[6:7] scale_offset
	v_cmp_le_i32_e64 s0, s11, v2
	s_or_b32 s1, s0, s1
	s_wait_loadcnt 0x2
	s_wait_xcnt 0x0
	v_subrev_nc_u32_e32 v5, s13, v1
	s_delay_alu instid0(VALU_DEP_1) | instskip(NEXT) | instid1(VALU_DEP_1)
	v_lshl_add_u32 v10, v5, 1, s12
	v_dual_ashrrev_i32 v1, 31, v0 :: v_dual_add_nc_u32 v11, 1, v10
	s_delay_alu instid0(VALU_DEP_1)
	v_lshl_add_u64 v[12:13], v[0:1], 2, s[8:9]
	v_lshl_add_u64 v[14:15], v[0:1], 3, s[4:5]
	v_add_nc_u32_e32 v0, 0x100, v0
	s_wait_loadcnt 0x0
	global_store_b128 v[14:15], v[6:9], off
	global_store_b64 v[12:13], v[10:11], off
	s_wait_xcnt 0x0
	s_and_not1_b32 exec_lo, exec_lo, s1
	s_cbranch_execnz .LBB209_4
.LBB209_5:
	s_endpgm
	.section	.rodata,"a",@progbits
	.p2align	6, 0x0
	.amdhsa_kernel _ZN9rocsparseL32bsr2csr_block_per_row_2_7_kernelILj256ELj2EdiiEEv20rocsparse_direction_T3_S2_21rocsparse_index_base_PKT1_PKT2_PKS2_S2_S3_PS4_PS7_PS2_
		.amdhsa_group_segment_fixed_size 0
		.amdhsa_private_segment_fixed_size 0
		.amdhsa_kernarg_size 72
		.amdhsa_user_sgpr_count 2
		.amdhsa_user_sgpr_dispatch_ptr 0
		.amdhsa_user_sgpr_queue_ptr 0
		.amdhsa_user_sgpr_kernarg_segment_ptr 1
		.amdhsa_user_sgpr_dispatch_id 0
		.amdhsa_user_sgpr_kernarg_preload_length 0
		.amdhsa_user_sgpr_kernarg_preload_offset 0
		.amdhsa_user_sgpr_private_segment_size 0
		.amdhsa_wavefront_size32 1
		.amdhsa_uses_dynamic_stack 0
		.amdhsa_enable_private_segment 0
		.amdhsa_system_sgpr_workgroup_id_x 1
		.amdhsa_system_sgpr_workgroup_id_y 0
		.amdhsa_system_sgpr_workgroup_id_z 0
		.amdhsa_system_sgpr_workgroup_info 0
		.amdhsa_system_vgpr_workitem_id 0
		.amdhsa_next_free_vgpr 16
		.amdhsa_next_free_sgpr 15
		.amdhsa_named_barrier_count 0
		.amdhsa_reserve_vcc 1
		.amdhsa_float_round_mode_32 0
		.amdhsa_float_round_mode_16_64 0
		.amdhsa_float_denorm_mode_32 3
		.amdhsa_float_denorm_mode_16_64 3
		.amdhsa_fp16_overflow 0
		.amdhsa_memory_ordered 1
		.amdhsa_forward_progress 1
		.amdhsa_inst_pref_size 5
		.amdhsa_round_robin_scheduling 0
		.amdhsa_exception_fp_ieee_invalid_op 0
		.amdhsa_exception_fp_denorm_src 0
		.amdhsa_exception_fp_ieee_div_zero 0
		.amdhsa_exception_fp_ieee_overflow 0
		.amdhsa_exception_fp_ieee_underflow 0
		.amdhsa_exception_fp_ieee_inexact 0
		.amdhsa_exception_int_div_zero 0
	.end_amdhsa_kernel
	.section	.text._ZN9rocsparseL32bsr2csr_block_per_row_2_7_kernelILj256ELj2EdiiEEv20rocsparse_direction_T3_S2_21rocsparse_index_base_PKT1_PKT2_PKS2_S2_S3_PS4_PS7_PS2_,"axG",@progbits,_ZN9rocsparseL32bsr2csr_block_per_row_2_7_kernelILj256ELj2EdiiEEv20rocsparse_direction_T3_S2_21rocsparse_index_base_PKT1_PKT2_PKS2_S2_S3_PS4_PS7_PS2_,comdat
.Lfunc_end209:
	.size	_ZN9rocsparseL32bsr2csr_block_per_row_2_7_kernelILj256ELj2EdiiEEv20rocsparse_direction_T3_S2_21rocsparse_index_base_PKT1_PKT2_PKS2_S2_S3_PS4_PS7_PS2_, .Lfunc_end209-_ZN9rocsparseL32bsr2csr_block_per_row_2_7_kernelILj256ELj2EdiiEEv20rocsparse_direction_T3_S2_21rocsparse_index_base_PKT1_PKT2_PKS2_S2_S3_PS4_PS7_PS2_
                                        ; -- End function
	.set _ZN9rocsparseL32bsr2csr_block_per_row_2_7_kernelILj256ELj2EdiiEEv20rocsparse_direction_T3_S2_21rocsparse_index_base_PKT1_PKT2_PKS2_S2_S3_PS4_PS7_PS2_.num_vgpr, 16
	.set _ZN9rocsparseL32bsr2csr_block_per_row_2_7_kernelILj256ELj2EdiiEEv20rocsparse_direction_T3_S2_21rocsparse_index_base_PKT1_PKT2_PKS2_S2_S3_PS4_PS7_PS2_.num_agpr, 0
	.set _ZN9rocsparseL32bsr2csr_block_per_row_2_7_kernelILj256ELj2EdiiEEv20rocsparse_direction_T3_S2_21rocsparse_index_base_PKT1_PKT2_PKS2_S2_S3_PS4_PS7_PS2_.numbered_sgpr, 15
	.set _ZN9rocsparseL32bsr2csr_block_per_row_2_7_kernelILj256ELj2EdiiEEv20rocsparse_direction_T3_S2_21rocsparse_index_base_PKT1_PKT2_PKS2_S2_S3_PS4_PS7_PS2_.num_named_barrier, 0
	.set _ZN9rocsparseL32bsr2csr_block_per_row_2_7_kernelILj256ELj2EdiiEEv20rocsparse_direction_T3_S2_21rocsparse_index_base_PKT1_PKT2_PKS2_S2_S3_PS4_PS7_PS2_.private_seg_size, 0
	.set _ZN9rocsparseL32bsr2csr_block_per_row_2_7_kernelILj256ELj2EdiiEEv20rocsparse_direction_T3_S2_21rocsparse_index_base_PKT1_PKT2_PKS2_S2_S3_PS4_PS7_PS2_.uses_vcc, 1
	.set _ZN9rocsparseL32bsr2csr_block_per_row_2_7_kernelILj256ELj2EdiiEEv20rocsparse_direction_T3_S2_21rocsparse_index_base_PKT1_PKT2_PKS2_S2_S3_PS4_PS7_PS2_.uses_flat_scratch, 0
	.set _ZN9rocsparseL32bsr2csr_block_per_row_2_7_kernelILj256ELj2EdiiEEv20rocsparse_direction_T3_S2_21rocsparse_index_base_PKT1_PKT2_PKS2_S2_S3_PS4_PS7_PS2_.has_dyn_sized_stack, 0
	.set _ZN9rocsparseL32bsr2csr_block_per_row_2_7_kernelILj256ELj2EdiiEEv20rocsparse_direction_T3_S2_21rocsparse_index_base_PKT1_PKT2_PKS2_S2_S3_PS4_PS7_PS2_.has_recursion, 0
	.set _ZN9rocsparseL32bsr2csr_block_per_row_2_7_kernelILj256ELj2EdiiEEv20rocsparse_direction_T3_S2_21rocsparse_index_base_PKT1_PKT2_PKS2_S2_S3_PS4_PS7_PS2_.has_indirect_call, 0
	.section	.AMDGPU.csdata,"",@progbits
; Kernel info:
; codeLenInByte = 580
; TotalNumSgprs: 17
; NumVgprs: 16
; ScratchSize: 0
; MemoryBound: 0
; FloatMode: 240
; IeeeMode: 1
; LDSByteSize: 0 bytes/workgroup (compile time only)
; SGPRBlocks: 0
; VGPRBlocks: 0
; NumSGPRsForWavesPerEU: 17
; NumVGPRsForWavesPerEU: 16
; NamedBarCnt: 0
; Occupancy: 16
; WaveLimiterHint : 0
; COMPUTE_PGM_RSRC2:SCRATCH_EN: 0
; COMPUTE_PGM_RSRC2:USER_SGPR: 2
; COMPUTE_PGM_RSRC2:TRAP_HANDLER: 0
; COMPUTE_PGM_RSRC2:TGID_X_EN: 1
; COMPUTE_PGM_RSRC2:TGID_Y_EN: 0
; COMPUTE_PGM_RSRC2:TGID_Z_EN: 0
; COMPUTE_PGM_RSRC2:TIDIG_COMP_CNT: 0
	.section	.text._ZN9rocsparseL32bsr2csr_block_per_row_2_7_kernelILj256ELj3EdiiEEv20rocsparse_direction_T3_S2_21rocsparse_index_base_PKT1_PKT2_PKS2_S2_S3_PS4_PS7_PS2_,"axG",@progbits,_ZN9rocsparseL32bsr2csr_block_per_row_2_7_kernelILj256ELj3EdiiEEv20rocsparse_direction_T3_S2_21rocsparse_index_base_PKT1_PKT2_PKS2_S2_S3_PS4_PS7_PS2_,comdat
	.globl	_ZN9rocsparseL32bsr2csr_block_per_row_2_7_kernelILj256ELj3EdiiEEv20rocsparse_direction_T3_S2_21rocsparse_index_base_PKT1_PKT2_PKS2_S2_S3_PS4_PS7_PS2_ ; -- Begin function _ZN9rocsparseL32bsr2csr_block_per_row_2_7_kernelILj256ELj3EdiiEEv20rocsparse_direction_T3_S2_21rocsparse_index_base_PKT1_PKT2_PKS2_S2_S3_PS4_PS7_PS2_
	.p2align	8
	.type	_ZN9rocsparseL32bsr2csr_block_per_row_2_7_kernelILj256ELj3EdiiEEv20rocsparse_direction_T3_S2_21rocsparse_index_base_PKT1_PKT2_PKS2_S2_S3_PS4_PS7_PS2_,@function
_ZN9rocsparseL32bsr2csr_block_per_row_2_7_kernelILj256ELj3EdiiEEv20rocsparse_direction_T3_S2_21rocsparse_index_base_PKT1_PKT2_PKS2_S2_S3_PS4_PS7_PS2_: ; @_ZN9rocsparseL32bsr2csr_block_per_row_2_7_kernelILj256ELj3EdiiEEv20rocsparse_direction_T3_S2_21rocsparse_index_base_PKT1_PKT2_PKS2_S2_S3_PS4_PS7_PS2_
; %bb.0:
	s_clause 0x1
	s_load_b32 s12, s[0:1], 0x2c
	s_load_b64 s[2:3], s[0:1], 0x38
	s_bfe_u32 s4, ttmp6, 0x4000c
	s_and_b32 s5, ttmp6, 15
	s_add_co_i32 s4, s4, 1
	s_getreg_b32 s6, hwreg(HW_REG_IB_STS2, 6, 4)
	s_mul_i32 s4, ttmp9, s4
	s_delay_alu instid0(SALU_CYCLE_1) | instskip(SKIP_4) | instid1(VALU_DEP_1)
	s_add_co_i32 s5, s5, s4
	s_cmp_eq_u32 s6, 0
	s_cselect_b32 s4, ttmp9, s5
	s_mov_b32 s5, exec_lo
	v_or_b32_e32 v1, s4, v0
	v_cmpx_eq_u32_e32 0, v1
	s_cbranch_execz .LBB210_2
; %bb.1:
	s_wait_kmcnt 0x0
	v_dual_mov_b32 v1, 0 :: v_dual_mov_b32 v2, s12
	global_store_b32 v1, v2, s[2:3]
.LBB210_2:
	s_wait_xcnt 0x0
	s_or_b32 exec_lo, exec_lo, s5
	v_and_b32_e32 v1, 3, v0
	s_mov_b32 s5, exec_lo
	s_delay_alu instid0(VALU_DEP_1)
	v_cmpx_ne_u32_e32 3, v1
	s_cbranch_execz .LBB210_6
; %bb.3:
	s_clause 0x1
	s_load_b64 s[6:7], s[0:1], 0x18
	s_load_b32 s13, s[0:1], 0xc
	s_ashr_i32 s5, s4, 31
	v_lshrrev_b32_e32 v0, 2, v0
	s_lshl_b64 s[8:9], s[4:5], 2
	s_mul_i32 s4, s4, 3
	s_delay_alu instid0(SALU_CYCLE_1)
	v_add3_u32 v5, v1, s4, 1
	s_wait_kmcnt 0x0
	s_add_nc_u64 s[6:7], s[6:7], s[8:9]
	s_load_b64 s[10:11], s[6:7], 0x0
	s_wait_kmcnt 0x0
	s_sub_co_i32 s5, s10, s13
	s_sub_co_i32 s11, s11, s13
	v_add_nc_u32_e32 v2, s5, v0
	s_sub_co_i32 s6, s11, s5
	s_mul_i32 s7, s5, 9
	s_mul_i32 s6, s6, 3
	s_delay_alu instid0(SALU_CYCLE_1) | instskip(SKIP_2) | instid1(VALU_DEP_2)
	v_mul_lo_u32 v3, s6, v1
	s_add_co_i32 s6, s6, s12
	v_cmp_gt_i32_e32 vcc_lo, s11, v2
	v_add3_u32 v4, s6, s7, v3
	global_store_b32 v5, v4, s[2:3] scale_offset
	s_wait_xcnt 0x0
	s_and_b32 exec_lo, exec_lo, vcc_lo
	s_cbranch_execz .LBB210_6
; %bb.4:
	s_clause 0x2
	s_load_b64 s[2:3], s[0:1], 0x20
	s_load_b64 s[4:5], s[0:1], 0x30
	s_load_b32 s14, s[0:1], 0x0
	v_add_nc_u32_e32 v4, s10, v0
	v_mul_u32_u24_e32 v5, 3, v1
	s_clause 0x1
	s_load_b64 s[6:7], s[0:1], 0x10
	s_load_b64 s[8:9], s[0:1], 0x40
	v_mul_u32_u24_e32 v0, 3, v0
	s_wait_xcnt 0x0
	s_mul_i32 s0, s10, 9
	s_mov_b32 s1, 0
	v_mad_u32 v4, v4, 9, v5
	s_mov_b32 s10, 0
	v_add3_u32 v0, v3, s0, v0
	v_mad_u32 v3, v2, 9, v1
	s_mul_i32 s0, s13, 9
	s_delay_alu instid0(VALU_DEP_2) | instid1(SALU_CYCLE_1)
	v_subrev_nc_u32_e32 v0, s0, v0
	s_delay_alu instid0(VALU_DEP_4)
	v_subrev_nc_u32_e32 v4, s0, v4
	s_wait_kmcnt 0x0
	s_cmp_eq_u32 s14, 0
	s_cselect_b32 vcc_lo, -1, 0
.LBB210_5:                              ; =>This Inner Loop Header: Depth=1
	global_load_b32 v1, v2, s[2:3] scale_offset
	v_dual_add_nc_u32 v5, s10, v4 :: v_dual_add_nc_u32 v6, s10, v3
	s_addk_co_i32 s10, 0x240
	s_wait_xcnt 0x0
	s_delay_alu instid0(VALU_DEP_1) | instskip(NEXT) | instid1(VALU_DEP_2)
	v_dual_add_nc_u32 v2, 64, v2 :: v_dual_add_nc_u32 v7, 2, v5
	v_dual_add_nc_u32 v8, 6, v6 :: v_dual_add_nc_u32 v9, 1, v5
	v_dual_cndmask_b32 v5, v6, v5 :: v_dual_add_nc_u32 v10, 3, v6
	s_delay_alu instid0(VALU_DEP_3) | instskip(NEXT) | instid1(VALU_DEP_2)
	v_cmp_le_i32_e64 s0, s11, v2
	v_dual_cndmask_b32 v11, v8, v7 :: v_dual_cndmask_b32 v10, v10, v9
	s_clause 0x2
	global_load_b64 v[6:7], v5, s[6:7] scale_offset
	global_load_b64 v[12:13], v11, s[6:7] scale_offset
	global_load_b64 v[8:9], v10, s[6:7] scale_offset
	s_or_b32 s1, s0, s1
	s_wait_loadcnt 0x3
	v_subrev_nc_u32_e32 v1, s13, v1
	s_wait_xcnt 0x0
	s_delay_alu instid0(VALU_DEP_1) | instskip(NEXT) | instid1(VALU_DEP_1)
	v_mad_u32 v10, v1, 3, s12
	v_dual_ashrrev_i32 v1, 31, v0 :: v_dual_add_nc_u32 v11, 1, v10
	s_delay_alu instid0(VALU_DEP_1)
	v_lshl_add_u64 v[14:15], v[0:1], 2, s[8:9]
	v_lshl_add_u64 v[16:17], v[0:1], 3, s[4:5]
	s_wait_loadcnt 0x1
	global_store_b64 v0, v[12:13], s[4:5] offset:16 scale_offset
	s_wait_xcnt 0x0
	v_add_nc_u32_e32 v0, 0xc0, v0
	v_add_nc_u32_e32 v12, 2, v10
	s_wait_loadcnt 0x0
	global_store_b128 v[16:17], v[6:9], off
	global_store_b96 v[14:15], v[10:12], off
	s_wait_xcnt 0x0
	s_and_not1_b32 exec_lo, exec_lo, s1
	s_cbranch_execnz .LBB210_5
.LBB210_6:
	s_endpgm
	.section	.rodata,"a",@progbits
	.p2align	6, 0x0
	.amdhsa_kernel _ZN9rocsparseL32bsr2csr_block_per_row_2_7_kernelILj256ELj3EdiiEEv20rocsparse_direction_T3_S2_21rocsparse_index_base_PKT1_PKT2_PKS2_S2_S3_PS4_PS7_PS2_
		.amdhsa_group_segment_fixed_size 0
		.amdhsa_private_segment_fixed_size 0
		.amdhsa_kernarg_size 72
		.amdhsa_user_sgpr_count 2
		.amdhsa_user_sgpr_dispatch_ptr 0
		.amdhsa_user_sgpr_queue_ptr 0
		.amdhsa_user_sgpr_kernarg_segment_ptr 1
		.amdhsa_user_sgpr_dispatch_id 0
		.amdhsa_user_sgpr_kernarg_preload_length 0
		.amdhsa_user_sgpr_kernarg_preload_offset 0
		.amdhsa_user_sgpr_private_segment_size 0
		.amdhsa_wavefront_size32 1
		.amdhsa_uses_dynamic_stack 0
		.amdhsa_enable_private_segment 0
		.amdhsa_system_sgpr_workgroup_id_x 1
		.amdhsa_system_sgpr_workgroup_id_y 0
		.amdhsa_system_sgpr_workgroup_id_z 0
		.amdhsa_system_sgpr_workgroup_info 0
		.amdhsa_system_vgpr_workitem_id 0
		.amdhsa_next_free_vgpr 18
		.amdhsa_next_free_sgpr 15
		.amdhsa_named_barrier_count 0
		.amdhsa_reserve_vcc 1
		.amdhsa_float_round_mode_32 0
		.amdhsa_float_round_mode_16_64 0
		.amdhsa_float_denorm_mode_32 3
		.amdhsa_float_denorm_mode_16_64 3
		.amdhsa_fp16_overflow 0
		.amdhsa_memory_ordered 1
		.amdhsa_forward_progress 1
		.amdhsa_inst_pref_size 6
		.amdhsa_round_robin_scheduling 0
		.amdhsa_exception_fp_ieee_invalid_op 0
		.amdhsa_exception_fp_denorm_src 0
		.amdhsa_exception_fp_ieee_div_zero 0
		.amdhsa_exception_fp_ieee_overflow 0
		.amdhsa_exception_fp_ieee_underflow 0
		.amdhsa_exception_fp_ieee_inexact 0
		.amdhsa_exception_int_div_zero 0
	.end_amdhsa_kernel
	.section	.text._ZN9rocsparseL32bsr2csr_block_per_row_2_7_kernelILj256ELj3EdiiEEv20rocsparse_direction_T3_S2_21rocsparse_index_base_PKT1_PKT2_PKS2_S2_S3_PS4_PS7_PS2_,"axG",@progbits,_ZN9rocsparseL32bsr2csr_block_per_row_2_7_kernelILj256ELj3EdiiEEv20rocsparse_direction_T3_S2_21rocsparse_index_base_PKT1_PKT2_PKS2_S2_S3_PS4_PS7_PS2_,comdat
.Lfunc_end210:
	.size	_ZN9rocsparseL32bsr2csr_block_per_row_2_7_kernelILj256ELj3EdiiEEv20rocsparse_direction_T3_S2_21rocsparse_index_base_PKT1_PKT2_PKS2_S2_S3_PS4_PS7_PS2_, .Lfunc_end210-_ZN9rocsparseL32bsr2csr_block_per_row_2_7_kernelILj256ELj3EdiiEEv20rocsparse_direction_T3_S2_21rocsparse_index_base_PKT1_PKT2_PKS2_S2_S3_PS4_PS7_PS2_
                                        ; -- End function
	.set _ZN9rocsparseL32bsr2csr_block_per_row_2_7_kernelILj256ELj3EdiiEEv20rocsparse_direction_T3_S2_21rocsparse_index_base_PKT1_PKT2_PKS2_S2_S3_PS4_PS7_PS2_.num_vgpr, 18
	.set _ZN9rocsparseL32bsr2csr_block_per_row_2_7_kernelILj256ELj3EdiiEEv20rocsparse_direction_T3_S2_21rocsparse_index_base_PKT1_PKT2_PKS2_S2_S3_PS4_PS7_PS2_.num_agpr, 0
	.set _ZN9rocsparseL32bsr2csr_block_per_row_2_7_kernelILj256ELj3EdiiEEv20rocsparse_direction_T3_S2_21rocsparse_index_base_PKT1_PKT2_PKS2_S2_S3_PS4_PS7_PS2_.numbered_sgpr, 15
	.set _ZN9rocsparseL32bsr2csr_block_per_row_2_7_kernelILj256ELj3EdiiEEv20rocsparse_direction_T3_S2_21rocsparse_index_base_PKT1_PKT2_PKS2_S2_S3_PS4_PS7_PS2_.num_named_barrier, 0
	.set _ZN9rocsparseL32bsr2csr_block_per_row_2_7_kernelILj256ELj3EdiiEEv20rocsparse_direction_T3_S2_21rocsparse_index_base_PKT1_PKT2_PKS2_S2_S3_PS4_PS7_PS2_.private_seg_size, 0
	.set _ZN9rocsparseL32bsr2csr_block_per_row_2_7_kernelILj256ELj3EdiiEEv20rocsparse_direction_T3_S2_21rocsparse_index_base_PKT1_PKT2_PKS2_S2_S3_PS4_PS7_PS2_.uses_vcc, 1
	.set _ZN9rocsparseL32bsr2csr_block_per_row_2_7_kernelILj256ELj3EdiiEEv20rocsparse_direction_T3_S2_21rocsparse_index_base_PKT1_PKT2_PKS2_S2_S3_PS4_PS7_PS2_.uses_flat_scratch, 0
	.set _ZN9rocsparseL32bsr2csr_block_per_row_2_7_kernelILj256ELj3EdiiEEv20rocsparse_direction_T3_S2_21rocsparse_index_base_PKT1_PKT2_PKS2_S2_S3_PS4_PS7_PS2_.has_dyn_sized_stack, 0
	.set _ZN9rocsparseL32bsr2csr_block_per_row_2_7_kernelILj256ELj3EdiiEEv20rocsparse_direction_T3_S2_21rocsparse_index_base_PKT1_PKT2_PKS2_S2_S3_PS4_PS7_PS2_.has_recursion, 0
	.set _ZN9rocsparseL32bsr2csr_block_per_row_2_7_kernelILj256ELj3EdiiEEv20rocsparse_direction_T3_S2_21rocsparse_index_base_PKT1_PKT2_PKS2_S2_S3_PS4_PS7_PS2_.has_indirect_call, 0
	.section	.AMDGPU.csdata,"",@progbits
; Kernel info:
; codeLenInByte = 668
; TotalNumSgprs: 17
; NumVgprs: 18
; ScratchSize: 0
; MemoryBound: 0
; FloatMode: 240
; IeeeMode: 1
; LDSByteSize: 0 bytes/workgroup (compile time only)
; SGPRBlocks: 0
; VGPRBlocks: 1
; NumSGPRsForWavesPerEU: 17
; NumVGPRsForWavesPerEU: 18
; NamedBarCnt: 0
; Occupancy: 16
; WaveLimiterHint : 1
; COMPUTE_PGM_RSRC2:SCRATCH_EN: 0
; COMPUTE_PGM_RSRC2:USER_SGPR: 2
; COMPUTE_PGM_RSRC2:TRAP_HANDLER: 0
; COMPUTE_PGM_RSRC2:TGID_X_EN: 1
; COMPUTE_PGM_RSRC2:TGID_Y_EN: 0
; COMPUTE_PGM_RSRC2:TGID_Z_EN: 0
; COMPUTE_PGM_RSRC2:TIDIG_COMP_CNT: 0
	.section	.text._ZN9rocsparseL32bsr2csr_block_per_row_2_7_kernelILj256ELj4EdiiEEv20rocsparse_direction_T3_S2_21rocsparse_index_base_PKT1_PKT2_PKS2_S2_S3_PS4_PS7_PS2_,"axG",@progbits,_ZN9rocsparseL32bsr2csr_block_per_row_2_7_kernelILj256ELj4EdiiEEv20rocsparse_direction_T3_S2_21rocsparse_index_base_PKT1_PKT2_PKS2_S2_S3_PS4_PS7_PS2_,comdat
	.globl	_ZN9rocsparseL32bsr2csr_block_per_row_2_7_kernelILj256ELj4EdiiEEv20rocsparse_direction_T3_S2_21rocsparse_index_base_PKT1_PKT2_PKS2_S2_S3_PS4_PS7_PS2_ ; -- Begin function _ZN9rocsparseL32bsr2csr_block_per_row_2_7_kernelILj256ELj4EdiiEEv20rocsparse_direction_T3_S2_21rocsparse_index_base_PKT1_PKT2_PKS2_S2_S3_PS4_PS7_PS2_
	.p2align	8
	.type	_ZN9rocsparseL32bsr2csr_block_per_row_2_7_kernelILj256ELj4EdiiEEv20rocsparse_direction_T3_S2_21rocsparse_index_base_PKT1_PKT2_PKS2_S2_S3_PS4_PS7_PS2_,@function
_ZN9rocsparseL32bsr2csr_block_per_row_2_7_kernelILj256ELj4EdiiEEv20rocsparse_direction_T3_S2_21rocsparse_index_base_PKT1_PKT2_PKS2_S2_S3_PS4_PS7_PS2_: ; @_ZN9rocsparseL32bsr2csr_block_per_row_2_7_kernelILj256ELj4EdiiEEv20rocsparse_direction_T3_S2_21rocsparse_index_base_PKT1_PKT2_PKS2_S2_S3_PS4_PS7_PS2_
; %bb.0:
	s_load_b64 s[6:7], s[0:1], 0x18
	s_bfe_u32 s2, ttmp6, 0x4000c
	s_and_b32 s3, ttmp6, 15
	s_add_co_i32 s2, s2, 1
	s_getreg_b32 s4, hwreg(HW_REG_IB_STS2, 6, 4)
	s_mul_i32 s2, ttmp9, s2
	s_delay_alu instid0(SALU_CYCLE_1)
	s_add_co_i32 s3, s3, s2
	s_cmp_eq_u32 s4, 0
	s_cselect_b32 s4, ttmp9, s3
	s_clause 0x1
	s_load_b32 s12, s[0:1], 0x2c
	s_load_b64 s[2:3], s[0:1], 0x38
	s_ashr_i32 s5, s4, 31
	v_or_b32_e32 v1, s4, v0
	s_lshl_b64 s[8:9], s[4:5], 2
	s_mov_b32 s5, exec_lo
	s_wait_kmcnt 0x0
	s_add_nc_u64 s[6:7], s[6:7], s[8:9]
	s_load_b64 s[10:11], s[6:7], 0x0
	v_cmpx_eq_u32_e32 0, v1
	s_cbranch_execz .LBB211_2
; %bb.1:
	v_dual_mov_b32 v1, 0 :: v_dual_mov_b32 v2, s12
	global_store_b32 v1, v2, s[2:3]
.LBB211_2:
	s_wait_xcnt 0x0
	s_or_b32 exec_lo, exec_lo, s5
	s_load_b32 s13, s[0:1], 0xc
	v_dual_lshrrev_b32 v0, 2, v0 :: v_dual_bitop2_b32 v2, 3, v0 bitop3:0x40
	s_delay_alu instid0(VALU_DEP_1) | instskip(NEXT) | instid1(VALU_DEP_1)
	v_lshl_or_b32 v4, s4, 2, v2
	v_add_nc_u32_e32 v4, 1, v4
	s_wait_kmcnt 0x0
	s_sub_co_i32 s5, s10, s13
	s_sub_co_i32 s11, s11, s13
	s_lshl_b32 s4, s5, 4
	s_sub_co_i32 s6, s11, s5
	v_add_nc_u32_e32 v3, s5, v0
	s_lshl_b32 s6, s6, 2
	s_delay_alu instid0(SALU_CYCLE_1)
	v_mul_lo_u32 v1, s6, v2
	s_add_co_i32 s6, s6, s12
	s_delay_alu instid0(VALU_DEP_1) | instid1(SALU_CYCLE_1)
	v_add3_u32 v5, s6, s4, v1
	global_store_b32 v4, v5, s[2:3] scale_offset
	s_wait_xcnt 0x0
	s_mov_b32 s2, exec_lo
	v_cmpx_gt_i32_e64 s11, v3
	s_cbranch_execz .LBB211_5
; %bb.3:
	s_clause 0x4
	s_load_b64 s[2:3], s[0:1], 0x20
	s_load_b64 s[4:5], s[0:1], 0x30
	s_load_b32 s14, s[0:1], 0x0
	s_load_b64 s[6:7], s[0:1], 0x10
	s_load_b64 s[8:9], s[0:1], 0x40
	v_dual_lshlrev_b32 v0, 2, v0 :: v_dual_lshlrev_b32 v4, 2, v2
	v_lshlrev_b32_e32 v5, 4, v3
	s_wait_xcnt 0x0
	s_mov_b32 s1, 0
	s_wait_kmcnt 0x0
	s_cmp_eq_u32 s14, 0
	s_cselect_b32 vcc_lo, -1, 0
	s_lshl_b32 s0, s10, 4
	s_delay_alu instid0(SALU_CYCLE_1)
	v_add3_u32 v0, v1, s0, v0
	s_lshl_b32 s0, s13, 4
	s_delay_alu instid0(VALU_DEP_1) | instid1(SALU_CYCLE_1)
	v_subrev_nc_u32_e32 v0, s0, v0
.LBB211_4:                              ; =>This Inner Loop Header: Depth=1
	global_load_b32 v14, v3, s[2:3] scale_offset
	v_dual_add_nc_u32 v1, v4, v5 :: v_dual_add_nc_u32 v6, v2, v5
	v_add_nc_u32_e32 v5, 0x400, v5
	s_wait_xcnt 0x0
	s_delay_alu instid0(VALU_DEP_2) | instskip(NEXT) | instid1(VALU_DEP_3)
	v_dual_add_nc_u32 v3, 64, v3 :: v_dual_add_nc_u32 v7, 1, v1
	v_dual_add_nc_u32 v8, 4, v6 :: v_dual_add_nc_u32 v9, 2, v1
	;; [unrolled: 1-line block ×3, first 2 shown]
	v_dual_cndmask_b32 v1, v6, v1 :: v_dual_add_nc_u32 v12, 12, v6
	s_delay_alu instid0(VALU_DEP_2) | instskip(SKIP_1) | instid1(VALU_DEP_3)
	v_dual_cndmask_b32 v15, v8, v7 :: v_dual_cndmask_b32 v16, v10, v9
	v_cmp_le_i32_e64 s0, s11, v3
	v_cndmask_b32_e32 v17, v12, v11, vcc_lo
	s_clause 0x3
	global_load_b64 v[6:7], v1, s[6:7] scale_offset
	global_load_b64 v[8:9], v15, s[6:7] scale_offset
	;; [unrolled: 1-line block ×4, first 2 shown]
	s_wait_xcnt 0x3
	v_ashrrev_i32_e32 v1, 31, v0
	s_or_b32 s1, s0, s1
	s_delay_alu instid0(VALU_DEP_1) | instskip(SKIP_4) | instid1(VALU_DEP_1)
	v_lshl_add_u64 v[18:19], v[0:1], 2, s[8:9]
	v_lshl_add_u64 v[20:21], v[0:1], 3, s[4:5]
	v_add_nc_u32_e32 v0, 0x100, v0
	s_wait_loadcnt 0x4
	v_subrev_nc_u32_e32 v1, s13, v14
	v_lshl_add_u32 v14, v1, 2, s12
	s_wait_xcnt 0x1
	s_delay_alu instid0(VALU_DEP_1)
	v_dual_add_nc_u32 v15, 1, v14 :: v_dual_add_nc_u32 v16, 2, v14
	s_wait_xcnt 0x0
	v_add_nc_u32_e32 v17, 3, v14
	global_store_b128 v[18:19], v[14:17], off
	s_wait_loadcnt 0x2
	global_store_b128 v[20:21], v[6:9], off
	s_wait_loadcnt 0x0
	global_store_b128 v[20:21], v[10:13], off offset:16
	s_wait_xcnt 0x0
	s_and_not1_b32 exec_lo, exec_lo, s1
	s_cbranch_execnz .LBB211_4
.LBB211_5:
	s_endpgm
	.section	.rodata,"a",@progbits
	.p2align	6, 0x0
	.amdhsa_kernel _ZN9rocsparseL32bsr2csr_block_per_row_2_7_kernelILj256ELj4EdiiEEv20rocsparse_direction_T3_S2_21rocsparse_index_base_PKT1_PKT2_PKS2_S2_S3_PS4_PS7_PS2_
		.amdhsa_group_segment_fixed_size 0
		.amdhsa_private_segment_fixed_size 0
		.amdhsa_kernarg_size 72
		.amdhsa_user_sgpr_count 2
		.amdhsa_user_sgpr_dispatch_ptr 0
		.amdhsa_user_sgpr_queue_ptr 0
		.amdhsa_user_sgpr_kernarg_segment_ptr 1
		.amdhsa_user_sgpr_dispatch_id 0
		.amdhsa_user_sgpr_kernarg_preload_length 0
		.amdhsa_user_sgpr_kernarg_preload_offset 0
		.amdhsa_user_sgpr_private_segment_size 0
		.amdhsa_wavefront_size32 1
		.amdhsa_uses_dynamic_stack 0
		.amdhsa_enable_private_segment 0
		.amdhsa_system_sgpr_workgroup_id_x 1
		.amdhsa_system_sgpr_workgroup_id_y 0
		.amdhsa_system_sgpr_workgroup_id_z 0
		.amdhsa_system_sgpr_workgroup_info 0
		.amdhsa_system_vgpr_workitem_id 0
		.amdhsa_next_free_vgpr 22
		.amdhsa_next_free_sgpr 15
		.amdhsa_named_barrier_count 0
		.amdhsa_reserve_vcc 1
		.amdhsa_float_round_mode_32 0
		.amdhsa_float_round_mode_16_64 0
		.amdhsa_float_denorm_mode_32 3
		.amdhsa_float_denorm_mode_16_64 3
		.amdhsa_fp16_overflow 0
		.amdhsa_memory_ordered 1
		.amdhsa_forward_progress 1
		.amdhsa_inst_pref_size 6
		.amdhsa_round_robin_scheduling 0
		.amdhsa_exception_fp_ieee_invalid_op 0
		.amdhsa_exception_fp_denorm_src 0
		.amdhsa_exception_fp_ieee_div_zero 0
		.amdhsa_exception_fp_ieee_overflow 0
		.amdhsa_exception_fp_ieee_underflow 0
		.amdhsa_exception_fp_ieee_inexact 0
		.amdhsa_exception_int_div_zero 0
	.end_amdhsa_kernel
	.section	.text._ZN9rocsparseL32bsr2csr_block_per_row_2_7_kernelILj256ELj4EdiiEEv20rocsparse_direction_T3_S2_21rocsparse_index_base_PKT1_PKT2_PKS2_S2_S3_PS4_PS7_PS2_,"axG",@progbits,_ZN9rocsparseL32bsr2csr_block_per_row_2_7_kernelILj256ELj4EdiiEEv20rocsparse_direction_T3_S2_21rocsparse_index_base_PKT1_PKT2_PKS2_S2_S3_PS4_PS7_PS2_,comdat
.Lfunc_end211:
	.size	_ZN9rocsparseL32bsr2csr_block_per_row_2_7_kernelILj256ELj4EdiiEEv20rocsparse_direction_T3_S2_21rocsparse_index_base_PKT1_PKT2_PKS2_S2_S3_PS4_PS7_PS2_, .Lfunc_end211-_ZN9rocsparseL32bsr2csr_block_per_row_2_7_kernelILj256ELj4EdiiEEv20rocsparse_direction_T3_S2_21rocsparse_index_base_PKT1_PKT2_PKS2_S2_S3_PS4_PS7_PS2_
                                        ; -- End function
	.set _ZN9rocsparseL32bsr2csr_block_per_row_2_7_kernelILj256ELj4EdiiEEv20rocsparse_direction_T3_S2_21rocsparse_index_base_PKT1_PKT2_PKS2_S2_S3_PS4_PS7_PS2_.num_vgpr, 22
	.set _ZN9rocsparseL32bsr2csr_block_per_row_2_7_kernelILj256ELj4EdiiEEv20rocsparse_direction_T3_S2_21rocsparse_index_base_PKT1_PKT2_PKS2_S2_S3_PS4_PS7_PS2_.num_agpr, 0
	.set _ZN9rocsparseL32bsr2csr_block_per_row_2_7_kernelILj256ELj4EdiiEEv20rocsparse_direction_T3_S2_21rocsparse_index_base_PKT1_PKT2_PKS2_S2_S3_PS4_PS7_PS2_.numbered_sgpr, 15
	.set _ZN9rocsparseL32bsr2csr_block_per_row_2_7_kernelILj256ELj4EdiiEEv20rocsparse_direction_T3_S2_21rocsparse_index_base_PKT1_PKT2_PKS2_S2_S3_PS4_PS7_PS2_.num_named_barrier, 0
	.set _ZN9rocsparseL32bsr2csr_block_per_row_2_7_kernelILj256ELj4EdiiEEv20rocsparse_direction_T3_S2_21rocsparse_index_base_PKT1_PKT2_PKS2_S2_S3_PS4_PS7_PS2_.private_seg_size, 0
	.set _ZN9rocsparseL32bsr2csr_block_per_row_2_7_kernelILj256ELj4EdiiEEv20rocsparse_direction_T3_S2_21rocsparse_index_base_PKT1_PKT2_PKS2_S2_S3_PS4_PS7_PS2_.uses_vcc, 1
	.set _ZN9rocsparseL32bsr2csr_block_per_row_2_7_kernelILj256ELj4EdiiEEv20rocsparse_direction_T3_S2_21rocsparse_index_base_PKT1_PKT2_PKS2_S2_S3_PS4_PS7_PS2_.uses_flat_scratch, 0
	.set _ZN9rocsparseL32bsr2csr_block_per_row_2_7_kernelILj256ELj4EdiiEEv20rocsparse_direction_T3_S2_21rocsparse_index_base_PKT1_PKT2_PKS2_S2_S3_PS4_PS7_PS2_.has_dyn_sized_stack, 0
	.set _ZN9rocsparseL32bsr2csr_block_per_row_2_7_kernelILj256ELj4EdiiEEv20rocsparse_direction_T3_S2_21rocsparse_index_base_PKT1_PKT2_PKS2_S2_S3_PS4_PS7_PS2_.has_recursion, 0
	.set _ZN9rocsparseL32bsr2csr_block_per_row_2_7_kernelILj256ELj4EdiiEEv20rocsparse_direction_T3_S2_21rocsparse_index_base_PKT1_PKT2_PKS2_S2_S3_PS4_PS7_PS2_.has_indirect_call, 0
	.section	.AMDGPU.csdata,"",@progbits
; Kernel info:
; codeLenInByte = 672
; TotalNumSgprs: 17
; NumVgprs: 22
; ScratchSize: 0
; MemoryBound: 0
; FloatMode: 240
; IeeeMode: 1
; LDSByteSize: 0 bytes/workgroup (compile time only)
; SGPRBlocks: 0
; VGPRBlocks: 1
; NumSGPRsForWavesPerEU: 17
; NumVGPRsForWavesPerEU: 22
; NamedBarCnt: 0
; Occupancy: 16
; WaveLimiterHint : 0
; COMPUTE_PGM_RSRC2:SCRATCH_EN: 0
; COMPUTE_PGM_RSRC2:USER_SGPR: 2
; COMPUTE_PGM_RSRC2:TRAP_HANDLER: 0
; COMPUTE_PGM_RSRC2:TGID_X_EN: 1
; COMPUTE_PGM_RSRC2:TGID_Y_EN: 0
; COMPUTE_PGM_RSRC2:TGID_Z_EN: 0
; COMPUTE_PGM_RSRC2:TIDIG_COMP_CNT: 0
	.section	.text._ZN9rocsparseL32bsr2csr_block_per_row_2_7_kernelILj256ELj5EdiiEEv20rocsparse_direction_T3_S2_21rocsparse_index_base_PKT1_PKT2_PKS2_S2_S3_PS4_PS7_PS2_,"axG",@progbits,_ZN9rocsparseL32bsr2csr_block_per_row_2_7_kernelILj256ELj5EdiiEEv20rocsparse_direction_T3_S2_21rocsparse_index_base_PKT1_PKT2_PKS2_S2_S3_PS4_PS7_PS2_,comdat
	.globl	_ZN9rocsparseL32bsr2csr_block_per_row_2_7_kernelILj256ELj5EdiiEEv20rocsparse_direction_T3_S2_21rocsparse_index_base_PKT1_PKT2_PKS2_S2_S3_PS4_PS7_PS2_ ; -- Begin function _ZN9rocsparseL32bsr2csr_block_per_row_2_7_kernelILj256ELj5EdiiEEv20rocsparse_direction_T3_S2_21rocsparse_index_base_PKT1_PKT2_PKS2_S2_S3_PS4_PS7_PS2_
	.p2align	8
	.type	_ZN9rocsparseL32bsr2csr_block_per_row_2_7_kernelILj256ELj5EdiiEEv20rocsparse_direction_T3_S2_21rocsparse_index_base_PKT1_PKT2_PKS2_S2_S3_PS4_PS7_PS2_,@function
_ZN9rocsparseL32bsr2csr_block_per_row_2_7_kernelILj256ELj5EdiiEEv20rocsparse_direction_T3_S2_21rocsparse_index_base_PKT1_PKT2_PKS2_S2_S3_PS4_PS7_PS2_: ; @_ZN9rocsparseL32bsr2csr_block_per_row_2_7_kernelILj256ELj5EdiiEEv20rocsparse_direction_T3_S2_21rocsparse_index_base_PKT1_PKT2_PKS2_S2_S3_PS4_PS7_PS2_
; %bb.0:
	s_clause 0x1
	s_load_b32 s12, s[0:1], 0x2c
	s_load_b64 s[2:3], s[0:1], 0x38
	s_bfe_u32 s4, ttmp6, 0x4000c
	s_and_b32 s5, ttmp6, 15
	s_add_co_i32 s4, s4, 1
	s_getreg_b32 s6, hwreg(HW_REG_IB_STS2, 6, 4)
	s_mul_i32 s4, ttmp9, s4
	s_delay_alu instid0(SALU_CYCLE_1) | instskip(SKIP_4) | instid1(VALU_DEP_1)
	s_add_co_i32 s5, s5, s4
	s_cmp_eq_u32 s6, 0
	s_cselect_b32 s4, ttmp9, s5
	s_mov_b32 s5, exec_lo
	v_or_b32_e32 v1, s4, v0
	v_cmpx_eq_u32_e32 0, v1
	s_cbranch_execz .LBB212_2
; %bb.1:
	s_wait_kmcnt 0x0
	v_dual_mov_b32 v1, 0 :: v_dual_mov_b32 v2, s12
	global_store_b32 v1, v2, s[2:3]
.LBB212_2:
	s_wait_xcnt 0x0
	s_or_b32 exec_lo, exec_lo, s5
	v_and_b32_e32 v1, 7, v0
	s_mov_b32 s5, exec_lo
	s_delay_alu instid0(VALU_DEP_1)
	v_cmpx_gt_u32_e32 5, v1
	s_cbranch_execz .LBB212_6
; %bb.3:
	s_clause 0x1
	s_load_b64 s[6:7], s[0:1], 0x18
	s_load_b32 s13, s[0:1], 0xc
	s_ashr_i32 s5, s4, 31
	v_lshrrev_b32_e32 v0, 3, v0
	s_lshl_b64 s[8:9], s[4:5], 2
	s_mul_i32 s4, s4, 5
	s_delay_alu instid0(SALU_CYCLE_1)
	v_add3_u32 v5, v1, s4, 1
	s_wait_kmcnt 0x0
	s_add_nc_u64 s[6:7], s[6:7], s[8:9]
	s_load_b64 s[10:11], s[6:7], 0x0
	s_wait_kmcnt 0x0
	s_sub_co_i32 s5, s10, s13
	s_sub_co_i32 s11, s11, s13
	v_add_nc_u32_e32 v2, s5, v0
	s_sub_co_i32 s6, s11, s5
	s_mul_i32 s7, s5, 25
	s_mul_i32 s6, s6, 5
	s_delay_alu instid0(SALU_CYCLE_1) | instskip(SKIP_2) | instid1(VALU_DEP_2)
	v_mul_lo_u32 v3, s6, v1
	s_add_co_i32 s6, s6, s12
	v_cmp_gt_i32_e32 vcc_lo, s11, v2
	v_add3_u32 v4, s6, s7, v3
	global_store_b32 v5, v4, s[2:3] scale_offset
	s_wait_xcnt 0x0
	s_and_b32 exec_lo, exec_lo, vcc_lo
	s_cbranch_execz .LBB212_6
; %bb.4:
	s_clause 0x2
	s_load_b64 s[2:3], s[0:1], 0x20
	s_load_b64 s[4:5], s[0:1], 0x30
	s_load_b32 s14, s[0:1], 0x0
	v_add_nc_u32_e32 v4, s10, v0
	v_mul_u32_u24_e32 v5, 5, v1
	s_clause 0x1
	s_load_b64 s[6:7], s[0:1], 0x10
	s_load_b64 s[8:9], s[0:1], 0x40
	v_mul_u32_u24_e32 v0, 5, v0
	s_wait_xcnt 0x0
	s_mul_i32 s0, s10, 25
	s_mov_b32 s1, 0
	v_mad_u32 v4, v4, 25, v5
	s_mov_b32 s10, 0
	v_add3_u32 v0, v3, s0, v0
	v_mad_u32 v3, v2, 25, v1
	s_mul_i32 s0, s13, 25
	s_delay_alu instid0(VALU_DEP_2) | instid1(SALU_CYCLE_1)
	v_subrev_nc_u32_e32 v0, s0, v0
	s_delay_alu instid0(VALU_DEP_4)
	v_subrev_nc_u32_e32 v4, s0, v4
	s_wait_kmcnt 0x0
	s_cmp_eq_u32 s14, 0
	s_cselect_b32 vcc_lo, -1, 0
.LBB212_5:                              ; =>This Inner Loop Header: Depth=1
	global_load_b32 v1, v2, s[2:3] scale_offset
	v_dual_add_nc_u32 v5, s10, v3 :: v_dual_add_nc_u32 v6, s10, v4
	s_addk_co_i32 s10, 0x320
	s_wait_xcnt 0x0
	s_delay_alu instid0(VALU_DEP_1) | instskip(NEXT) | instid1(VALU_DEP_2)
	v_dual_add_nc_u32 v2, 32, v2 :: v_dual_add_nc_u32 v9, 5, v5
	v_dual_cndmask_b32 v7, v5, v6 :: v_dual_add_nc_u32 v10, 4, v6
	v_dual_add_nc_u32 v8, 1, v6 :: v_dual_add_nc_u32 v11, 20, v5
	v_dual_add_nc_u32 v12, 2, v6 :: v_dual_add_nc_u32 v13, 10, v5
	;; [unrolled: 1-line block ×3, first 2 shown]
	s_delay_alu instid0(VALU_DEP_3)
	v_dual_cndmask_b32 v15, v11, v10 :: v_dual_cndmask_b32 v16, v9, v8
	global_load_b64 v[6:7], v7, s[6:7] scale_offset
	v_cmp_le_i32_e64 s0, s11, v2
	v_cndmask_b32_e32 v5, v5, v14, vcc_lo
	s_or_b32 s1, s0, s1
	s_wait_loadcnt 0x1
	v_subrev_nc_u32_e32 v1, s13, v1
	s_delay_alu instid0(VALU_DEP_1) | instskip(SKIP_2) | instid1(VALU_DEP_2)
	v_mad_u32 v14, v1, 5, s12
	v_ashrrev_i32_e32 v1, 31, v0
	v_cndmask_b32_e32 v17, v13, v12, vcc_lo
	v_lshl_add_u64 v[20:21], v[0:1], 2, s[8:9]
	v_lshl_add_u64 v[22:23], v[0:1], 3, s[4:5]
	v_add_nc_u32_e32 v1, 4, v14
	s_clause 0x3
	global_load_b64 v[18:19], v15, s[6:7] scale_offset
	global_load_b64 v[8:9], v16, s[6:7] scale_offset
	;; [unrolled: 1-line block ×4, first 2 shown]
	s_wait_xcnt 0x2
	v_dual_add_nc_u32 v15, 1, v14 :: v_dual_add_nc_u32 v16, 2, v14
	s_wait_xcnt 0x1
	v_add_nc_u32_e32 v17, 3, v14
	global_store_b32 v0, v1, s[8:9] offset:16 scale_offset
	s_wait_loadcnt 0x3
	global_store_b64 v0, v[18:19], s[4:5] offset:32 scale_offset
	s_wait_xcnt 0x0
	v_add_nc_u32_e32 v0, 0xa0, v0
	s_wait_loadcnt 0x2
	global_store_b128 v[22:23], v[6:9], off
	s_wait_loadcnt 0x0
	global_store_b128 v[22:23], v[10:13], off offset:16
	global_store_b128 v[20:21], v[14:17], off
	s_wait_xcnt 0x0
	s_and_not1_b32 exec_lo, exec_lo, s1
	s_cbranch_execnz .LBB212_5
.LBB212_6:
	s_endpgm
	.section	.rodata,"a",@progbits
	.p2align	6, 0x0
	.amdhsa_kernel _ZN9rocsparseL32bsr2csr_block_per_row_2_7_kernelILj256ELj5EdiiEEv20rocsparse_direction_T3_S2_21rocsparse_index_base_PKT1_PKT2_PKS2_S2_S3_PS4_PS7_PS2_
		.amdhsa_group_segment_fixed_size 0
		.amdhsa_private_segment_fixed_size 0
		.amdhsa_kernarg_size 72
		.amdhsa_user_sgpr_count 2
		.amdhsa_user_sgpr_dispatch_ptr 0
		.amdhsa_user_sgpr_queue_ptr 0
		.amdhsa_user_sgpr_kernarg_segment_ptr 1
		.amdhsa_user_sgpr_dispatch_id 0
		.amdhsa_user_sgpr_kernarg_preload_length 0
		.amdhsa_user_sgpr_kernarg_preload_offset 0
		.amdhsa_user_sgpr_private_segment_size 0
		.amdhsa_wavefront_size32 1
		.amdhsa_uses_dynamic_stack 0
		.amdhsa_enable_private_segment 0
		.amdhsa_system_sgpr_workgroup_id_x 1
		.amdhsa_system_sgpr_workgroup_id_y 0
		.amdhsa_system_sgpr_workgroup_id_z 0
		.amdhsa_system_sgpr_workgroup_info 0
		.amdhsa_system_vgpr_workitem_id 0
		.amdhsa_next_free_vgpr 24
		.amdhsa_next_free_sgpr 15
		.amdhsa_named_barrier_count 0
		.amdhsa_reserve_vcc 1
		.amdhsa_float_round_mode_32 0
		.amdhsa_float_round_mode_16_64 0
		.amdhsa_float_denorm_mode_32 3
		.amdhsa_float_denorm_mode_16_64 3
		.amdhsa_fp16_overflow 0
		.amdhsa_memory_ordered 1
		.amdhsa_forward_progress 1
		.amdhsa_inst_pref_size 6
		.amdhsa_round_robin_scheduling 0
		.amdhsa_exception_fp_ieee_invalid_op 0
		.amdhsa_exception_fp_denorm_src 0
		.amdhsa_exception_fp_ieee_div_zero 0
		.amdhsa_exception_fp_ieee_overflow 0
		.amdhsa_exception_fp_ieee_underflow 0
		.amdhsa_exception_fp_ieee_inexact 0
		.amdhsa_exception_int_div_zero 0
	.end_amdhsa_kernel
	.section	.text._ZN9rocsparseL32bsr2csr_block_per_row_2_7_kernelILj256ELj5EdiiEEv20rocsparse_direction_T3_S2_21rocsparse_index_base_PKT1_PKT2_PKS2_S2_S3_PS4_PS7_PS2_,"axG",@progbits,_ZN9rocsparseL32bsr2csr_block_per_row_2_7_kernelILj256ELj5EdiiEEv20rocsparse_direction_T3_S2_21rocsparse_index_base_PKT1_PKT2_PKS2_S2_S3_PS4_PS7_PS2_,comdat
.Lfunc_end212:
	.size	_ZN9rocsparseL32bsr2csr_block_per_row_2_7_kernelILj256ELj5EdiiEEv20rocsparse_direction_T3_S2_21rocsparse_index_base_PKT1_PKT2_PKS2_S2_S3_PS4_PS7_PS2_, .Lfunc_end212-_ZN9rocsparseL32bsr2csr_block_per_row_2_7_kernelILj256ELj5EdiiEEv20rocsparse_direction_T3_S2_21rocsparse_index_base_PKT1_PKT2_PKS2_S2_S3_PS4_PS7_PS2_
                                        ; -- End function
	.set _ZN9rocsparseL32bsr2csr_block_per_row_2_7_kernelILj256ELj5EdiiEEv20rocsparse_direction_T3_S2_21rocsparse_index_base_PKT1_PKT2_PKS2_S2_S3_PS4_PS7_PS2_.num_vgpr, 24
	.set _ZN9rocsparseL32bsr2csr_block_per_row_2_7_kernelILj256ELj5EdiiEEv20rocsparse_direction_T3_S2_21rocsparse_index_base_PKT1_PKT2_PKS2_S2_S3_PS4_PS7_PS2_.num_agpr, 0
	.set _ZN9rocsparseL32bsr2csr_block_per_row_2_7_kernelILj256ELj5EdiiEEv20rocsparse_direction_T3_S2_21rocsparse_index_base_PKT1_PKT2_PKS2_S2_S3_PS4_PS7_PS2_.numbered_sgpr, 15
	.set _ZN9rocsparseL32bsr2csr_block_per_row_2_7_kernelILj256ELj5EdiiEEv20rocsparse_direction_T3_S2_21rocsparse_index_base_PKT1_PKT2_PKS2_S2_S3_PS4_PS7_PS2_.num_named_barrier, 0
	.set _ZN9rocsparseL32bsr2csr_block_per_row_2_7_kernelILj256ELj5EdiiEEv20rocsparse_direction_T3_S2_21rocsparse_index_base_PKT1_PKT2_PKS2_S2_S3_PS4_PS7_PS2_.private_seg_size, 0
	.set _ZN9rocsparseL32bsr2csr_block_per_row_2_7_kernelILj256ELj5EdiiEEv20rocsparse_direction_T3_S2_21rocsparse_index_base_PKT1_PKT2_PKS2_S2_S3_PS4_PS7_PS2_.uses_vcc, 1
	.set _ZN9rocsparseL32bsr2csr_block_per_row_2_7_kernelILj256ELj5EdiiEEv20rocsparse_direction_T3_S2_21rocsparse_index_base_PKT1_PKT2_PKS2_S2_S3_PS4_PS7_PS2_.uses_flat_scratch, 0
	.set _ZN9rocsparseL32bsr2csr_block_per_row_2_7_kernelILj256ELj5EdiiEEv20rocsparse_direction_T3_S2_21rocsparse_index_base_PKT1_PKT2_PKS2_S2_S3_PS4_PS7_PS2_.has_dyn_sized_stack, 0
	.set _ZN9rocsparseL32bsr2csr_block_per_row_2_7_kernelILj256ELj5EdiiEEv20rocsparse_direction_T3_S2_21rocsparse_index_base_PKT1_PKT2_PKS2_S2_S3_PS4_PS7_PS2_.has_recursion, 0
	.set _ZN9rocsparseL32bsr2csr_block_per_row_2_7_kernelILj256ELj5EdiiEEv20rocsparse_direction_T3_S2_21rocsparse_index_base_PKT1_PKT2_PKS2_S2_S3_PS4_PS7_PS2_.has_indirect_call, 0
	.section	.AMDGPU.csdata,"",@progbits
; Kernel info:
; codeLenInByte = 760
; TotalNumSgprs: 17
; NumVgprs: 24
; ScratchSize: 0
; MemoryBound: 0
; FloatMode: 240
; IeeeMode: 1
; LDSByteSize: 0 bytes/workgroup (compile time only)
; SGPRBlocks: 0
; VGPRBlocks: 1
; NumSGPRsForWavesPerEU: 17
; NumVGPRsForWavesPerEU: 24
; NamedBarCnt: 0
; Occupancy: 16
; WaveLimiterHint : 1
; COMPUTE_PGM_RSRC2:SCRATCH_EN: 0
; COMPUTE_PGM_RSRC2:USER_SGPR: 2
; COMPUTE_PGM_RSRC2:TRAP_HANDLER: 0
; COMPUTE_PGM_RSRC2:TGID_X_EN: 1
; COMPUTE_PGM_RSRC2:TGID_Y_EN: 0
; COMPUTE_PGM_RSRC2:TGID_Z_EN: 0
; COMPUTE_PGM_RSRC2:TIDIG_COMP_CNT: 0
	.section	.text._ZN9rocsparseL32bsr2csr_block_per_row_2_7_kernelILj256ELj6EdiiEEv20rocsparse_direction_T3_S2_21rocsparse_index_base_PKT1_PKT2_PKS2_S2_S3_PS4_PS7_PS2_,"axG",@progbits,_ZN9rocsparseL32bsr2csr_block_per_row_2_7_kernelILj256ELj6EdiiEEv20rocsparse_direction_T3_S2_21rocsparse_index_base_PKT1_PKT2_PKS2_S2_S3_PS4_PS7_PS2_,comdat
	.globl	_ZN9rocsparseL32bsr2csr_block_per_row_2_7_kernelILj256ELj6EdiiEEv20rocsparse_direction_T3_S2_21rocsparse_index_base_PKT1_PKT2_PKS2_S2_S3_PS4_PS7_PS2_ ; -- Begin function _ZN9rocsparseL32bsr2csr_block_per_row_2_7_kernelILj256ELj6EdiiEEv20rocsparse_direction_T3_S2_21rocsparse_index_base_PKT1_PKT2_PKS2_S2_S3_PS4_PS7_PS2_
	.p2align	8
	.type	_ZN9rocsparseL32bsr2csr_block_per_row_2_7_kernelILj256ELj6EdiiEEv20rocsparse_direction_T3_S2_21rocsparse_index_base_PKT1_PKT2_PKS2_S2_S3_PS4_PS7_PS2_,@function
_ZN9rocsparseL32bsr2csr_block_per_row_2_7_kernelILj256ELj6EdiiEEv20rocsparse_direction_T3_S2_21rocsparse_index_base_PKT1_PKT2_PKS2_S2_S3_PS4_PS7_PS2_: ; @_ZN9rocsparseL32bsr2csr_block_per_row_2_7_kernelILj256ELj6EdiiEEv20rocsparse_direction_T3_S2_21rocsparse_index_base_PKT1_PKT2_PKS2_S2_S3_PS4_PS7_PS2_
; %bb.0:
	s_clause 0x1
	s_load_b32 s12, s[0:1], 0x2c
	s_load_b64 s[2:3], s[0:1], 0x38
	s_bfe_u32 s4, ttmp6, 0x4000c
	s_and_b32 s5, ttmp6, 15
	s_add_co_i32 s4, s4, 1
	s_getreg_b32 s6, hwreg(HW_REG_IB_STS2, 6, 4)
	s_mul_i32 s4, ttmp9, s4
	s_delay_alu instid0(SALU_CYCLE_1) | instskip(SKIP_4) | instid1(VALU_DEP_1)
	s_add_co_i32 s5, s5, s4
	s_cmp_eq_u32 s6, 0
	s_cselect_b32 s4, ttmp9, s5
	s_mov_b32 s5, exec_lo
	v_or_b32_e32 v1, s4, v0
	v_cmpx_eq_u32_e32 0, v1
	s_cbranch_execz .LBB213_2
; %bb.1:
	s_wait_kmcnt 0x0
	v_dual_mov_b32 v1, 0 :: v_dual_mov_b32 v2, s12
	global_store_b32 v1, v2, s[2:3]
.LBB213_2:
	s_wait_xcnt 0x0
	s_or_b32 exec_lo, exec_lo, s5
	v_and_b32_e32 v1, 7, v0
	s_mov_b32 s5, exec_lo
	s_delay_alu instid0(VALU_DEP_1)
	v_cmpx_gt_u32_e32 6, v1
	s_cbranch_execz .LBB213_6
; %bb.3:
	s_clause 0x1
	s_load_b64 s[6:7], s[0:1], 0x18
	s_load_b32 s13, s[0:1], 0xc
	s_ashr_i32 s5, s4, 31
	v_lshrrev_b32_e32 v0, 3, v0
	s_lshl_b64 s[8:9], s[4:5], 2
	s_mul_i32 s4, s4, 6
	s_delay_alu instid0(SALU_CYCLE_1)
	v_add3_u32 v5, v1, s4, 1
	s_wait_kmcnt 0x0
	s_add_nc_u64 s[6:7], s[6:7], s[8:9]
	s_load_b64 s[10:11], s[6:7], 0x0
	s_wait_kmcnt 0x0
	s_sub_co_i32 s5, s10, s13
	s_sub_co_i32 s11, s11, s13
	v_add_nc_u32_e32 v2, s5, v0
	s_sub_co_i32 s6, s11, s5
	s_mul_i32 s7, s5, 36
	s_mul_i32 s6, s6, 6
	s_delay_alu instid0(SALU_CYCLE_1) | instskip(SKIP_2) | instid1(VALU_DEP_2)
	v_mul_lo_u32 v4, s6, v1
	s_add_co_i32 s6, s6, s12
	v_cmp_gt_i32_e32 vcc_lo, s11, v2
	v_add3_u32 v3, s6, s7, v4
	global_store_b32 v5, v3, s[2:3] scale_offset
	s_wait_xcnt 0x0
	s_and_b32 exec_lo, exec_lo, vcc_lo
	s_cbranch_execz .LBB213_6
; %bb.4:
	s_clause 0x4
	s_load_b64 s[2:3], s[0:1], 0x20
	s_load_b64 s[4:5], s[0:1], 0x30
	s_load_b32 s14, s[0:1], 0x0
	s_load_b64 s[6:7], s[0:1], 0x10
	s_load_b64 s[8:9], s[0:1], 0x40
	v_mul_u32_u24_e32 v0, 6, v0
	s_wait_xcnt 0x0
	s_mul_i32 s0, s10, 36
	v_mad_u32 v3, v2, 36, v1
	s_mov_b32 s1, 0
	v_add3_u32 v0, v4, s0, v0
	s_mul_i32 s0, s13, 36
	v_mul_u32_u24_e32 v4, 5, v1
	s_delay_alu instid0(VALU_DEP_2)
	v_subrev_nc_u32_e32 v0, s0, v0
	s_wait_kmcnt 0x0
	s_cmp_eq_u32 s14, 0
	s_cselect_b32 vcc_lo, -1, 0
.LBB213_5:                              ; =>This Inner Loop Header: Depth=1
	global_load_b32 v5, v2, s[2:3] scale_offset
	v_dual_add_nc_u32 v1, v4, v3 :: v_dual_add_nc_u32 v6, 6, v3
	v_dual_add_nc_u32 v7, 12, v3 :: v_dual_add_nc_u32 v8, 18, v3
	;; [unrolled: 1-line block ×3, first 2 shown]
	s_delay_alu instid0(VALU_DEP_3) | instskip(SKIP_2) | instid1(VALU_DEP_2)
	v_dual_cndmask_b32 v18, v3, v1 :: v_dual_add_nc_u32 v11, 1, v1
	v_dual_add_nc_u32 v12, 2, v1 :: v_dual_add_nc_u32 v13, 3, v1
	v_dual_add_nc_u32 v14, 4, v1 :: v_dual_add_nc_u32 v1, 5, v1
	v_dual_cndmask_b32 v19, v6, v11 :: v_dual_cndmask_b32 v20, v7, v12
	s_delay_alu instid0(VALU_DEP_2) | instskip(SKIP_1) | instid1(VALU_DEP_3)
	v_dual_cndmask_b32 v21, v8, v13 :: v_dual_cndmask_b32 v22, v9, v14
	s_wait_xcnt 0x0
	v_dual_cndmask_b32 v1, v10, v1 :: v_dual_add_nc_u32 v2, 32, v2
	s_clause 0x5
	global_load_b64 v[6:7], v18, s[6:7] scale_offset
	global_load_b64 v[8:9], v19, s[6:7] scale_offset
	;; [unrolled: 1-line block ×6, first 2 shown]
	v_add_nc_u32_e32 v3, 0x480, v3
	v_cmp_le_i32_e64 s0, s11, v2
	s_or_b32 s1, s0, s1
	s_wait_loadcnt 0x6
	v_subrev_nc_u32_e32 v5, s13, v5
	s_wait_xcnt 0x5
	s_delay_alu instid0(VALU_DEP_1) | instskip(SKIP_1) | instid1(VALU_DEP_1)
	v_mad_u32 v18, v5, 6, s12
	s_wait_xcnt 0x0
	v_dual_ashrrev_i32 v1, 31, v0 :: v_dual_add_nc_u32 v19, 1, v18
	s_delay_alu instid0(VALU_DEP_1)
	v_lshl_add_u64 v[22:23], v[0:1], 2, s[8:9]
	v_lshl_add_u64 v[24:25], v[0:1], 3, s[4:5]
	v_add_nc_u32_e32 v0, 0xc0, v0
	v_dual_add_nc_u32 v20, 2, v18 :: v_dual_add_nc_u32 v21, 3, v18
	v_dual_add_nc_u32 v26, 4, v18 :: v_dual_add_nc_u32 v27, 5, v18
	s_wait_loadcnt 0x4
	global_store_b128 v[24:25], v[6:9], off
	s_wait_loadcnt 0x2
	global_store_b128 v[24:25], v[10:13], off offset:16
	s_wait_loadcnt 0x0
	global_store_b128 v[24:25], v[14:17], off offset:32
	s_clause 0x1
	global_store_b128 v[22:23], v[18:21], off
	global_store_b64 v[22:23], v[26:27], off offset:16
	s_wait_xcnt 0x0
	s_and_not1_b32 exec_lo, exec_lo, s1
	s_cbranch_execnz .LBB213_5
.LBB213_6:
	s_endpgm
	.section	.rodata,"a",@progbits
	.p2align	6, 0x0
	.amdhsa_kernel _ZN9rocsparseL32bsr2csr_block_per_row_2_7_kernelILj256ELj6EdiiEEv20rocsparse_direction_T3_S2_21rocsparse_index_base_PKT1_PKT2_PKS2_S2_S3_PS4_PS7_PS2_
		.amdhsa_group_segment_fixed_size 0
		.amdhsa_private_segment_fixed_size 0
		.amdhsa_kernarg_size 72
		.amdhsa_user_sgpr_count 2
		.amdhsa_user_sgpr_dispatch_ptr 0
		.amdhsa_user_sgpr_queue_ptr 0
		.amdhsa_user_sgpr_kernarg_segment_ptr 1
		.amdhsa_user_sgpr_dispatch_id 0
		.amdhsa_user_sgpr_kernarg_preload_length 0
		.amdhsa_user_sgpr_kernarg_preload_offset 0
		.amdhsa_user_sgpr_private_segment_size 0
		.amdhsa_wavefront_size32 1
		.amdhsa_uses_dynamic_stack 0
		.amdhsa_enable_private_segment 0
		.amdhsa_system_sgpr_workgroup_id_x 1
		.amdhsa_system_sgpr_workgroup_id_y 0
		.amdhsa_system_sgpr_workgroup_id_z 0
		.amdhsa_system_sgpr_workgroup_info 0
		.amdhsa_system_vgpr_workitem_id 0
		.amdhsa_next_free_vgpr 28
		.amdhsa_next_free_sgpr 15
		.amdhsa_named_barrier_count 0
		.amdhsa_reserve_vcc 1
		.amdhsa_float_round_mode_32 0
		.amdhsa_float_round_mode_16_64 0
		.amdhsa_float_denorm_mode_32 3
		.amdhsa_float_denorm_mode_16_64 3
		.amdhsa_fp16_overflow 0
		.amdhsa_memory_ordered 1
		.amdhsa_forward_progress 1
		.amdhsa_inst_pref_size 7
		.amdhsa_round_robin_scheduling 0
		.amdhsa_exception_fp_ieee_invalid_op 0
		.amdhsa_exception_fp_denorm_src 0
		.amdhsa_exception_fp_ieee_div_zero 0
		.amdhsa_exception_fp_ieee_overflow 0
		.amdhsa_exception_fp_ieee_underflow 0
		.amdhsa_exception_fp_ieee_inexact 0
		.amdhsa_exception_int_div_zero 0
	.end_amdhsa_kernel
	.section	.text._ZN9rocsparseL32bsr2csr_block_per_row_2_7_kernelILj256ELj6EdiiEEv20rocsparse_direction_T3_S2_21rocsparse_index_base_PKT1_PKT2_PKS2_S2_S3_PS4_PS7_PS2_,"axG",@progbits,_ZN9rocsparseL32bsr2csr_block_per_row_2_7_kernelILj256ELj6EdiiEEv20rocsparse_direction_T3_S2_21rocsparse_index_base_PKT1_PKT2_PKS2_S2_S3_PS4_PS7_PS2_,comdat
.Lfunc_end213:
	.size	_ZN9rocsparseL32bsr2csr_block_per_row_2_7_kernelILj256ELj6EdiiEEv20rocsparse_direction_T3_S2_21rocsparse_index_base_PKT1_PKT2_PKS2_S2_S3_PS4_PS7_PS2_, .Lfunc_end213-_ZN9rocsparseL32bsr2csr_block_per_row_2_7_kernelILj256ELj6EdiiEEv20rocsparse_direction_T3_S2_21rocsparse_index_base_PKT1_PKT2_PKS2_S2_S3_PS4_PS7_PS2_
                                        ; -- End function
	.set _ZN9rocsparseL32bsr2csr_block_per_row_2_7_kernelILj256ELj6EdiiEEv20rocsparse_direction_T3_S2_21rocsparse_index_base_PKT1_PKT2_PKS2_S2_S3_PS4_PS7_PS2_.num_vgpr, 28
	.set _ZN9rocsparseL32bsr2csr_block_per_row_2_7_kernelILj256ELj6EdiiEEv20rocsparse_direction_T3_S2_21rocsparse_index_base_PKT1_PKT2_PKS2_S2_S3_PS4_PS7_PS2_.num_agpr, 0
	.set _ZN9rocsparseL32bsr2csr_block_per_row_2_7_kernelILj256ELj6EdiiEEv20rocsparse_direction_T3_S2_21rocsparse_index_base_PKT1_PKT2_PKS2_S2_S3_PS4_PS7_PS2_.numbered_sgpr, 15
	.set _ZN9rocsparseL32bsr2csr_block_per_row_2_7_kernelILj256ELj6EdiiEEv20rocsparse_direction_T3_S2_21rocsparse_index_base_PKT1_PKT2_PKS2_S2_S3_PS4_PS7_PS2_.num_named_barrier, 0
	.set _ZN9rocsparseL32bsr2csr_block_per_row_2_7_kernelILj256ELj6EdiiEEv20rocsparse_direction_T3_S2_21rocsparse_index_base_PKT1_PKT2_PKS2_S2_S3_PS4_PS7_PS2_.private_seg_size, 0
	.set _ZN9rocsparseL32bsr2csr_block_per_row_2_7_kernelILj256ELj6EdiiEEv20rocsparse_direction_T3_S2_21rocsparse_index_base_PKT1_PKT2_PKS2_S2_S3_PS4_PS7_PS2_.uses_vcc, 1
	.set _ZN9rocsparseL32bsr2csr_block_per_row_2_7_kernelILj256ELj6EdiiEEv20rocsparse_direction_T3_S2_21rocsparse_index_base_PKT1_PKT2_PKS2_S2_S3_PS4_PS7_PS2_.uses_flat_scratch, 0
	.set _ZN9rocsparseL32bsr2csr_block_per_row_2_7_kernelILj256ELj6EdiiEEv20rocsparse_direction_T3_S2_21rocsparse_index_base_PKT1_PKT2_PKS2_S2_S3_PS4_PS7_PS2_.has_dyn_sized_stack, 0
	.set _ZN9rocsparseL32bsr2csr_block_per_row_2_7_kernelILj256ELj6EdiiEEv20rocsparse_direction_T3_S2_21rocsparse_index_base_PKT1_PKT2_PKS2_S2_S3_PS4_PS7_PS2_.has_recursion, 0
	.set _ZN9rocsparseL32bsr2csr_block_per_row_2_7_kernelILj256ELj6EdiiEEv20rocsparse_direction_T3_S2_21rocsparse_index_base_PKT1_PKT2_PKS2_S2_S3_PS4_PS7_PS2_.has_indirect_call, 0
	.section	.AMDGPU.csdata,"",@progbits
; Kernel info:
; codeLenInByte = 772
; TotalNumSgprs: 17
; NumVgprs: 28
; ScratchSize: 0
; MemoryBound: 0
; FloatMode: 240
; IeeeMode: 1
; LDSByteSize: 0 bytes/workgroup (compile time only)
; SGPRBlocks: 0
; VGPRBlocks: 1
; NumSGPRsForWavesPerEU: 17
; NumVGPRsForWavesPerEU: 28
; NamedBarCnt: 0
; Occupancy: 16
; WaveLimiterHint : 0
; COMPUTE_PGM_RSRC2:SCRATCH_EN: 0
; COMPUTE_PGM_RSRC2:USER_SGPR: 2
; COMPUTE_PGM_RSRC2:TRAP_HANDLER: 0
; COMPUTE_PGM_RSRC2:TGID_X_EN: 1
; COMPUTE_PGM_RSRC2:TGID_Y_EN: 0
; COMPUTE_PGM_RSRC2:TGID_Z_EN: 0
; COMPUTE_PGM_RSRC2:TIDIG_COMP_CNT: 0
	.section	.text._ZN9rocsparseL32bsr2csr_block_per_row_2_7_kernelILj256ELj7EdiiEEv20rocsparse_direction_T3_S2_21rocsparse_index_base_PKT1_PKT2_PKS2_S2_S3_PS4_PS7_PS2_,"axG",@progbits,_ZN9rocsparseL32bsr2csr_block_per_row_2_7_kernelILj256ELj7EdiiEEv20rocsparse_direction_T3_S2_21rocsparse_index_base_PKT1_PKT2_PKS2_S2_S3_PS4_PS7_PS2_,comdat
	.globl	_ZN9rocsparseL32bsr2csr_block_per_row_2_7_kernelILj256ELj7EdiiEEv20rocsparse_direction_T3_S2_21rocsparse_index_base_PKT1_PKT2_PKS2_S2_S3_PS4_PS7_PS2_ ; -- Begin function _ZN9rocsparseL32bsr2csr_block_per_row_2_7_kernelILj256ELj7EdiiEEv20rocsparse_direction_T3_S2_21rocsparse_index_base_PKT1_PKT2_PKS2_S2_S3_PS4_PS7_PS2_
	.p2align	8
	.type	_ZN9rocsparseL32bsr2csr_block_per_row_2_7_kernelILj256ELj7EdiiEEv20rocsparse_direction_T3_S2_21rocsparse_index_base_PKT1_PKT2_PKS2_S2_S3_PS4_PS7_PS2_,@function
_ZN9rocsparseL32bsr2csr_block_per_row_2_7_kernelILj256ELj7EdiiEEv20rocsparse_direction_T3_S2_21rocsparse_index_base_PKT1_PKT2_PKS2_S2_S3_PS4_PS7_PS2_: ; @_ZN9rocsparseL32bsr2csr_block_per_row_2_7_kernelILj256ELj7EdiiEEv20rocsparse_direction_T3_S2_21rocsparse_index_base_PKT1_PKT2_PKS2_S2_S3_PS4_PS7_PS2_
; %bb.0:
	s_clause 0x1
	s_load_b32 s12, s[0:1], 0x2c
	s_load_b64 s[2:3], s[0:1], 0x38
	s_bfe_u32 s4, ttmp6, 0x4000c
	s_and_b32 s5, ttmp6, 15
	s_add_co_i32 s4, s4, 1
	s_getreg_b32 s6, hwreg(HW_REG_IB_STS2, 6, 4)
	s_mul_i32 s4, ttmp9, s4
	s_delay_alu instid0(SALU_CYCLE_1) | instskip(SKIP_4) | instid1(VALU_DEP_1)
	s_add_co_i32 s5, s5, s4
	s_cmp_eq_u32 s6, 0
	s_cselect_b32 s4, ttmp9, s5
	s_mov_b32 s5, exec_lo
	v_or_b32_e32 v1, s4, v0
	v_cmpx_eq_u32_e32 0, v1
	s_cbranch_execz .LBB214_2
; %bb.1:
	s_wait_kmcnt 0x0
	v_dual_mov_b32 v1, 0 :: v_dual_mov_b32 v2, s12
	global_store_b32 v1, v2, s[2:3]
.LBB214_2:
	s_wait_xcnt 0x0
	s_or_b32 exec_lo, exec_lo, s5
	v_and_b32_e32 v1, 7, v0
	s_mov_b32 s5, exec_lo
	s_delay_alu instid0(VALU_DEP_1)
	v_cmpx_ne_u32_e32 7, v1
	s_cbranch_execz .LBB214_6
; %bb.3:
	s_clause 0x1
	s_load_b64 s[6:7], s[0:1], 0x18
	s_load_b32 s13, s[0:1], 0xc
	s_ashr_i32 s5, s4, 31
	v_lshrrev_b32_e32 v0, 3, v0
	s_lshl_b64 s[8:9], s[4:5], 2
	s_mul_i32 s4, s4, 7
	s_delay_alu instid0(SALU_CYCLE_1)
	v_add3_u32 v5, v1, s4, 1
	s_wait_kmcnt 0x0
	s_add_nc_u64 s[6:7], s[6:7], s[8:9]
	s_load_b64 s[10:11], s[6:7], 0x0
	s_wait_kmcnt 0x0
	s_sub_co_i32 s5, s10, s13
	s_sub_co_i32 s11, s11, s13
	v_add_nc_u32_e32 v2, s5, v0
	s_sub_co_i32 s6, s11, s5
	s_mul_i32 s7, s5, 49
	s_mul_i32 s6, s6, 7
	s_delay_alu instid0(SALU_CYCLE_1) | instskip(SKIP_2) | instid1(VALU_DEP_2)
	v_mul_lo_u32 v4, s6, v1
	s_add_co_i32 s6, s6, s12
	v_cmp_gt_i32_e32 vcc_lo, s11, v2
	v_add3_u32 v3, s6, s7, v4
	global_store_b32 v5, v3, s[2:3] scale_offset
	s_wait_xcnt 0x0
	s_and_b32 exec_lo, exec_lo, vcc_lo
	s_cbranch_execz .LBB214_6
; %bb.4:
	s_clause 0x4
	s_load_b64 s[2:3], s[0:1], 0x20
	s_load_b64 s[4:5], s[0:1], 0x30
	s_load_b32 s14, s[0:1], 0x0
	s_load_b64 s[6:7], s[0:1], 0x10
	s_load_b64 s[8:9], s[0:1], 0x40
	v_mul_u32_u24_e32 v0, 7, v0
	s_wait_xcnt 0x0
	s_mul_i32 s0, s10, 49
	v_mad_u32 v3, v2, 49, v1
	s_mov_b32 s1, 0
	v_add3_u32 v0, v4, s0, v0
	s_mul_i32 s0, s13, 49
	v_mul_u32_u24_e32 v4, 6, v1
	s_delay_alu instid0(VALU_DEP_2)
	v_subrev_nc_u32_e32 v0, s0, v0
	s_wait_kmcnt 0x0
	s_cmp_eq_u32 s14, 0
	s_cselect_b32 vcc_lo, -1, 0
.LBB214_5:                              ; =>This Inner Loop Header: Depth=1
	global_load_b32 v5, v2, s[2:3] scale_offset
	v_dual_add_nc_u32 v1, v4, v3 :: v_dual_add_nc_u32 v8, 7, v3
	v_dual_add_nc_u32 v13, 42, v3 :: v_dual_add_nc_u32 v11, 28, v3
	s_delay_alu instid0(VALU_DEP_2) | instskip(SKIP_4) | instid1(VALU_DEP_3)
	v_dual_add_nc_u32 v12, 35, v3 :: v_dual_add_nc_u32 v14, 1, v1
	v_dual_add_nc_u32 v15, 2, v1 :: v_dual_add_nc_u32 v16, 3, v1
	;; [unrolled: 1-line block ×3, first 2 shown]
	v_dual_cndmask_b32 v6, v3, v1 :: v_dual_add_nc_u32 v1, 5, v1
	v_dual_add_nc_u32 v9, 14, v3 :: v_dual_add_nc_u32 v10, 21, v3
	v_dual_cndmask_b32 v19, v8, v14 :: v_dual_cndmask_b32 v22, v13, v17
	s_delay_alu instid0(VALU_DEP_3) | instskip(NEXT) | instid1(VALU_DEP_3)
	v_dual_cndmask_b32 v18, v11, v18 :: v_dual_cndmask_b32 v1, v12, v1
	v_dual_cndmask_b32 v23, v9, v15 :: v_dual_cndmask_b32 v24, v10, v16
	s_clause 0x6
	global_load_b64 v[6:7], v6, s[6:7] scale_offset
	global_load_b64 v[20:21], v22, s[6:7] scale_offset
	;; [unrolled: 1-line block ×7, first 2 shown]
	s_wait_xcnt 0x3
	v_dual_ashrrev_i32 v1, 31, v0 :: v_dual_add_nc_u32 v2, 32, v2
	v_add_nc_u32_e32 v3, 0x620, v3
	s_delay_alu instid0(VALU_DEP_2) | instskip(NEXT) | instid1(VALU_DEP_3)
	v_lshl_add_u64 v[26:27], v[0:1], 2, s[8:9]
	v_cmp_le_i32_e64 s0, s11, v2
	v_lshl_add_u64 v[28:29], v[0:1], 3, s[4:5]
	s_or_b32 s1, s0, s1
	s_wait_loadcnt 0x7
	v_subrev_nc_u32_e32 v5, s13, v5
	s_delay_alu instid0(VALU_DEP_1) | instskip(SKIP_1) | instid1(VALU_DEP_1)
	v_mad_u32 v18, v5, 7, s12
	s_wait_xcnt 0x2
	v_add_nc_u32_e32 v19, 1, v18
	s_wait_loadcnt 0x5
	global_store_b64 v0, v[20:21], s[4:5] offset:48 scale_offset
	s_wait_xcnt 0x0
	v_add_nc_u32_e32 v0, 0xe0, v0
	v_dual_add_nc_u32 v20, 2, v18 :: v_dual_add_nc_u32 v21, 3, v18
	v_dual_add_nc_u32 v22, 4, v18 :: v_dual_add_nc_u32 v23, 5, v18
	v_add_nc_u32_e32 v24, 6, v18
	s_wait_loadcnt 0x2
	global_store_b128 v[28:29], v[6:9], off
	s_wait_loadcnt 0x0
	s_clause 0x1
	global_store_b128 v[28:29], v[14:17], off offset:16
	global_store_b128 v[28:29], v[10:13], off offset:32
	s_clause 0x1
	global_store_b128 v[26:27], v[18:21], off
	global_store_b96 v[26:27], v[22:24], off offset:16
	s_wait_xcnt 0x0
	s_and_not1_b32 exec_lo, exec_lo, s1
	s_cbranch_execnz .LBB214_5
.LBB214_6:
	s_endpgm
	.section	.rodata,"a",@progbits
	.p2align	6, 0x0
	.amdhsa_kernel _ZN9rocsparseL32bsr2csr_block_per_row_2_7_kernelILj256ELj7EdiiEEv20rocsparse_direction_T3_S2_21rocsparse_index_base_PKT1_PKT2_PKS2_S2_S3_PS4_PS7_PS2_
		.amdhsa_group_segment_fixed_size 0
		.amdhsa_private_segment_fixed_size 0
		.amdhsa_kernarg_size 72
		.amdhsa_user_sgpr_count 2
		.amdhsa_user_sgpr_dispatch_ptr 0
		.amdhsa_user_sgpr_queue_ptr 0
		.amdhsa_user_sgpr_kernarg_segment_ptr 1
		.amdhsa_user_sgpr_dispatch_id 0
		.amdhsa_user_sgpr_kernarg_preload_length 0
		.amdhsa_user_sgpr_kernarg_preload_offset 0
		.amdhsa_user_sgpr_private_segment_size 0
		.amdhsa_wavefront_size32 1
		.amdhsa_uses_dynamic_stack 0
		.amdhsa_enable_private_segment 0
		.amdhsa_system_sgpr_workgroup_id_x 1
		.amdhsa_system_sgpr_workgroup_id_y 0
		.amdhsa_system_sgpr_workgroup_id_z 0
		.amdhsa_system_sgpr_workgroup_info 0
		.amdhsa_system_vgpr_workitem_id 0
		.amdhsa_next_free_vgpr 30
		.amdhsa_next_free_sgpr 15
		.amdhsa_named_barrier_count 0
		.amdhsa_reserve_vcc 1
		.amdhsa_float_round_mode_32 0
		.amdhsa_float_round_mode_16_64 0
		.amdhsa_float_denorm_mode_32 3
		.amdhsa_float_denorm_mode_16_64 3
		.amdhsa_fp16_overflow 0
		.amdhsa_memory_ordered 1
		.amdhsa_forward_progress 1
		.amdhsa_inst_pref_size 7
		.amdhsa_round_robin_scheduling 0
		.amdhsa_exception_fp_ieee_invalid_op 0
		.amdhsa_exception_fp_denorm_src 0
		.amdhsa_exception_fp_ieee_div_zero 0
		.amdhsa_exception_fp_ieee_overflow 0
		.amdhsa_exception_fp_ieee_underflow 0
		.amdhsa_exception_fp_ieee_inexact 0
		.amdhsa_exception_int_div_zero 0
	.end_amdhsa_kernel
	.section	.text._ZN9rocsparseL32bsr2csr_block_per_row_2_7_kernelILj256ELj7EdiiEEv20rocsparse_direction_T3_S2_21rocsparse_index_base_PKT1_PKT2_PKS2_S2_S3_PS4_PS7_PS2_,"axG",@progbits,_ZN9rocsparseL32bsr2csr_block_per_row_2_7_kernelILj256ELj7EdiiEEv20rocsparse_direction_T3_S2_21rocsparse_index_base_PKT1_PKT2_PKS2_S2_S3_PS4_PS7_PS2_,comdat
.Lfunc_end214:
	.size	_ZN9rocsparseL32bsr2csr_block_per_row_2_7_kernelILj256ELj7EdiiEEv20rocsparse_direction_T3_S2_21rocsparse_index_base_PKT1_PKT2_PKS2_S2_S3_PS4_PS7_PS2_, .Lfunc_end214-_ZN9rocsparseL32bsr2csr_block_per_row_2_7_kernelILj256ELj7EdiiEEv20rocsparse_direction_T3_S2_21rocsparse_index_base_PKT1_PKT2_PKS2_S2_S3_PS4_PS7_PS2_
                                        ; -- End function
	.set _ZN9rocsparseL32bsr2csr_block_per_row_2_7_kernelILj256ELj7EdiiEEv20rocsparse_direction_T3_S2_21rocsparse_index_base_PKT1_PKT2_PKS2_S2_S3_PS4_PS7_PS2_.num_vgpr, 30
	.set _ZN9rocsparseL32bsr2csr_block_per_row_2_7_kernelILj256ELj7EdiiEEv20rocsparse_direction_T3_S2_21rocsparse_index_base_PKT1_PKT2_PKS2_S2_S3_PS4_PS7_PS2_.num_agpr, 0
	.set _ZN9rocsparseL32bsr2csr_block_per_row_2_7_kernelILj256ELj7EdiiEEv20rocsparse_direction_T3_S2_21rocsparse_index_base_PKT1_PKT2_PKS2_S2_S3_PS4_PS7_PS2_.numbered_sgpr, 15
	.set _ZN9rocsparseL32bsr2csr_block_per_row_2_7_kernelILj256ELj7EdiiEEv20rocsparse_direction_T3_S2_21rocsparse_index_base_PKT1_PKT2_PKS2_S2_S3_PS4_PS7_PS2_.num_named_barrier, 0
	.set _ZN9rocsparseL32bsr2csr_block_per_row_2_7_kernelILj256ELj7EdiiEEv20rocsparse_direction_T3_S2_21rocsparse_index_base_PKT1_PKT2_PKS2_S2_S3_PS4_PS7_PS2_.private_seg_size, 0
	.set _ZN9rocsparseL32bsr2csr_block_per_row_2_7_kernelILj256ELj7EdiiEEv20rocsparse_direction_T3_S2_21rocsparse_index_base_PKT1_PKT2_PKS2_S2_S3_PS4_PS7_PS2_.uses_vcc, 1
	.set _ZN9rocsparseL32bsr2csr_block_per_row_2_7_kernelILj256ELj7EdiiEEv20rocsparse_direction_T3_S2_21rocsparse_index_base_PKT1_PKT2_PKS2_S2_S3_PS4_PS7_PS2_.uses_flat_scratch, 0
	.set _ZN9rocsparseL32bsr2csr_block_per_row_2_7_kernelILj256ELj7EdiiEEv20rocsparse_direction_T3_S2_21rocsparse_index_base_PKT1_PKT2_PKS2_S2_S3_PS4_PS7_PS2_.has_dyn_sized_stack, 0
	.set _ZN9rocsparseL32bsr2csr_block_per_row_2_7_kernelILj256ELj7EdiiEEv20rocsparse_direction_T3_S2_21rocsparse_index_base_PKT1_PKT2_PKS2_S2_S3_PS4_PS7_PS2_.has_recursion, 0
	.set _ZN9rocsparseL32bsr2csr_block_per_row_2_7_kernelILj256ELj7EdiiEEv20rocsparse_direction_T3_S2_21rocsparse_index_base_PKT1_PKT2_PKS2_S2_S3_PS4_PS7_PS2_.has_indirect_call, 0
	.section	.AMDGPU.csdata,"",@progbits
; Kernel info:
; codeLenInByte = 820
; TotalNumSgprs: 17
; NumVgprs: 30
; ScratchSize: 0
; MemoryBound: 0
; FloatMode: 240
; IeeeMode: 1
; LDSByteSize: 0 bytes/workgroup (compile time only)
; SGPRBlocks: 0
; VGPRBlocks: 1
; NumSGPRsForWavesPerEU: 17
; NumVGPRsForWavesPerEU: 30
; NamedBarCnt: 0
; Occupancy: 16
; WaveLimiterHint : 0
; COMPUTE_PGM_RSRC2:SCRATCH_EN: 0
; COMPUTE_PGM_RSRC2:USER_SGPR: 2
; COMPUTE_PGM_RSRC2:TRAP_HANDLER: 0
; COMPUTE_PGM_RSRC2:TGID_X_EN: 1
; COMPUTE_PGM_RSRC2:TGID_Y_EN: 0
; COMPUTE_PGM_RSRC2:TGID_Z_EN: 0
; COMPUTE_PGM_RSRC2:TIDIG_COMP_CNT: 0
	.section	.text._ZN9rocsparseL33bsr2csr_block_per_row_8_32_kernelILj1024ELj8EdiiEEv20rocsparse_direction_T3_S2_21rocsparse_index_base_PKT1_PKT2_PKS2_S2_S3_PS4_PS7_PS2_,"axG",@progbits,_ZN9rocsparseL33bsr2csr_block_per_row_8_32_kernelILj1024ELj8EdiiEEv20rocsparse_direction_T3_S2_21rocsparse_index_base_PKT1_PKT2_PKS2_S2_S3_PS4_PS7_PS2_,comdat
	.globl	_ZN9rocsparseL33bsr2csr_block_per_row_8_32_kernelILj1024ELj8EdiiEEv20rocsparse_direction_T3_S2_21rocsparse_index_base_PKT1_PKT2_PKS2_S2_S3_PS4_PS7_PS2_ ; -- Begin function _ZN9rocsparseL33bsr2csr_block_per_row_8_32_kernelILj1024ELj8EdiiEEv20rocsparse_direction_T3_S2_21rocsparse_index_base_PKT1_PKT2_PKS2_S2_S3_PS4_PS7_PS2_
	.p2align	8
	.type	_ZN9rocsparseL33bsr2csr_block_per_row_8_32_kernelILj1024ELj8EdiiEEv20rocsparse_direction_T3_S2_21rocsparse_index_base_PKT1_PKT2_PKS2_S2_S3_PS4_PS7_PS2_,@function
_ZN9rocsparseL33bsr2csr_block_per_row_8_32_kernelILj1024ELj8EdiiEEv20rocsparse_direction_T3_S2_21rocsparse_index_base_PKT1_PKT2_PKS2_S2_S3_PS4_PS7_PS2_: ; @_ZN9rocsparseL33bsr2csr_block_per_row_8_32_kernelILj1024ELj8EdiiEEv20rocsparse_direction_T3_S2_21rocsparse_index_base_PKT1_PKT2_PKS2_S2_S3_PS4_PS7_PS2_
; %bb.0:
	s_clause 0x1
	s_load_b64 s[2:3], s[0:1], 0x28
	s_load_b64 s[4:5], s[0:1], 0x38
	s_bfe_u32 s6, ttmp6, 0x4000c
	s_and_b32 s7, ttmp6, 15
	s_add_co_i32 s6, s6, 1
	s_getreg_b32 s8, hwreg(HW_REG_IB_STS2, 6, 4)
	s_mul_i32 s6, ttmp9, s6
	s_delay_alu instid0(SALU_CYCLE_1) | instskip(SKIP_4) | instid1(VALU_DEP_1)
	s_add_co_i32 s7, s7, s6
	s_cmp_eq_u32 s8, 0
	s_cselect_b32 s6, ttmp9, s7
	s_mov_b32 s7, exec_lo
	v_or_b32_e32 v1, s6, v0
	v_cmpx_eq_u32_e32 0, v1
	s_cbranch_execz .LBB215_2
; %bb.1:
	s_wait_kmcnt 0x0
	v_dual_mov_b32 v1, 0 :: v_dual_mov_b32 v2, s3
	global_store_b32 v1, v2, s[4:5]
.LBB215_2:
	s_wait_xcnt 0x0
	s_or_b32 exec_lo, exec_lo, s7
	v_and_b32_e32 v1, 7, v0
	v_bfe_u32 v2, v0, 3, 3
	s_mov_b32 s7, exec_lo
	s_delay_alu instid0(VALU_DEP_1) | instskip(SKIP_1) | instid1(VALU_DEP_1)
	v_max_i32_e32 v3, v2, v1
	s_wait_kmcnt 0x0
	v_cmpx_gt_i32_e64 s2, v3
	s_cbranch_execz .LBB215_6
; %bb.3:
	s_clause 0x1
	s_load_b64 s[8:9], s[0:1], 0x18
	s_load_b32 s10, s[0:1], 0xc
	s_ashr_i32 s7, s6, 31
	v_lshrrev_b32_e32 v3, 6, v0
	s_lshl_b64 s[12:13], s[6:7], 2
	v_mad_u32 v5, s2, s6, v2
	s_wait_kmcnt 0x0
	s_add_nc_u64 s[8:9], s[8:9], s[12:13]
	s_load_b64 s[12:13], s[8:9], 0x0
	s_wait_kmcnt 0x0
	s_sub_co_i32 s8, s12, s10
	s_sub_co_i32 s11, s13, s10
	s_mul_i32 s12, s2, s2
	s_sub_co_i32 s13, s11, s8
	s_mul_i32 s9, s8, s12
	s_mul_i32 s7, s13, s2
	v_add_nc_u32_e32 v0, s8, v3
	s_add_co_i32 s14, s7, s3
	s_delay_alu instid0(SALU_CYCLE_1) | instskip(NEXT) | instid1(SALU_CYCLE_1)
	s_add_co_i32 s14, s14, s9
	v_mad_u32 v4, s7, v2, s14
	s_delay_alu instid0(VALU_DEP_2)
	v_cmp_gt_i32_e32 vcc_lo, s11, v0
	global_store_b32 v5, v4, s[4:5] offset:4 scale_offset
	s_wait_xcnt 0x0
	s_and_b32 exec_lo, exec_lo, vcc_lo
	s_cbranch_execz .LBB215_6
; %bb.4:
	s_clause 0x2
	s_load_b64 s[4:5], s[0:1], 0x20
	s_load_b64 s[6:7], s[0:1], 0x30
	s_load_b32 s14, s[0:1], 0x0
	v_mad_u32 v3, s2, s8, v3
	v_mad_u32 v4, s2, v1, v2
	;; [unrolled: 1-line block ×3, first 2 shown]
	s_load_b64 s[8:9], s[0:1], 0x10
	s_delay_alu instid0(VALU_DEP_3)
	v_mad_u32 v3, s13, v2, v3
	s_wait_xcnt 0x0
	s_load_b64 s[0:1], s[0:1], 0x40
	s_wait_kmcnt 0x0
	s_cmp_eq_u32 s14, 0
	s_cselect_b32 vcc_lo, -1, 0
	s_delay_alu instid0(VALU_DEP_1) | instskip(NEXT) | instid1(VALU_DEP_3)
	v_mad_u32 v3, s2, v3, v1
	v_cndmask_b32_e32 v2, v4, v5, vcc_lo
	v_add_nc_u32_e32 v1, s3, v1
	s_mov_b32 s3, 0
	s_lshl_b32 s13, s2, 4
	s_delay_alu instid0(VALU_DEP_2)
	v_mad_u32 v2, s12, v0, v2
	s_lshl_b32 s12, s12, 4
.LBB215_5:                              ; =>This Inner Loop Header: Depth=1
	global_load_b32 v6, v0, s[4:5] scale_offset
	global_load_b64 v[4:5], v2, s[8:9] scale_offset
	s_wait_xcnt 0x0
	v_dual_add_nc_u32 v0, 16, v0 :: v_dual_add_nc_u32 v2, s12, v2
	s_delay_alu instid0(VALU_DEP_1) | instskip(SKIP_3) | instid1(VALU_DEP_1)
	v_cmp_le_i32_e32 vcc_lo, s11, v0
	s_or_b32 s3, vcc_lo, s3
	s_wait_loadcnt 0x1
	v_subrev_nc_u32_e32 v6, s10, v6
	v_mad_u32 v6, v6, s2, v1
	global_store_b32 v3, v6, s[0:1] scale_offset
	s_wait_loadcnt 0x0
	global_store_b64 v3, v[4:5], s[6:7] scale_offset
	s_wait_xcnt 0x0
	v_add_nc_u32_e32 v3, s13, v3
	s_and_not1_b32 exec_lo, exec_lo, s3
	s_cbranch_execnz .LBB215_5
.LBB215_6:
	s_endpgm
	.section	.rodata,"a",@progbits
	.p2align	6, 0x0
	.amdhsa_kernel _ZN9rocsparseL33bsr2csr_block_per_row_8_32_kernelILj1024ELj8EdiiEEv20rocsparse_direction_T3_S2_21rocsparse_index_base_PKT1_PKT2_PKS2_S2_S3_PS4_PS7_PS2_
		.amdhsa_group_segment_fixed_size 0
		.amdhsa_private_segment_fixed_size 0
		.amdhsa_kernarg_size 72
		.amdhsa_user_sgpr_count 2
		.amdhsa_user_sgpr_dispatch_ptr 0
		.amdhsa_user_sgpr_queue_ptr 0
		.amdhsa_user_sgpr_kernarg_segment_ptr 1
		.amdhsa_user_sgpr_dispatch_id 0
		.amdhsa_user_sgpr_kernarg_preload_length 0
		.amdhsa_user_sgpr_kernarg_preload_offset 0
		.amdhsa_user_sgpr_private_segment_size 0
		.amdhsa_wavefront_size32 1
		.amdhsa_uses_dynamic_stack 0
		.amdhsa_enable_private_segment 0
		.amdhsa_system_sgpr_workgroup_id_x 1
		.amdhsa_system_sgpr_workgroup_id_y 0
		.amdhsa_system_sgpr_workgroup_id_z 0
		.amdhsa_system_sgpr_workgroup_info 0
		.amdhsa_system_vgpr_workitem_id 0
		.amdhsa_next_free_vgpr 7
		.amdhsa_next_free_sgpr 15
		.amdhsa_named_barrier_count 0
		.amdhsa_reserve_vcc 1
		.amdhsa_float_round_mode_32 0
		.amdhsa_float_round_mode_16_64 0
		.amdhsa_float_denorm_mode_32 3
		.amdhsa_float_denorm_mode_16_64 3
		.amdhsa_fp16_overflow 0
		.amdhsa_memory_ordered 1
		.amdhsa_forward_progress 1
		.amdhsa_inst_pref_size 5
		.amdhsa_round_robin_scheduling 0
		.amdhsa_exception_fp_ieee_invalid_op 0
		.amdhsa_exception_fp_denorm_src 0
		.amdhsa_exception_fp_ieee_div_zero 0
		.amdhsa_exception_fp_ieee_overflow 0
		.amdhsa_exception_fp_ieee_underflow 0
		.amdhsa_exception_fp_ieee_inexact 0
		.amdhsa_exception_int_div_zero 0
	.end_amdhsa_kernel
	.section	.text._ZN9rocsparseL33bsr2csr_block_per_row_8_32_kernelILj1024ELj8EdiiEEv20rocsparse_direction_T3_S2_21rocsparse_index_base_PKT1_PKT2_PKS2_S2_S3_PS4_PS7_PS2_,"axG",@progbits,_ZN9rocsparseL33bsr2csr_block_per_row_8_32_kernelILj1024ELj8EdiiEEv20rocsparse_direction_T3_S2_21rocsparse_index_base_PKT1_PKT2_PKS2_S2_S3_PS4_PS7_PS2_,comdat
.Lfunc_end215:
	.size	_ZN9rocsparseL33bsr2csr_block_per_row_8_32_kernelILj1024ELj8EdiiEEv20rocsparse_direction_T3_S2_21rocsparse_index_base_PKT1_PKT2_PKS2_S2_S3_PS4_PS7_PS2_, .Lfunc_end215-_ZN9rocsparseL33bsr2csr_block_per_row_8_32_kernelILj1024ELj8EdiiEEv20rocsparse_direction_T3_S2_21rocsparse_index_base_PKT1_PKT2_PKS2_S2_S3_PS4_PS7_PS2_
                                        ; -- End function
	.set _ZN9rocsparseL33bsr2csr_block_per_row_8_32_kernelILj1024ELj8EdiiEEv20rocsparse_direction_T3_S2_21rocsparse_index_base_PKT1_PKT2_PKS2_S2_S3_PS4_PS7_PS2_.num_vgpr, 7
	.set _ZN9rocsparseL33bsr2csr_block_per_row_8_32_kernelILj1024ELj8EdiiEEv20rocsparse_direction_T3_S2_21rocsparse_index_base_PKT1_PKT2_PKS2_S2_S3_PS4_PS7_PS2_.num_agpr, 0
	.set _ZN9rocsparseL33bsr2csr_block_per_row_8_32_kernelILj1024ELj8EdiiEEv20rocsparse_direction_T3_S2_21rocsparse_index_base_PKT1_PKT2_PKS2_S2_S3_PS4_PS7_PS2_.numbered_sgpr, 15
	.set _ZN9rocsparseL33bsr2csr_block_per_row_8_32_kernelILj1024ELj8EdiiEEv20rocsparse_direction_T3_S2_21rocsparse_index_base_PKT1_PKT2_PKS2_S2_S3_PS4_PS7_PS2_.num_named_barrier, 0
	.set _ZN9rocsparseL33bsr2csr_block_per_row_8_32_kernelILj1024ELj8EdiiEEv20rocsparse_direction_T3_S2_21rocsparse_index_base_PKT1_PKT2_PKS2_S2_S3_PS4_PS7_PS2_.private_seg_size, 0
	.set _ZN9rocsparseL33bsr2csr_block_per_row_8_32_kernelILj1024ELj8EdiiEEv20rocsparse_direction_T3_S2_21rocsparse_index_base_PKT1_PKT2_PKS2_S2_S3_PS4_PS7_PS2_.uses_vcc, 1
	.set _ZN9rocsparseL33bsr2csr_block_per_row_8_32_kernelILj1024ELj8EdiiEEv20rocsparse_direction_T3_S2_21rocsparse_index_base_PKT1_PKT2_PKS2_S2_S3_PS4_PS7_PS2_.uses_flat_scratch, 0
	.set _ZN9rocsparseL33bsr2csr_block_per_row_8_32_kernelILj1024ELj8EdiiEEv20rocsparse_direction_T3_S2_21rocsparse_index_base_PKT1_PKT2_PKS2_S2_S3_PS4_PS7_PS2_.has_dyn_sized_stack, 0
	.set _ZN9rocsparseL33bsr2csr_block_per_row_8_32_kernelILj1024ELj8EdiiEEv20rocsparse_direction_T3_S2_21rocsparse_index_base_PKT1_PKT2_PKS2_S2_S3_PS4_PS7_PS2_.has_recursion, 0
	.set _ZN9rocsparseL33bsr2csr_block_per_row_8_32_kernelILj1024ELj8EdiiEEv20rocsparse_direction_T3_S2_21rocsparse_index_base_PKT1_PKT2_PKS2_S2_S3_PS4_PS7_PS2_.has_indirect_call, 0
	.section	.AMDGPU.csdata,"",@progbits
; Kernel info:
; codeLenInByte = 544
; TotalNumSgprs: 17
; NumVgprs: 7
; ScratchSize: 0
; MemoryBound: 0
; FloatMode: 240
; IeeeMode: 1
; LDSByteSize: 0 bytes/workgroup (compile time only)
; SGPRBlocks: 0
; VGPRBlocks: 0
; NumSGPRsForWavesPerEU: 17
; NumVGPRsForWavesPerEU: 7
; NamedBarCnt: 0
; Occupancy: 16
; WaveLimiterHint : 0
; COMPUTE_PGM_RSRC2:SCRATCH_EN: 0
; COMPUTE_PGM_RSRC2:USER_SGPR: 2
; COMPUTE_PGM_RSRC2:TRAP_HANDLER: 0
; COMPUTE_PGM_RSRC2:TGID_X_EN: 1
; COMPUTE_PGM_RSRC2:TGID_Y_EN: 0
; COMPUTE_PGM_RSRC2:TGID_Z_EN: 0
; COMPUTE_PGM_RSRC2:TIDIG_COMP_CNT: 0
	.section	.text._ZN9rocsparseL33bsr2csr_block_per_row_8_32_kernelILj1024ELj16EdiiEEv20rocsparse_direction_T3_S2_21rocsparse_index_base_PKT1_PKT2_PKS2_S2_S3_PS4_PS7_PS2_,"axG",@progbits,_ZN9rocsparseL33bsr2csr_block_per_row_8_32_kernelILj1024ELj16EdiiEEv20rocsparse_direction_T3_S2_21rocsparse_index_base_PKT1_PKT2_PKS2_S2_S3_PS4_PS7_PS2_,comdat
	.globl	_ZN9rocsparseL33bsr2csr_block_per_row_8_32_kernelILj1024ELj16EdiiEEv20rocsparse_direction_T3_S2_21rocsparse_index_base_PKT1_PKT2_PKS2_S2_S3_PS4_PS7_PS2_ ; -- Begin function _ZN9rocsparseL33bsr2csr_block_per_row_8_32_kernelILj1024ELj16EdiiEEv20rocsparse_direction_T3_S2_21rocsparse_index_base_PKT1_PKT2_PKS2_S2_S3_PS4_PS7_PS2_
	.p2align	8
	.type	_ZN9rocsparseL33bsr2csr_block_per_row_8_32_kernelILj1024ELj16EdiiEEv20rocsparse_direction_T3_S2_21rocsparse_index_base_PKT1_PKT2_PKS2_S2_S3_PS4_PS7_PS2_,@function
_ZN9rocsparseL33bsr2csr_block_per_row_8_32_kernelILj1024ELj16EdiiEEv20rocsparse_direction_T3_S2_21rocsparse_index_base_PKT1_PKT2_PKS2_S2_S3_PS4_PS7_PS2_: ; @_ZN9rocsparseL33bsr2csr_block_per_row_8_32_kernelILj1024ELj16EdiiEEv20rocsparse_direction_T3_S2_21rocsparse_index_base_PKT1_PKT2_PKS2_S2_S3_PS4_PS7_PS2_
; %bb.0:
	s_clause 0x1
	s_load_b64 s[2:3], s[0:1], 0x28
	s_load_b64 s[4:5], s[0:1], 0x38
	s_bfe_u32 s6, ttmp6, 0x4000c
	s_and_b32 s7, ttmp6, 15
	s_add_co_i32 s6, s6, 1
	s_getreg_b32 s8, hwreg(HW_REG_IB_STS2, 6, 4)
	s_mul_i32 s6, ttmp9, s6
	s_delay_alu instid0(SALU_CYCLE_1) | instskip(SKIP_4) | instid1(VALU_DEP_1)
	s_add_co_i32 s7, s7, s6
	s_cmp_eq_u32 s8, 0
	s_cselect_b32 s6, ttmp9, s7
	s_mov_b32 s7, exec_lo
	v_or_b32_e32 v1, s6, v0
	v_cmpx_eq_u32_e32 0, v1
	s_cbranch_execz .LBB216_2
; %bb.1:
	s_wait_kmcnt 0x0
	v_dual_mov_b32 v1, 0 :: v_dual_mov_b32 v2, s3
	global_store_b32 v1, v2, s[4:5]
.LBB216_2:
	s_wait_xcnt 0x0
	s_or_b32 exec_lo, exec_lo, s7
	v_and_b32_e32 v1, 15, v0
	v_bfe_u32 v2, v0, 4, 4
	s_mov_b32 s7, exec_lo
	s_delay_alu instid0(VALU_DEP_1) | instskip(SKIP_1) | instid1(VALU_DEP_1)
	v_max_i32_e32 v3, v2, v1
	s_wait_kmcnt 0x0
	v_cmpx_gt_i32_e64 s2, v3
	s_cbranch_execz .LBB216_6
; %bb.3:
	s_clause 0x1
	s_load_b64 s[8:9], s[0:1], 0x18
	s_load_b32 s10, s[0:1], 0xc
	s_ashr_i32 s7, s6, 31
	v_lshrrev_b32_e32 v3, 8, v0
	s_lshl_b64 s[12:13], s[6:7], 2
	v_mad_u32 v5, s2, s6, v2
	s_wait_kmcnt 0x0
	s_add_nc_u64 s[8:9], s[8:9], s[12:13]
	s_load_b64 s[12:13], s[8:9], 0x0
	s_wait_kmcnt 0x0
	s_sub_co_i32 s8, s12, s10
	s_sub_co_i32 s11, s13, s10
	s_mul_i32 s12, s2, s2
	s_sub_co_i32 s13, s11, s8
	s_mul_i32 s9, s8, s12
	s_mul_i32 s7, s13, s2
	v_add_nc_u32_e32 v0, s8, v3
	s_add_co_i32 s14, s7, s3
	s_delay_alu instid0(SALU_CYCLE_1) | instskip(NEXT) | instid1(SALU_CYCLE_1)
	s_add_co_i32 s14, s14, s9
	v_mad_u32 v4, s7, v2, s14
	s_delay_alu instid0(VALU_DEP_2)
	v_cmp_gt_i32_e32 vcc_lo, s11, v0
	global_store_b32 v5, v4, s[4:5] offset:4 scale_offset
	s_wait_xcnt 0x0
	s_and_b32 exec_lo, exec_lo, vcc_lo
	s_cbranch_execz .LBB216_6
; %bb.4:
	s_clause 0x2
	s_load_b64 s[4:5], s[0:1], 0x20
	s_load_b64 s[6:7], s[0:1], 0x30
	s_load_b32 s14, s[0:1], 0x0
	v_mad_u32 v3, s2, s8, v3
	v_mad_u32 v4, s2, v1, v2
	;; [unrolled: 1-line block ×3, first 2 shown]
	s_load_b64 s[8:9], s[0:1], 0x10
	s_delay_alu instid0(VALU_DEP_3)
	v_mad_u32 v3, s13, v2, v3
	s_wait_xcnt 0x0
	s_load_b64 s[0:1], s[0:1], 0x40
	s_wait_kmcnt 0x0
	s_cmp_eq_u32 s14, 0
	s_cselect_b32 vcc_lo, -1, 0
	s_delay_alu instid0(VALU_DEP_1) | instskip(NEXT) | instid1(VALU_DEP_3)
	v_mad_u32 v3, s2, v3, v1
	v_cndmask_b32_e32 v2, v4, v5, vcc_lo
	v_add_nc_u32_e32 v1, s3, v1
	s_mov_b32 s3, 0
	s_lshl_b32 s13, s2, 2
	s_delay_alu instid0(VALU_DEP_2)
	v_mad_u32 v2, s12, v0, v2
	s_lshl_b32 s12, s12, 2
.LBB216_5:                              ; =>This Inner Loop Header: Depth=1
	global_load_b32 v6, v0, s[4:5] scale_offset
	global_load_b64 v[4:5], v2, s[8:9] scale_offset
	s_wait_xcnt 0x0
	v_dual_add_nc_u32 v0, 4, v0 :: v_dual_add_nc_u32 v2, s12, v2
	s_delay_alu instid0(VALU_DEP_1) | instskip(SKIP_3) | instid1(VALU_DEP_1)
	v_cmp_le_i32_e32 vcc_lo, s11, v0
	s_or_b32 s3, vcc_lo, s3
	s_wait_loadcnt 0x1
	v_subrev_nc_u32_e32 v6, s10, v6
	v_mad_u32 v6, v6, s2, v1
	global_store_b32 v3, v6, s[0:1] scale_offset
	s_wait_loadcnt 0x0
	global_store_b64 v3, v[4:5], s[6:7] scale_offset
	s_wait_xcnt 0x0
	v_add_nc_u32_e32 v3, s13, v3
	s_and_not1_b32 exec_lo, exec_lo, s3
	s_cbranch_execnz .LBB216_5
.LBB216_6:
	s_endpgm
	.section	.rodata,"a",@progbits
	.p2align	6, 0x0
	.amdhsa_kernel _ZN9rocsparseL33bsr2csr_block_per_row_8_32_kernelILj1024ELj16EdiiEEv20rocsparse_direction_T3_S2_21rocsparse_index_base_PKT1_PKT2_PKS2_S2_S3_PS4_PS7_PS2_
		.amdhsa_group_segment_fixed_size 0
		.amdhsa_private_segment_fixed_size 0
		.amdhsa_kernarg_size 72
		.amdhsa_user_sgpr_count 2
		.amdhsa_user_sgpr_dispatch_ptr 0
		.amdhsa_user_sgpr_queue_ptr 0
		.amdhsa_user_sgpr_kernarg_segment_ptr 1
		.amdhsa_user_sgpr_dispatch_id 0
		.amdhsa_user_sgpr_kernarg_preload_length 0
		.amdhsa_user_sgpr_kernarg_preload_offset 0
		.amdhsa_user_sgpr_private_segment_size 0
		.amdhsa_wavefront_size32 1
		.amdhsa_uses_dynamic_stack 0
		.amdhsa_enable_private_segment 0
		.amdhsa_system_sgpr_workgroup_id_x 1
		.amdhsa_system_sgpr_workgroup_id_y 0
		.amdhsa_system_sgpr_workgroup_id_z 0
		.amdhsa_system_sgpr_workgroup_info 0
		.amdhsa_system_vgpr_workitem_id 0
		.amdhsa_next_free_vgpr 7
		.amdhsa_next_free_sgpr 15
		.amdhsa_named_barrier_count 0
		.amdhsa_reserve_vcc 1
		.amdhsa_float_round_mode_32 0
		.amdhsa_float_round_mode_16_64 0
		.amdhsa_float_denorm_mode_32 3
		.amdhsa_float_denorm_mode_16_64 3
		.amdhsa_fp16_overflow 0
		.amdhsa_memory_ordered 1
		.amdhsa_forward_progress 1
		.amdhsa_inst_pref_size 5
		.amdhsa_round_robin_scheduling 0
		.amdhsa_exception_fp_ieee_invalid_op 0
		.amdhsa_exception_fp_denorm_src 0
		.amdhsa_exception_fp_ieee_div_zero 0
		.amdhsa_exception_fp_ieee_overflow 0
		.amdhsa_exception_fp_ieee_underflow 0
		.amdhsa_exception_fp_ieee_inexact 0
		.amdhsa_exception_int_div_zero 0
	.end_amdhsa_kernel
	.section	.text._ZN9rocsparseL33bsr2csr_block_per_row_8_32_kernelILj1024ELj16EdiiEEv20rocsparse_direction_T3_S2_21rocsparse_index_base_PKT1_PKT2_PKS2_S2_S3_PS4_PS7_PS2_,"axG",@progbits,_ZN9rocsparseL33bsr2csr_block_per_row_8_32_kernelILj1024ELj16EdiiEEv20rocsparse_direction_T3_S2_21rocsparse_index_base_PKT1_PKT2_PKS2_S2_S3_PS4_PS7_PS2_,comdat
.Lfunc_end216:
	.size	_ZN9rocsparseL33bsr2csr_block_per_row_8_32_kernelILj1024ELj16EdiiEEv20rocsparse_direction_T3_S2_21rocsparse_index_base_PKT1_PKT2_PKS2_S2_S3_PS4_PS7_PS2_, .Lfunc_end216-_ZN9rocsparseL33bsr2csr_block_per_row_8_32_kernelILj1024ELj16EdiiEEv20rocsparse_direction_T3_S2_21rocsparse_index_base_PKT1_PKT2_PKS2_S2_S3_PS4_PS7_PS2_
                                        ; -- End function
	.set _ZN9rocsparseL33bsr2csr_block_per_row_8_32_kernelILj1024ELj16EdiiEEv20rocsparse_direction_T3_S2_21rocsparse_index_base_PKT1_PKT2_PKS2_S2_S3_PS4_PS7_PS2_.num_vgpr, 7
	.set _ZN9rocsparseL33bsr2csr_block_per_row_8_32_kernelILj1024ELj16EdiiEEv20rocsparse_direction_T3_S2_21rocsparse_index_base_PKT1_PKT2_PKS2_S2_S3_PS4_PS7_PS2_.num_agpr, 0
	.set _ZN9rocsparseL33bsr2csr_block_per_row_8_32_kernelILj1024ELj16EdiiEEv20rocsparse_direction_T3_S2_21rocsparse_index_base_PKT1_PKT2_PKS2_S2_S3_PS4_PS7_PS2_.numbered_sgpr, 15
	.set _ZN9rocsparseL33bsr2csr_block_per_row_8_32_kernelILj1024ELj16EdiiEEv20rocsparse_direction_T3_S2_21rocsparse_index_base_PKT1_PKT2_PKS2_S2_S3_PS4_PS7_PS2_.num_named_barrier, 0
	.set _ZN9rocsparseL33bsr2csr_block_per_row_8_32_kernelILj1024ELj16EdiiEEv20rocsparse_direction_T3_S2_21rocsparse_index_base_PKT1_PKT2_PKS2_S2_S3_PS4_PS7_PS2_.private_seg_size, 0
	.set _ZN9rocsparseL33bsr2csr_block_per_row_8_32_kernelILj1024ELj16EdiiEEv20rocsparse_direction_T3_S2_21rocsparse_index_base_PKT1_PKT2_PKS2_S2_S3_PS4_PS7_PS2_.uses_vcc, 1
	.set _ZN9rocsparseL33bsr2csr_block_per_row_8_32_kernelILj1024ELj16EdiiEEv20rocsparse_direction_T3_S2_21rocsparse_index_base_PKT1_PKT2_PKS2_S2_S3_PS4_PS7_PS2_.uses_flat_scratch, 0
	.set _ZN9rocsparseL33bsr2csr_block_per_row_8_32_kernelILj1024ELj16EdiiEEv20rocsparse_direction_T3_S2_21rocsparse_index_base_PKT1_PKT2_PKS2_S2_S3_PS4_PS7_PS2_.has_dyn_sized_stack, 0
	.set _ZN9rocsparseL33bsr2csr_block_per_row_8_32_kernelILj1024ELj16EdiiEEv20rocsparse_direction_T3_S2_21rocsparse_index_base_PKT1_PKT2_PKS2_S2_S3_PS4_PS7_PS2_.has_recursion, 0
	.set _ZN9rocsparseL33bsr2csr_block_per_row_8_32_kernelILj1024ELj16EdiiEEv20rocsparse_direction_T3_S2_21rocsparse_index_base_PKT1_PKT2_PKS2_S2_S3_PS4_PS7_PS2_.has_indirect_call, 0
	.section	.AMDGPU.csdata,"",@progbits
; Kernel info:
; codeLenInByte = 544
; TotalNumSgprs: 17
; NumVgprs: 7
; ScratchSize: 0
; MemoryBound: 0
; FloatMode: 240
; IeeeMode: 1
; LDSByteSize: 0 bytes/workgroup (compile time only)
; SGPRBlocks: 0
; VGPRBlocks: 0
; NumSGPRsForWavesPerEU: 17
; NumVGPRsForWavesPerEU: 7
; NamedBarCnt: 0
; Occupancy: 16
; WaveLimiterHint : 0
; COMPUTE_PGM_RSRC2:SCRATCH_EN: 0
; COMPUTE_PGM_RSRC2:USER_SGPR: 2
; COMPUTE_PGM_RSRC2:TRAP_HANDLER: 0
; COMPUTE_PGM_RSRC2:TGID_X_EN: 1
; COMPUTE_PGM_RSRC2:TGID_Y_EN: 0
; COMPUTE_PGM_RSRC2:TGID_Z_EN: 0
; COMPUTE_PGM_RSRC2:TIDIG_COMP_CNT: 0
	.section	.text._ZN9rocsparseL33bsr2csr_block_per_row_8_32_kernelILj1024ELj32EdiiEEv20rocsparse_direction_T3_S2_21rocsparse_index_base_PKT1_PKT2_PKS2_S2_S3_PS4_PS7_PS2_,"axG",@progbits,_ZN9rocsparseL33bsr2csr_block_per_row_8_32_kernelILj1024ELj32EdiiEEv20rocsparse_direction_T3_S2_21rocsparse_index_base_PKT1_PKT2_PKS2_S2_S3_PS4_PS7_PS2_,comdat
	.globl	_ZN9rocsparseL33bsr2csr_block_per_row_8_32_kernelILj1024ELj32EdiiEEv20rocsparse_direction_T3_S2_21rocsparse_index_base_PKT1_PKT2_PKS2_S2_S3_PS4_PS7_PS2_ ; -- Begin function _ZN9rocsparseL33bsr2csr_block_per_row_8_32_kernelILj1024ELj32EdiiEEv20rocsparse_direction_T3_S2_21rocsparse_index_base_PKT1_PKT2_PKS2_S2_S3_PS4_PS7_PS2_
	.p2align	8
	.type	_ZN9rocsparseL33bsr2csr_block_per_row_8_32_kernelILj1024ELj32EdiiEEv20rocsparse_direction_T3_S2_21rocsparse_index_base_PKT1_PKT2_PKS2_S2_S3_PS4_PS7_PS2_,@function
_ZN9rocsparseL33bsr2csr_block_per_row_8_32_kernelILj1024ELj32EdiiEEv20rocsparse_direction_T3_S2_21rocsparse_index_base_PKT1_PKT2_PKS2_S2_S3_PS4_PS7_PS2_: ; @_ZN9rocsparseL33bsr2csr_block_per_row_8_32_kernelILj1024ELj32EdiiEEv20rocsparse_direction_T3_S2_21rocsparse_index_base_PKT1_PKT2_PKS2_S2_S3_PS4_PS7_PS2_
; %bb.0:
	s_clause 0x1
	s_load_b64 s[2:3], s[0:1], 0x28
	s_load_b64 s[6:7], s[0:1], 0x38
	s_bfe_u32 s4, ttmp6, 0x4000c
	s_and_b32 s5, ttmp6, 15
	s_add_co_i32 s4, s4, 1
	s_getreg_b32 s8, hwreg(HW_REG_IB_STS2, 6, 4)
	s_mul_i32 s4, ttmp9, s4
	s_delay_alu instid0(SALU_CYCLE_1) | instskip(SKIP_3) | instid1(SALU_CYCLE_1)
	s_add_co_i32 s5, s5, s4
	s_cmp_eq_u32 s8, 0
	s_mov_b32 s4, exec_lo
	s_cselect_b32 s8, ttmp9, s5
	v_or_b32_e32 v1, s8, v0
	s_delay_alu instid0(VALU_DEP_1)
	v_cmpx_eq_u32_e32 0, v1
	s_cbranch_execz .LBB217_2
; %bb.1:
	s_wait_kmcnt 0x0
	v_dual_mov_b32 v1, 0 :: v_dual_mov_b32 v2, s3
	global_store_b32 v1, v2, s[6:7]
.LBB217_2:
	s_wait_xcnt 0x0
	s_or_b32 exec_lo, exec_lo, s4
	v_dual_lshrrev_b32 v0, 5, v0 :: v_dual_bitop2_b32 v1, 31, v0 bitop3:0x40
	s_mov_b32 s4, exec_lo
	s_delay_alu instid0(VALU_DEP_1) | instskip(SKIP_1) | instid1(VALU_DEP_1)
	v_max_i32_e32 v2, v0, v1
	s_wait_kmcnt 0x0
	v_cmpx_gt_i32_e64 s2, v2
	s_cbranch_execz .LBB217_6
; %bb.3:
	s_clause 0x1
	s_load_b64 s[4:5], s[0:1], 0x18
	s_load_b32 s12, s[0:1], 0xc
	s_ashr_i32 s9, s8, 31
	s_mul_i32 s14, s2, s2
	s_lshl_b64 s[10:11], s[8:9], 2
	v_mad_u32 v3, s2, s8, v0
	s_wait_kmcnt 0x0
	s_add_nc_u64 s[4:5], s[4:5], s[10:11]
	s_load_b64 s[16:17], s[4:5], 0x0
	s_wait_kmcnt 0x0
	s_sub_co_i32 s4, s16, s12
	s_sub_co_i32 s13, s17, s12
	s_mul_i32 s10, s4, s14
	s_sub_co_i32 s5, s13, s4
	s_delay_alu instid0(SALU_CYCLE_1) | instskip(NEXT) | instid1(SALU_CYCLE_1)
	s_mul_i32 s9, s5, s2
	s_add_co_i32 s11, s9, s3
	s_delay_alu instid0(SALU_CYCLE_1)
	s_add_co_i32 s11, s11, s10
	s_cmp_ge_i32 s16, s17
	v_mad_u32 v2, s9, v0, s11
	global_store_b32 v3, v2, s[6:7] offset:4 scale_offset
	s_cbranch_scc1 .LBB217_6
; %bb.4:
	s_wait_xcnt 0x0
	v_mul_lo_u32 v2, v0, s5
	s_clause 0x3
	s_load_b64 s[16:17], s[0:1], 0x20
	s_load_b32 s5, s[0:1], 0x0
	s_load_b64 s[6:7], s[0:1], 0x10
	s_load_b64 s[8:9], s[0:1], 0x30
	v_mad_u32 v3, s2, v1, v0
	v_mad_u32 v4, s2, v0, v1
	s_wait_xcnt 0x0
	s_load_b64 s[0:1], s[0:1], 0x40
	s_delay_alu instid0(VALU_DEP_3) | instskip(SKIP_3) | instid1(VALU_DEP_1)
	v_mad_u32 v2, s2, s4, v2
	s_wait_kmcnt 0x0
	s_cmp_eq_u32 s5, 0
	s_cselect_b32 vcc_lo, -1, 0
	v_mad_u32 v0, s2, v2, v1
	s_delay_alu instid0(VALU_DEP_3) | instskip(SKIP_1) | instid1(VALU_DEP_1)
	v_dual_cndmask_b32 v2, v3, v4 :: v_dual_add_nc_u32 v1, s3, v1
	s_ashr_i32 s5, s4, 31
	v_add_nc_u32_e32 v2, s10, v2
	s_lshl_b64 s[10:11], s[4:5], 2
	s_delay_alu instid0(SALU_CYCLE_1)
	s_add_nc_u64 s[10:11], s[16:17], s[10:11]
.LBB217_5:                              ; =>This Inner Loop Header: Depth=1
	global_load_b64 v[4:5], v2, s[6:7] scale_offset
	s_load_b32 s3, s[10:11], 0x0
	v_add_nc_u32_e32 v2, s14, v2
	s_add_co_i32 s4, s4, 1
	s_wait_xcnt 0x0
	s_add_nc_u64 s[10:11], s[10:11], 4
	s_wait_kmcnt 0x0
	s_sub_co_i32 s3, s3, s12
	s_cmp_lt_i32 s4, s13
	v_mad_u32 v3, s3, s2, v1
	global_store_b32 v0, v3, s[0:1] scale_offset
	s_wait_loadcnt 0x0
	global_store_b64 v0, v[4:5], s[8:9] scale_offset
	s_wait_xcnt 0x0
	v_add_nc_u32_e32 v0, s2, v0
	s_cbranch_scc1 .LBB217_5
.LBB217_6:
	s_endpgm
	.section	.rodata,"a",@progbits
	.p2align	6, 0x0
	.amdhsa_kernel _ZN9rocsparseL33bsr2csr_block_per_row_8_32_kernelILj1024ELj32EdiiEEv20rocsparse_direction_T3_S2_21rocsparse_index_base_PKT1_PKT2_PKS2_S2_S3_PS4_PS7_PS2_
		.amdhsa_group_segment_fixed_size 0
		.amdhsa_private_segment_fixed_size 0
		.amdhsa_kernarg_size 72
		.amdhsa_user_sgpr_count 2
		.amdhsa_user_sgpr_dispatch_ptr 0
		.amdhsa_user_sgpr_queue_ptr 0
		.amdhsa_user_sgpr_kernarg_segment_ptr 1
		.amdhsa_user_sgpr_dispatch_id 0
		.amdhsa_user_sgpr_kernarg_preload_length 0
		.amdhsa_user_sgpr_kernarg_preload_offset 0
		.amdhsa_user_sgpr_private_segment_size 0
		.amdhsa_wavefront_size32 1
		.amdhsa_uses_dynamic_stack 0
		.amdhsa_enable_private_segment 0
		.amdhsa_system_sgpr_workgroup_id_x 1
		.amdhsa_system_sgpr_workgroup_id_y 0
		.amdhsa_system_sgpr_workgroup_id_z 0
		.amdhsa_system_sgpr_workgroup_info 0
		.amdhsa_system_vgpr_workitem_id 0
		.amdhsa_next_free_vgpr 6
		.amdhsa_next_free_sgpr 18
		.amdhsa_named_barrier_count 0
		.amdhsa_reserve_vcc 1
		.amdhsa_float_round_mode_32 0
		.amdhsa_float_round_mode_16_64 0
		.amdhsa_float_denorm_mode_32 3
		.amdhsa_float_denorm_mode_16_64 3
		.amdhsa_fp16_overflow 0
		.amdhsa_memory_ordered 1
		.amdhsa_forward_progress 1
		.amdhsa_inst_pref_size 5
		.amdhsa_round_robin_scheduling 0
		.amdhsa_exception_fp_ieee_invalid_op 0
		.amdhsa_exception_fp_denorm_src 0
		.amdhsa_exception_fp_ieee_div_zero 0
		.amdhsa_exception_fp_ieee_overflow 0
		.amdhsa_exception_fp_ieee_underflow 0
		.amdhsa_exception_fp_ieee_inexact 0
		.amdhsa_exception_int_div_zero 0
	.end_amdhsa_kernel
	.section	.text._ZN9rocsparseL33bsr2csr_block_per_row_8_32_kernelILj1024ELj32EdiiEEv20rocsparse_direction_T3_S2_21rocsparse_index_base_PKT1_PKT2_PKS2_S2_S3_PS4_PS7_PS2_,"axG",@progbits,_ZN9rocsparseL33bsr2csr_block_per_row_8_32_kernelILj1024ELj32EdiiEEv20rocsparse_direction_T3_S2_21rocsparse_index_base_PKT1_PKT2_PKS2_S2_S3_PS4_PS7_PS2_,comdat
.Lfunc_end217:
	.size	_ZN9rocsparseL33bsr2csr_block_per_row_8_32_kernelILj1024ELj32EdiiEEv20rocsparse_direction_T3_S2_21rocsparse_index_base_PKT1_PKT2_PKS2_S2_S3_PS4_PS7_PS2_, .Lfunc_end217-_ZN9rocsparseL33bsr2csr_block_per_row_8_32_kernelILj1024ELj32EdiiEEv20rocsparse_direction_T3_S2_21rocsparse_index_base_PKT1_PKT2_PKS2_S2_S3_PS4_PS7_PS2_
                                        ; -- End function
	.set _ZN9rocsparseL33bsr2csr_block_per_row_8_32_kernelILj1024ELj32EdiiEEv20rocsparse_direction_T3_S2_21rocsparse_index_base_PKT1_PKT2_PKS2_S2_S3_PS4_PS7_PS2_.num_vgpr, 6
	.set _ZN9rocsparseL33bsr2csr_block_per_row_8_32_kernelILj1024ELj32EdiiEEv20rocsparse_direction_T3_S2_21rocsparse_index_base_PKT1_PKT2_PKS2_S2_S3_PS4_PS7_PS2_.num_agpr, 0
	.set _ZN9rocsparseL33bsr2csr_block_per_row_8_32_kernelILj1024ELj32EdiiEEv20rocsparse_direction_T3_S2_21rocsparse_index_base_PKT1_PKT2_PKS2_S2_S3_PS4_PS7_PS2_.numbered_sgpr, 18
	.set _ZN9rocsparseL33bsr2csr_block_per_row_8_32_kernelILj1024ELj32EdiiEEv20rocsparse_direction_T3_S2_21rocsparse_index_base_PKT1_PKT2_PKS2_S2_S3_PS4_PS7_PS2_.num_named_barrier, 0
	.set _ZN9rocsparseL33bsr2csr_block_per_row_8_32_kernelILj1024ELj32EdiiEEv20rocsparse_direction_T3_S2_21rocsparse_index_base_PKT1_PKT2_PKS2_S2_S3_PS4_PS7_PS2_.private_seg_size, 0
	.set _ZN9rocsparseL33bsr2csr_block_per_row_8_32_kernelILj1024ELj32EdiiEEv20rocsparse_direction_T3_S2_21rocsparse_index_base_PKT1_PKT2_PKS2_S2_S3_PS4_PS7_PS2_.uses_vcc, 1
	.set _ZN9rocsparseL33bsr2csr_block_per_row_8_32_kernelILj1024ELj32EdiiEEv20rocsparse_direction_T3_S2_21rocsparse_index_base_PKT1_PKT2_PKS2_S2_S3_PS4_PS7_PS2_.uses_flat_scratch, 0
	.set _ZN9rocsparseL33bsr2csr_block_per_row_8_32_kernelILj1024ELj32EdiiEEv20rocsparse_direction_T3_S2_21rocsparse_index_base_PKT1_PKT2_PKS2_S2_S3_PS4_PS7_PS2_.has_dyn_sized_stack, 0
	.set _ZN9rocsparseL33bsr2csr_block_per_row_8_32_kernelILj1024ELj32EdiiEEv20rocsparse_direction_T3_S2_21rocsparse_index_base_PKT1_PKT2_PKS2_S2_S3_PS4_PS7_PS2_.has_recursion, 0
	.set _ZN9rocsparseL33bsr2csr_block_per_row_8_32_kernelILj1024ELj32EdiiEEv20rocsparse_direction_T3_S2_21rocsparse_index_base_PKT1_PKT2_PKS2_S2_S3_PS4_PS7_PS2_.has_indirect_call, 0
	.section	.AMDGPU.csdata,"",@progbits
; Kernel info:
; codeLenInByte = 516
; TotalNumSgprs: 20
; NumVgprs: 6
; ScratchSize: 0
; MemoryBound: 0
; FloatMode: 240
; IeeeMode: 1
; LDSByteSize: 0 bytes/workgroup (compile time only)
; SGPRBlocks: 0
; VGPRBlocks: 0
; NumSGPRsForWavesPerEU: 20
; NumVGPRsForWavesPerEU: 6
; NamedBarCnt: 0
; Occupancy: 16
; WaveLimiterHint : 0
; COMPUTE_PGM_RSRC2:SCRATCH_EN: 0
; COMPUTE_PGM_RSRC2:USER_SGPR: 2
; COMPUTE_PGM_RSRC2:TRAP_HANDLER: 0
; COMPUTE_PGM_RSRC2:TGID_X_EN: 1
; COMPUTE_PGM_RSRC2:TGID_Y_EN: 0
; COMPUTE_PGM_RSRC2:TGID_Z_EN: 0
; COMPUTE_PGM_RSRC2:TIDIG_COMP_CNT: 0
	.section	.text._ZN9rocsparseL35bsr2csr_block_per_row_33_256_kernelILj1024ELj64ELj32EdiiEEv20rocsparse_direction_T4_S2_21rocsparse_index_base_PKT2_PKT3_PKS2_S2_S3_PS4_PS7_PS2_,"axG",@progbits,_ZN9rocsparseL35bsr2csr_block_per_row_33_256_kernelILj1024ELj64ELj32EdiiEEv20rocsparse_direction_T4_S2_21rocsparse_index_base_PKT2_PKT3_PKS2_S2_S3_PS4_PS7_PS2_,comdat
	.globl	_ZN9rocsparseL35bsr2csr_block_per_row_33_256_kernelILj1024ELj64ELj32EdiiEEv20rocsparse_direction_T4_S2_21rocsparse_index_base_PKT2_PKT3_PKS2_S2_S3_PS4_PS7_PS2_ ; -- Begin function _ZN9rocsparseL35bsr2csr_block_per_row_33_256_kernelILj1024ELj64ELj32EdiiEEv20rocsparse_direction_T4_S2_21rocsparse_index_base_PKT2_PKT3_PKS2_S2_S3_PS4_PS7_PS2_
	.p2align	8
	.type	_ZN9rocsparseL35bsr2csr_block_per_row_33_256_kernelILj1024ELj64ELj32EdiiEEv20rocsparse_direction_T4_S2_21rocsparse_index_base_PKT2_PKT3_PKS2_S2_S3_PS4_PS7_PS2_,@function
_ZN9rocsparseL35bsr2csr_block_per_row_33_256_kernelILj1024ELj64ELj32EdiiEEv20rocsparse_direction_T4_S2_21rocsparse_index_base_PKT2_PKT3_PKS2_S2_S3_PS4_PS7_PS2_: ; @_ZN9rocsparseL35bsr2csr_block_per_row_33_256_kernelILj1024ELj64ELj32EdiiEEv20rocsparse_direction_T4_S2_21rocsparse_index_base_PKT2_PKT3_PKS2_S2_S3_PS4_PS7_PS2_
; %bb.0:
	s_load_b64 s[2:3], s[0:1], 0x18
	s_bfe_u32 s4, ttmp6, 0x4000c
	s_and_b32 s5, ttmp6, 15
	s_add_co_i32 s4, s4, 1
	s_getreg_b32 s6, hwreg(HW_REG_IB_STS2, 6, 4)
	s_mul_i32 s4, ttmp9, s4
	s_delay_alu instid0(SALU_CYCLE_1)
	s_add_co_i32 s5, s5, s4
	s_cmp_eq_u32 s6, 0
	s_cselect_b32 s10, ttmp9, s5
	s_clause 0x1
	s_load_b64 s[4:5], s[0:1], 0x28
	s_load_b64 s[8:9], s[0:1], 0x38
	s_ashr_i32 s11, s10, 31
	v_or_b32_e32 v1, s10, v0
	s_lshl_b64 s[6:7], s[10:11], 2
	s_wait_kmcnt 0x0
	s_add_nc_u64 s[2:3], s[2:3], s[6:7]
	s_load_b64 s[14:15], s[2:3], 0x0
	s_wait_xcnt 0x0
	s_mov_b32 s2, exec_lo
	v_cmpx_eq_u32_e32 0, v1
	s_cbranch_execz .LBB218_2
; %bb.1:
	v_dual_mov_b32 v1, 0 :: v_dual_mov_b32 v2, s5
	global_store_b32 v1, v2, s[8:9]
.LBB218_2:
	s_wait_xcnt 0x0
	s_or_b32 exec_lo, exec_lo, s2
	s_load_b32 s16, s[0:1], 0xc
	v_lshrrev_b32_e32 v2, 5, v0
	s_mul_i32 s10, s4, s10
	s_delay_alu instid0(VALU_DEP_1)
	v_cmp_gt_i32_e64 s2, s4, v2
	s_wait_kmcnt 0x0
	s_sub_co_i32 s6, s14, s16
	s_sub_co_i32 s17, s15, s16
	s_mul_i32 s7, s4, s6
	s_sub_co_i32 s12, s17, s6
	s_mul_i32 s3, s7, s4
	s_mul_i32 s13, s12, s4
	s_add_co_i32 s18, s3, s5
	s_delay_alu instid0(SALU_CYCLE_1)
	s_add_co_i32 s18, s18, s13
	s_and_saveexec_b32 s3, s2
	s_cbranch_execz .LBB218_4
; %bb.3:
	v_mad_u32 v1, v2, s13, s18
	v_add_nc_u32_e32 v3, s10, v2
	global_store_b32 v3, v1, s[8:9] offset:4 scale_offset
.LBB218_4:
	s_wait_xcnt 0x0
	s_or_b32 exec_lo, exec_lo, s3
	v_or_b32_e32 v1, 32, v2
	s_delay_alu instid0(VALU_DEP_1)
	v_cmp_gt_i32_e64 s3, s4, v1
	s_and_saveexec_b32 s19, s3
	s_cbranch_execz .LBB218_6
; %bb.5:
	v_mov_b32_e32 v3, 0
	s_ashr_i32 s11, s10, 31
	v_mad_u32 v1, v1, s13, s18
	s_delay_alu instid0(VALU_DEP_2) | instskip(NEXT) | instid1(VALU_DEP_1)
	v_add_nc_u64_e32 v[4:5], s[10:11], v[2:3]
	v_lshl_add_u64 v[4:5], v[4:5], 2, s[8:9]
	global_store_b32 v[4:5], v1, off offset:132
.LBB218_6:
	s_wait_xcnt 0x0
	s_or_b32 exec_lo, exec_lo, s19
	s_cmp_lt_i32 s14, s15
	s_cbranch_scc0 .LBB218_17
; %bb.7:
	s_clause 0x1
	s_load_b64 s[20:21], s[0:1], 0x20
	s_load_b32 s18, s[0:1], 0x0
	v_mad_u32 v8, v2, s12, s7
	v_dual_add_nc_u32 v3, s7, v2 :: v_dual_bitop2_b32 v0, 31, v0 bitop3:0x40
	s_clause 0x2
	s_load_b64 s[8:9], s[0:1], 0x10
	s_load_b64 s[10:11], s[0:1], 0x30
	;; [unrolled: 1-line block ×3, first 2 shown]
	v_dual_add_nc_u32 v5, s7, v0 :: v_dual_bitop2_b32 v1, 32, v0 bitop3:0x54
	v_add_nc_u32_e32 v4, 32, v3
	v_mul_lo_u32 v3, s4, v3
	s_wait_xcnt 0x0
	v_cmp_gt_i32_e64 s0, s4, v0
	v_lshl_add_u32 v6, s15, 5, v8
	v_add_nc_u32_e32 v7, 32, v5
	v_mul_lo_u32 v4, s4, v4
	v_mul_lo_u32 v5, s4, v5
	v_mul_lo_u32 v8, s4, v8
	s_wait_kmcnt 0x0
	s_cmp_eq_u32 s18, 0
	s_cselect_b32 vcc_lo, -1, 0
	s_lshl_b32 s1, s14, 5
	s_ashr_i32 s7, s6, 31
	v_subrev_nc_u32_e32 v9, s1, v6
	v_mul_lo_u32 v6, s4, v7
	v_cmp_gt_i32_e64 s1, s4, v1
	s_lshl_b64 s[22:23], s[6:7], 2
	s_mul_i32 s14, s4, s4
	v_mul_lo_u32 v7, s4, v9
	s_and_b32 s15, s2, s0
	s_and_b32 s2, s2, s1
	;; [unrolled: 1-line block ×4, first 2 shown]
	s_add_nc_u64 s[0:1], s[20:21], s[22:23]
	s_branch .LBB218_9
.LBB218_8:                              ;   in Loop: Header=BB218_9 Depth=1
	s_wait_xcnt 0x0
	s_or_b32 exec_lo, exec_lo, s7
	v_dual_add_nc_u32 v4, s14, v4 :: v_dual_add_nc_u32 v3, s14, v3
	v_dual_add_nc_u32 v2, s14, v2 :: v_dual_add_nc_u32 v7, s4, v7
	v_add_nc_u32_e32 v8, s4, v8
	s_add_co_i32 s6, s6, 1
	s_add_nc_u64 s[0:1], s[0:1], 4
	s_cmp_ge_i32 s6, s17
	s_cbranch_scc1 .LBB218_17
.LBB218_9:                              ; =>This Inner Loop Header: Depth=1
	s_load_b32 s7, s[0:1], 0x0
	s_wait_kmcnt 0x0
	s_sub_co_i32 s7, s7, s16
	s_delay_alu instid0(SALU_CYCLE_1) | instskip(NEXT) | instid1(SALU_CYCLE_1)
	s_mul_i32 s7, s7, s4
	s_add_co_i32 s7, s7, s5
	s_delay_alu instid0(SALU_CYCLE_1)
	v_add_nc_u32_e32 v9, s7, v0
	s_and_saveexec_b32 s19, s15
	s_cbranch_execz .LBB218_11
; %bb.10:                               ;   in Loop: Header=BB218_9 Depth=1
	v_dual_add_nc_u32 v10, v0, v3 :: v_dual_add_nc_u32 v11, v5, v2
	s_delay_alu instid0(VALU_DEP_1)
	v_dual_add_nc_u32 v12, v0, v8 :: v_dual_cndmask_b32 v10, v11, v10, vcc_lo
	global_load_b64 v[10:11], v10, s[8:9] scale_offset
	global_store_b32 v12, v9, s[12:13] scale_offset
	s_wait_loadcnt 0x0
	global_store_b64 v12, v[10:11], s[10:11] scale_offset
.LBB218_11:                             ;   in Loop: Header=BB218_9 Depth=1
	s_wait_xcnt 0x0
	s_or_b32 exec_lo, exec_lo, s19
	v_dual_add_nc_u32 v10, s7, v1 :: v_dual_add_nc_u32 v11, v6, v2
	s_and_saveexec_b32 s7, s2
	s_cbranch_execnz .LBB218_14
; %bb.12:                               ;   in Loop: Header=BB218_9 Depth=1
	s_or_b32 exec_lo, exec_lo, s7
	v_add_nc_u32_e32 v12, v0, v4
	s_and_saveexec_b32 s7, s18
	s_cbranch_execnz .LBB218_15
.LBB218_13:                             ;   in Loop: Header=BB218_9 Depth=1
	s_or_b32 exec_lo, exec_lo, s7
	s_and_saveexec_b32 s7, s3
	s_cbranch_execz .LBB218_8
	s_branch .LBB218_16
.LBB218_14:                             ;   in Loop: Header=BB218_9 Depth=1
	v_add3_u32 v12, v0, v3, 32
	v_add3_u32 v14, v0, v8, 32
	s_delay_alu instid0(VALU_DEP_2)
	v_cndmask_b32_e32 v12, v11, v12, vcc_lo
	global_load_b64 v[12:13], v12, s[8:9] scale_offset
	global_store_b32 v14, v10, s[12:13] scale_offset
	s_wait_loadcnt 0x0
	global_store_b64 v14, v[12:13], s[10:11] scale_offset
	s_wait_xcnt 0x0
	s_or_b32 exec_lo, exec_lo, s7
	v_add_nc_u32_e32 v12, v0, v4
	s_and_saveexec_b32 s7, s18
	s_cbranch_execz .LBB218_13
.LBB218_15:                             ;   in Loop: Header=BB218_9 Depth=1
	v_add3_u32 v13, v5, v2, 32
	s_delay_alu instid0(VALU_DEP_1)
	v_cndmask_b32_e32 v13, v13, v12, vcc_lo
	global_load_b64 v[14:15], v13, s[8:9] scale_offset
	s_wait_xcnt 0x0
	v_add_nc_u32_e32 v13, v0, v7
	global_store_b32 v13, v9, s[12:13] scale_offset
	s_wait_loadcnt 0x0
	global_store_b64 v13, v[14:15], s[10:11] scale_offset
	s_wait_xcnt 0x0
	s_or_b32 exec_lo, exec_lo, s7
	s_and_saveexec_b32 s7, s3
	s_cbranch_execz .LBB218_8
.LBB218_16:                             ;   in Loop: Header=BB218_9 Depth=1
	v_cndmask_b32_e32 v9, v11, v12, vcc_lo
	s_delay_alu instid0(VALU_DEP_1)
	v_add_nc_u32_e32 v9, 32, v9
	global_load_b64 v[12:13], v9, s[8:9] scale_offset
	s_wait_xcnt 0x0
	v_add3_u32 v9, v0, v7, 32
	global_store_b32 v9, v10, s[12:13] scale_offset
	s_wait_loadcnt 0x0
	global_store_b64 v9, v[12:13], s[10:11] scale_offset
	s_branch .LBB218_8
.LBB218_17:
	s_endpgm
	.section	.rodata,"a",@progbits
	.p2align	6, 0x0
	.amdhsa_kernel _ZN9rocsparseL35bsr2csr_block_per_row_33_256_kernelILj1024ELj64ELj32EdiiEEv20rocsparse_direction_T4_S2_21rocsparse_index_base_PKT2_PKT3_PKS2_S2_S3_PS4_PS7_PS2_
		.amdhsa_group_segment_fixed_size 0
		.amdhsa_private_segment_fixed_size 0
		.amdhsa_kernarg_size 72
		.amdhsa_user_sgpr_count 2
		.amdhsa_user_sgpr_dispatch_ptr 0
		.amdhsa_user_sgpr_queue_ptr 0
		.amdhsa_user_sgpr_kernarg_segment_ptr 1
		.amdhsa_user_sgpr_dispatch_id 0
		.amdhsa_user_sgpr_kernarg_preload_length 0
		.amdhsa_user_sgpr_kernarg_preload_offset 0
		.amdhsa_user_sgpr_private_segment_size 0
		.amdhsa_wavefront_size32 1
		.amdhsa_uses_dynamic_stack 0
		.amdhsa_enable_private_segment 0
		.amdhsa_system_sgpr_workgroup_id_x 1
		.amdhsa_system_sgpr_workgroup_id_y 0
		.amdhsa_system_sgpr_workgroup_id_z 0
		.amdhsa_system_sgpr_workgroup_info 0
		.amdhsa_system_vgpr_workitem_id 0
		.amdhsa_next_free_vgpr 16
		.amdhsa_next_free_sgpr 24
		.amdhsa_named_barrier_count 0
		.amdhsa_reserve_vcc 1
		.amdhsa_float_round_mode_32 0
		.amdhsa_float_round_mode_16_64 0
		.amdhsa_float_denorm_mode_32 3
		.amdhsa_float_denorm_mode_16_64 3
		.amdhsa_fp16_overflow 0
		.amdhsa_memory_ordered 1
		.amdhsa_forward_progress 1
		.amdhsa_inst_pref_size 8
		.amdhsa_round_robin_scheduling 0
		.amdhsa_exception_fp_ieee_invalid_op 0
		.amdhsa_exception_fp_denorm_src 0
		.amdhsa_exception_fp_ieee_div_zero 0
		.amdhsa_exception_fp_ieee_overflow 0
		.amdhsa_exception_fp_ieee_underflow 0
		.amdhsa_exception_fp_ieee_inexact 0
		.amdhsa_exception_int_div_zero 0
	.end_amdhsa_kernel
	.section	.text._ZN9rocsparseL35bsr2csr_block_per_row_33_256_kernelILj1024ELj64ELj32EdiiEEv20rocsparse_direction_T4_S2_21rocsparse_index_base_PKT2_PKT3_PKS2_S2_S3_PS4_PS7_PS2_,"axG",@progbits,_ZN9rocsparseL35bsr2csr_block_per_row_33_256_kernelILj1024ELj64ELj32EdiiEEv20rocsparse_direction_T4_S2_21rocsparse_index_base_PKT2_PKT3_PKS2_S2_S3_PS4_PS7_PS2_,comdat
.Lfunc_end218:
	.size	_ZN9rocsparseL35bsr2csr_block_per_row_33_256_kernelILj1024ELj64ELj32EdiiEEv20rocsparse_direction_T4_S2_21rocsparse_index_base_PKT2_PKT3_PKS2_S2_S3_PS4_PS7_PS2_, .Lfunc_end218-_ZN9rocsparseL35bsr2csr_block_per_row_33_256_kernelILj1024ELj64ELj32EdiiEEv20rocsparse_direction_T4_S2_21rocsparse_index_base_PKT2_PKT3_PKS2_S2_S3_PS4_PS7_PS2_
                                        ; -- End function
	.set _ZN9rocsparseL35bsr2csr_block_per_row_33_256_kernelILj1024ELj64ELj32EdiiEEv20rocsparse_direction_T4_S2_21rocsparse_index_base_PKT2_PKT3_PKS2_S2_S3_PS4_PS7_PS2_.num_vgpr, 16
	.set _ZN9rocsparseL35bsr2csr_block_per_row_33_256_kernelILj1024ELj64ELj32EdiiEEv20rocsparse_direction_T4_S2_21rocsparse_index_base_PKT2_PKT3_PKS2_S2_S3_PS4_PS7_PS2_.num_agpr, 0
	.set _ZN9rocsparseL35bsr2csr_block_per_row_33_256_kernelILj1024ELj64ELj32EdiiEEv20rocsparse_direction_T4_S2_21rocsparse_index_base_PKT2_PKT3_PKS2_S2_S3_PS4_PS7_PS2_.numbered_sgpr, 24
	.set _ZN9rocsparseL35bsr2csr_block_per_row_33_256_kernelILj1024ELj64ELj32EdiiEEv20rocsparse_direction_T4_S2_21rocsparse_index_base_PKT2_PKT3_PKS2_S2_S3_PS4_PS7_PS2_.num_named_barrier, 0
	.set _ZN9rocsparseL35bsr2csr_block_per_row_33_256_kernelILj1024ELj64ELj32EdiiEEv20rocsparse_direction_T4_S2_21rocsparse_index_base_PKT2_PKT3_PKS2_S2_S3_PS4_PS7_PS2_.private_seg_size, 0
	.set _ZN9rocsparseL35bsr2csr_block_per_row_33_256_kernelILj1024ELj64ELj32EdiiEEv20rocsparse_direction_T4_S2_21rocsparse_index_base_PKT2_PKT3_PKS2_S2_S3_PS4_PS7_PS2_.uses_vcc, 1
	.set _ZN9rocsparseL35bsr2csr_block_per_row_33_256_kernelILj1024ELj64ELj32EdiiEEv20rocsparse_direction_T4_S2_21rocsparse_index_base_PKT2_PKT3_PKS2_S2_S3_PS4_PS7_PS2_.uses_flat_scratch, 0
	.set _ZN9rocsparseL35bsr2csr_block_per_row_33_256_kernelILj1024ELj64ELj32EdiiEEv20rocsparse_direction_T4_S2_21rocsparse_index_base_PKT2_PKT3_PKS2_S2_S3_PS4_PS7_PS2_.has_dyn_sized_stack, 0
	.set _ZN9rocsparseL35bsr2csr_block_per_row_33_256_kernelILj1024ELj64ELj32EdiiEEv20rocsparse_direction_T4_S2_21rocsparse_index_base_PKT2_PKT3_PKS2_S2_S3_PS4_PS7_PS2_.has_recursion, 0
	.set _ZN9rocsparseL35bsr2csr_block_per_row_33_256_kernelILj1024ELj64ELj32EdiiEEv20rocsparse_direction_T4_S2_21rocsparse_index_base_PKT2_PKT3_PKS2_S2_S3_PS4_PS7_PS2_.has_indirect_call, 0
	.section	.AMDGPU.csdata,"",@progbits
; Kernel info:
; codeLenInByte = 1012
; TotalNumSgprs: 26
; NumVgprs: 16
; ScratchSize: 0
; MemoryBound: 0
; FloatMode: 240
; IeeeMode: 1
; LDSByteSize: 0 bytes/workgroup (compile time only)
; SGPRBlocks: 0
; VGPRBlocks: 0
; NumSGPRsForWavesPerEU: 26
; NumVGPRsForWavesPerEU: 16
; NamedBarCnt: 0
; Occupancy: 16
; WaveLimiterHint : 1
; COMPUTE_PGM_RSRC2:SCRATCH_EN: 0
; COMPUTE_PGM_RSRC2:USER_SGPR: 2
; COMPUTE_PGM_RSRC2:TRAP_HANDLER: 0
; COMPUTE_PGM_RSRC2:TGID_X_EN: 1
; COMPUTE_PGM_RSRC2:TGID_Y_EN: 0
; COMPUTE_PGM_RSRC2:TGID_Z_EN: 0
; COMPUTE_PGM_RSRC2:TIDIG_COMP_CNT: 0
	.section	.text._ZN9rocsparseL35bsr2csr_block_per_row_33_256_kernelILj1024ELj128ELj32EdiiEEv20rocsparse_direction_T4_S2_21rocsparse_index_base_PKT2_PKT3_PKS2_S2_S3_PS4_PS7_PS2_,"axG",@progbits,_ZN9rocsparseL35bsr2csr_block_per_row_33_256_kernelILj1024ELj128ELj32EdiiEEv20rocsparse_direction_T4_S2_21rocsparse_index_base_PKT2_PKT3_PKS2_S2_S3_PS4_PS7_PS2_,comdat
	.globl	_ZN9rocsparseL35bsr2csr_block_per_row_33_256_kernelILj1024ELj128ELj32EdiiEEv20rocsparse_direction_T4_S2_21rocsparse_index_base_PKT2_PKT3_PKS2_S2_S3_PS4_PS7_PS2_ ; -- Begin function _ZN9rocsparseL35bsr2csr_block_per_row_33_256_kernelILj1024ELj128ELj32EdiiEEv20rocsparse_direction_T4_S2_21rocsparse_index_base_PKT2_PKT3_PKS2_S2_S3_PS4_PS7_PS2_
	.p2align	8
	.type	_ZN9rocsparseL35bsr2csr_block_per_row_33_256_kernelILj1024ELj128ELj32EdiiEEv20rocsparse_direction_T4_S2_21rocsparse_index_base_PKT2_PKT3_PKS2_S2_S3_PS4_PS7_PS2_,@function
_ZN9rocsparseL35bsr2csr_block_per_row_33_256_kernelILj1024ELj128ELj32EdiiEEv20rocsparse_direction_T4_S2_21rocsparse_index_base_PKT2_PKT3_PKS2_S2_S3_PS4_PS7_PS2_: ; @_ZN9rocsparseL35bsr2csr_block_per_row_33_256_kernelILj1024ELj128ELj32EdiiEEv20rocsparse_direction_T4_S2_21rocsparse_index_base_PKT2_PKT3_PKS2_S2_S3_PS4_PS7_PS2_
; %bb.0:
	s_load_b64 s[4:5], s[0:1], 0x18
	s_bfe_u32 s2, ttmp6, 0x4000c
	s_and_b32 s3, ttmp6, 15
	s_add_co_i32 s2, s2, 1
	s_getreg_b32 s6, hwreg(HW_REG_IB_STS2, 6, 4)
	s_mul_i32 s2, ttmp9, s2
	s_delay_alu instid0(SALU_CYCLE_1)
	s_add_co_i32 s3, s3, s2
	s_cmp_eq_u32 s6, 0
	s_clause 0x1
	s_load_b64 s[8:9], s[0:1], 0x28
	s_load_b64 s[6:7], s[0:1], 0x38
	s_cselect_b32 s2, ttmp9, s3
	s_delay_alu instid0(SALU_CYCLE_1)
	s_ashr_i32 s3, s2, 31
	v_or_b32_e32 v1, s2, v0
	s_lshl_b64 s[10:11], s[2:3], 2
	s_mov_b32 s3, exec_lo
	s_wait_kmcnt 0x0
	s_add_nc_u64 s[4:5], s[4:5], s[10:11]
	s_load_b64 s[18:19], s[4:5], 0x0
	v_cmpx_eq_u32_e32 0, v1
	s_cbranch_execz .LBB219_2
; %bb.1:
	v_dual_mov_b32 v1, 0 :: v_dual_mov_b32 v2, s9
	global_store_b32 v1, v2, s[6:7]
.LBB219_2:
	s_wait_xcnt 0x0
	s_or_b32 exec_lo, exec_lo, s3
	s_load_b32 s22, s[0:1], 0xc
	v_lshrrev_b32_e32 v2, 5, v0
	s_mul_i32 s12, s8, s2
	s_delay_alu instid0(VALU_DEP_1)
	v_cmp_gt_i32_e64 s4, s8, v2
	s_wait_kmcnt 0x0
	s_sub_co_i32 s10, s18, s22
	s_sub_co_i32 s23, s19, s22
	s_mul_i32 s11, s8, s10
	s_sub_co_i32 s34, s23, s10
	s_mul_i32 s3, s11, s8
	s_mul_i32 s14, s34, s8
	s_add_co_i32 s15, s3, s9
	s_delay_alu instid0(SALU_CYCLE_1)
	s_add_co_i32 s15, s15, s14
	s_and_saveexec_b32 s2, s4
	s_cbranch_execz .LBB219_4
; %bb.3:
	v_mad_u32 v1, v2, s14, s15
	v_add_nc_u32_e32 v3, s12, v2
	global_store_b32 v3, v1, s[6:7] offset:4 scale_offset
.LBB219_4:
	s_wait_xcnt 0x0
	s_or_b32 exec_lo, exec_lo, s2
	v_or_b32_e32 v1, 32, v2
	s_delay_alu instid0(VALU_DEP_1)
	v_cmp_gt_i32_e64 s5, s8, v1
	s_and_saveexec_b32 s2, s5
	s_cbranch_execz .LBB219_6
; %bb.5:
	v_mov_b32_e32 v3, 0
	s_ashr_i32 s13, s12, 31
	v_mad_u32 v1, v1, s14, s15
	s_delay_alu instid0(VALU_DEP_2) | instskip(NEXT) | instid1(VALU_DEP_1)
	v_add_nc_u64_e32 v[4:5], s[12:13], v[2:3]
	v_lshl_add_u64 v[4:5], v[4:5], 2, s[6:7]
	global_store_b32 v[4:5], v1, off offset:132
.LBB219_6:
	s_wait_xcnt 0x0
	s_or_b32 exec_lo, exec_lo, s2
	v_or_b32_e32 v1, 64, v2
	s_delay_alu instid0(VALU_DEP_1)
	v_cmp_gt_i32_e64 s2, s8, v1
	s_and_saveexec_b32 s3, s2
	s_cbranch_execz .LBB219_8
; %bb.7:
	v_mov_b32_e32 v3, 0
	s_ashr_i32 s13, s12, 31
	v_mad_u32 v1, v1, s14, s15
	s_delay_alu instid0(VALU_DEP_2) | instskip(NEXT) | instid1(VALU_DEP_1)
	v_add_nc_u64_e32 v[4:5], s[12:13], v[2:3]
	v_lshl_add_u64 v[4:5], v[4:5], 2, s[6:7]
	global_store_b32 v[4:5], v1, off offset:260
.LBB219_8:
	;; [unrolled: 16-line block ×3, first 2 shown]
	s_wait_xcnt 0x0
	s_or_b32 exec_lo, exec_lo, s16
	s_cmp_lt_i32 s18, s19
	s_cbranch_scc0 .LBB219_45
; %bb.11:
	s_clause 0x1
	s_load_b64 s[20:21], s[0:1], 0x20
	s_load_b32 s7, s[0:1], 0x0
	v_mad_u32 v15, v2, s34, s11
	v_dual_add_nc_u32 v8, s11, v2 :: v_dual_bitop2_b32 v0, 31, v0 bitop3:0x40
	s_clause 0x2
	s_load_b64 s[12:13], s[0:1], 0x10
	s_load_b64 s[14:15], s[0:1], 0x30
	;; [unrolled: 1-line block ×3, first 2 shown]
	s_mul_i32 s24, s8, s8
	s_mov_b32 s25, 0
	v_dual_add_nc_u32 v12, s11, v0 :: v_dual_bitop2_b32 v1, 32, v0 bitop3:0x54
	v_dual_add_nc_u32 v5, 32, v8 :: v_dual_add_nc_u32 v6, 64, v8
	v_add_nc_u32_e32 v7, 0x60, v8
	v_mad_u32 v11, 0x60, s19, v15
	v_lshl_add_u32 v13, s19, 5, v15
	v_lshl_add_u32 v14, s19, 6, v15
	v_add_nc_u32_e32 v9, 0x60, v12
	v_dual_add_nc_u32 v10, 64, v12 :: v_dual_add_nc_u32 v16, 32, v12
	v_or_b32_e32 v3, 64, v0
	v_or_b32_e32 v4, 0x60, v0
	s_wait_kmcnt 0x0
	s_cmp_eq_u32 s7, 0
	v_mul_lo_u32 v5, s8, v5
	s_cselect_b32 vcc_lo, -1, 0
	s_lshl_b32 s11, s18, 5
	v_mul_lo_u32 v6, s8, v6
	v_subrev_nc_u32_e32 v13, s11, v13
	s_lshl_b32 s11, s18, 6
	s_mulk_i32 s18, 0x60
	v_subrev_nc_u32_e32 v14, s11, v14
	v_subrev_nc_u32_e32 v17, s18, v11
	v_mul_lo_u32 v7, s8, v7
	v_mul_lo_u32 v8, s8, v8
	v_mad_u32 v9, s8, v9, v2
	v_mad_u32 v10, s8, v10, v2
	;; [unrolled: 1-line block ×4, first 2 shown]
	v_mul_lo_u32 v12, s8, v13
	v_mul_lo_u32 v13, s8, v14
	;; [unrolled: 1-line block ×4, first 2 shown]
	v_cmp_gt_i32_e64 s0, s8, v0
	v_cmp_gt_i32_e64 s1, s8, v1
	;; [unrolled: 1-line block ×4, first 2 shown]
	s_ashr_i32 s11, s10, 31
	s_and_b32 s26, s4, s0
	s_and_b32 s27, s4, s1
	;; [unrolled: 1-line block ×8, first 2 shown]
	s_lshl_b64 s[0:1], s[10:11], 2
	s_and_b32 s28, s4, s6
	s_and_b32 s4, s4, s7
	;; [unrolled: 1-line block ×8, first 2 shown]
	s_add_nc_u64 s[0:1], s[20:21], s[0:1]
	s_branch .LBB219_13
.LBB219_12:                             ;   in Loop: Header=BB219_13 Depth=1
	s_wait_xcnt 0x0
	s_or_b32 exec_lo, exec_lo, s7
	v_dual_add_nc_u32 v5, s24, v5 :: v_dual_add_nc_u32 v6, s24, v6
	v_dual_add_nc_u32 v7, s24, v7 :: v_dual_add_nc_u32 v8, s24, v8
	;; [unrolled: 1-line block ×4, first 2 shown]
	s_add_co_i32 s10, s10, 1
	s_add_co_i32 s25, s25, s24
	s_cmp_ge_i32 s10, s23
	s_add_nc_u64 s[0:1], s[0:1], 4
	s_cbranch_scc1 .LBB219_45
.LBB219_13:                             ; =>This Inner Loop Header: Depth=1
	s_load_b32 s7, s[0:1], 0x0
	s_wait_kmcnt 0x0
	s_sub_co_i32 s7, s7, s22
	s_delay_alu instid0(SALU_CYCLE_1) | instskip(NEXT) | instid1(SALU_CYCLE_1)
	s_mul_i32 s7, s7, s8
	s_add_co_i32 s7, s7, s9
	s_delay_alu instid0(SALU_CYCLE_1)
	v_add_nc_u32_e32 v16, s7, v0
	s_and_saveexec_b32 s11, s26
	s_cbranch_execz .LBB219_15
; %bb.14:                               ;   in Loop: Header=BB219_13 Depth=1
	v_dual_add_nc_u32 v17, v0, v8 :: v_dual_add_nc_u32 v18, s25, v2
	s_delay_alu instid0(VALU_DEP_1)
	v_cndmask_b32_e32 v17, v18, v17, vcc_lo
	global_load_b64 v[18:19], v17, s[12:13] scale_offset
	s_wait_xcnt 0x0
	v_add_nc_u32_e32 v17, v0, v15
	global_store_b32 v17, v16, s[16:17] scale_offset
	s_wait_loadcnt 0x0
	global_store_b64 v17, v[18:19], s[14:15] scale_offset
.LBB219_15:                             ;   in Loop: Header=BB219_13 Depth=1
	s_wait_xcnt 0x0
	s_or_b32 exec_lo, exec_lo, s11
	v_dual_add_nc_u32 v17, s7, v1 :: v_dual_add_nc_u32 v22, s25, v11
	s_and_saveexec_b32 s11, s27
	s_cbranch_execz .LBB219_17
; %bb.16:                               ;   in Loop: Header=BB219_13 Depth=1
	v_add3_u32 v18, v0, v8, 32
	v_add3_u32 v20, v0, v15, 32
	s_delay_alu instid0(VALU_DEP_2)
	v_cndmask_b32_e32 v18, v22, v18, vcc_lo
	global_load_b64 v[18:19], v18, s[12:13] scale_offset
	global_store_b32 v20, v17, s[16:17] scale_offset
	s_wait_loadcnt 0x0
	global_store_b64 v20, v[18:19], s[14:15] scale_offset
.LBB219_17:                             ;   in Loop: Header=BB219_13 Depth=1
	s_wait_xcnt 0x0
	s_or_b32 exec_lo, exec_lo, s11
	v_dual_add_nc_u32 v18, s7, v3 :: v_dual_add_nc_u32 v21, s25, v10
	s_and_saveexec_b32 s11, s28
	s_cbranch_execz .LBB219_19
; %bb.18:                               ;   in Loop: Header=BB219_13 Depth=1
	v_add3_u32 v19, v0, v8, 64
	s_delay_alu instid0(VALU_DEP_1)
	v_cndmask_b32_e32 v19, v21, v19, vcc_lo
	global_load_b64 v[24:25], v19, s[12:13] scale_offset
	s_wait_xcnt 0x0
	v_add3_u32 v19, v0, v15, 64
	global_store_b32 v19, v18, s[16:17] scale_offset
	s_wait_loadcnt 0x0
	global_store_b64 v19, v[24:25], s[14:15] scale_offset
.LBB219_19:                             ;   in Loop: Header=BB219_13 Depth=1
	s_wait_xcnt 0x0
	s_or_b32 exec_lo, exec_lo, s11
	v_dual_add_nc_u32 v19, s7, v4 :: v_dual_add_nc_u32 v20, s25, v9
	s_and_saveexec_b32 s7, s4
	s_cbranch_execnz .LBB219_32
; %bb.20:                               ;   in Loop: Header=BB219_13 Depth=1
	s_or_b32 exec_lo, exec_lo, s7
	v_add_nc_u32_e32 v23, v0, v5
	s_and_saveexec_b32 s7, s29
	s_cbranch_execnz .LBB219_33
.LBB219_21:                             ;   in Loop: Header=BB219_13 Depth=1
	s_or_b32 exec_lo, exec_lo, s7
	s_and_saveexec_b32 s7, s30
	s_cbranch_execnz .LBB219_34
.LBB219_22:                             ;   in Loop: Header=BB219_13 Depth=1
	s_or_b32 exec_lo, exec_lo, s7
	s_and_saveexec_b32 s7, s31
	s_cbranch_execnz .LBB219_35
.LBB219_23:                             ;   in Loop: Header=BB219_13 Depth=1
	s_or_b32 exec_lo, exec_lo, s7
	s_and_saveexec_b32 s7, s5
	s_cbranch_execnz .LBB219_36
.LBB219_24:                             ;   in Loop: Header=BB219_13 Depth=1
	s_or_b32 exec_lo, exec_lo, s7
	v_add_nc_u32_e32 v22, v0, v6
	s_and_saveexec_b32 s7, s33
	s_cbranch_execnz .LBB219_37
.LBB219_25:                             ;   in Loop: Header=BB219_13 Depth=1
	s_or_b32 exec_lo, exec_lo, s7
	s_and_saveexec_b32 s7, s34
	s_cbranch_execnz .LBB219_38
.LBB219_26:                             ;   in Loop: Header=BB219_13 Depth=1
	s_or_b32 exec_lo, exec_lo, s7
	s_and_saveexec_b32 s7, s18
	s_cbranch_execnz .LBB219_39
.LBB219_27:                             ;   in Loop: Header=BB219_13 Depth=1
	s_or_b32 exec_lo, exec_lo, s7
	s_and_saveexec_b32 s7, s2
	s_cbranch_execnz .LBB219_40
.LBB219_28:                             ;   in Loop: Header=BB219_13 Depth=1
	s_or_b32 exec_lo, exec_lo, s7
	v_add_nc_u32_e32 v21, v0, v7
	s_and_saveexec_b32 s7, s19
	s_cbranch_execnz .LBB219_41
.LBB219_29:                             ;   in Loop: Header=BB219_13 Depth=1
	s_or_b32 exec_lo, exec_lo, s7
	s_and_saveexec_b32 s7, s35
	s_cbranch_execnz .LBB219_42
.LBB219_30:                             ;   in Loop: Header=BB219_13 Depth=1
	s_or_b32 exec_lo, exec_lo, s7
	s_and_saveexec_b32 s7, s6
	s_cbranch_execnz .LBB219_43
.LBB219_31:                             ;   in Loop: Header=BB219_13 Depth=1
	s_or_b32 exec_lo, exec_lo, s7
	s_and_saveexec_b32 s7, s3
	s_cbranch_execz .LBB219_12
	s_branch .LBB219_44
.LBB219_32:                             ;   in Loop: Header=BB219_13 Depth=1
	v_add3_u32 v23, v0, v8, 0x60
	s_delay_alu instid0(VALU_DEP_1)
	v_cndmask_b32_e32 v23, v20, v23, vcc_lo
	global_load_b64 v[24:25], v23, s[12:13] scale_offset
	s_wait_xcnt 0x0
	v_add3_u32 v23, v0, v15, 0x60
	global_store_b32 v23, v19, s[16:17] scale_offset
	s_wait_loadcnt 0x0
	global_store_b64 v23, v[24:25], s[14:15] scale_offset
	s_wait_xcnt 0x0
	s_or_b32 exec_lo, exec_lo, s7
	v_add_nc_u32_e32 v23, v0, v5
	s_and_saveexec_b32 s7, s29
	s_cbranch_execz .LBB219_21
.LBB219_33:                             ;   in Loop: Header=BB219_13 Depth=1
	v_add3_u32 v24, v2, s25, 32
	v_add_nc_u32_e32 v26, v0, v12
	s_delay_alu instid0(VALU_DEP_2)
	v_cndmask_b32_e32 v24, v24, v23, vcc_lo
	global_load_b64 v[24:25], v24, s[12:13] scale_offset
	global_store_b32 v26, v16, s[16:17] scale_offset
	s_wait_loadcnt 0x0
	global_store_b64 v26, v[24:25], s[14:15] scale_offset
	s_wait_xcnt 0x0
	s_or_b32 exec_lo, exec_lo, s7
	s_and_saveexec_b32 s7, s30
	s_cbranch_execz .LBB219_22
.LBB219_34:                             ;   in Loop: Header=BB219_13 Depth=1
	v_cndmask_b32_e32 v22, v22, v23, vcc_lo
	v_add3_u32 v24, v0, v12, 32
	s_delay_alu instid0(VALU_DEP_2)
	v_add_nc_u32_e32 v22, 32, v22
	global_load_b64 v[22:23], v22, s[12:13] scale_offset
	global_store_b32 v24, v17, s[16:17] scale_offset
	s_wait_loadcnt 0x0
	global_store_b64 v24, v[22:23], s[14:15] scale_offset
	s_wait_xcnt 0x0
	s_or_b32 exec_lo, exec_lo, s7
	s_and_saveexec_b32 s7, s31
	s_cbranch_execz .LBB219_23
.LBB219_35:                             ;   in Loop: Header=BB219_13 Depth=1
	v_add3_u32 v22, v0, v5, 64
	v_add3_u32 v23, v10, s25, 32
	;; [unrolled: 1-line block ×3, first 2 shown]
	s_delay_alu instid0(VALU_DEP_2)
	v_cndmask_b32_e32 v22, v23, v22, vcc_lo
	global_load_b64 v[22:23], v22, s[12:13] scale_offset
	global_store_b32 v24, v18, s[16:17] scale_offset
	s_wait_loadcnt 0x0
	global_store_b64 v24, v[22:23], s[14:15] scale_offset
	s_wait_xcnt 0x0
	s_or_b32 exec_lo, exec_lo, s7
	s_and_saveexec_b32 s7, s5
	s_cbranch_execz .LBB219_24
.LBB219_36:                             ;   in Loop: Header=BB219_13 Depth=1
	v_add3_u32 v22, v0, v5, 0x60
	v_add3_u32 v23, v9, s25, 32
	;; [unrolled: 1-line block ×3, first 2 shown]
	s_delay_alu instid0(VALU_DEP_2)
	v_cndmask_b32_e32 v22, v23, v22, vcc_lo
	global_load_b64 v[22:23], v22, s[12:13] scale_offset
	global_store_b32 v24, v19, s[16:17] scale_offset
	s_wait_loadcnt 0x0
	global_store_b64 v24, v[22:23], s[14:15] scale_offset
	s_wait_xcnt 0x0
	s_or_b32 exec_lo, exec_lo, s7
	v_add_nc_u32_e32 v22, v0, v6
	s_and_saveexec_b32 s7, s33
	s_cbranch_execz .LBB219_25
.LBB219_37:                             ;   in Loop: Header=BB219_13 Depth=1
	v_add3_u32 v23, v2, s25, 64
	s_delay_alu instid0(VALU_DEP_1)
	v_cndmask_b32_e32 v23, v23, v22, vcc_lo
	global_load_b64 v[24:25], v23, s[12:13] scale_offset
	s_wait_xcnt 0x0
	v_add_nc_u32_e32 v23, v0, v13
	global_store_b32 v23, v16, s[16:17] scale_offset
	s_wait_loadcnt 0x0
	global_store_b64 v23, v[24:25], s[14:15] scale_offset
	s_wait_xcnt 0x0
	s_or_b32 exec_lo, exec_lo, s7
	s_and_saveexec_b32 s7, s34
	s_cbranch_execz .LBB219_26
.LBB219_38:                             ;   in Loop: Header=BB219_13 Depth=1
	v_add3_u32 v23, v0, v6, 32
	v_add3_u32 v24, v11, s25, 64
	s_delay_alu instid0(VALU_DEP_1)
	v_cndmask_b32_e32 v23, v24, v23, vcc_lo
	global_load_b64 v[24:25], v23, s[12:13] scale_offset
	s_wait_xcnt 0x0
	v_add3_u32 v23, v0, v13, 32
	global_store_b32 v23, v17, s[16:17] scale_offset
	s_wait_loadcnt 0x0
	global_store_b64 v23, v[24:25], s[14:15] scale_offset
	s_wait_xcnt 0x0
	s_or_b32 exec_lo, exec_lo, s7
	s_and_saveexec_b32 s7, s18
	s_cbranch_execz .LBB219_27
.LBB219_39:                             ;   in Loop: Header=BB219_13 Depth=1
	v_cndmask_b32_e32 v21, v21, v22, vcc_lo
	s_delay_alu instid0(VALU_DEP_1)
	v_add_nc_u32_e32 v21, 64, v21
	global_load_b64 v[22:23], v21, s[12:13] scale_offset
	s_wait_xcnt 0x0
	v_add3_u32 v21, v0, v13, 64
	global_store_b32 v21, v18, s[16:17] scale_offset
	s_wait_loadcnt 0x0
	global_store_b64 v21, v[22:23], s[14:15] scale_offset
	s_wait_xcnt 0x0
	s_or_b32 exec_lo, exec_lo, s7
	s_and_saveexec_b32 s7, s2
	s_cbranch_execz .LBB219_28
.LBB219_40:                             ;   in Loop: Header=BB219_13 Depth=1
	v_add3_u32 v21, v0, v6, 0x60
	v_add3_u32 v22, v9, s25, 64
	s_delay_alu instid0(VALU_DEP_1)
	v_cndmask_b32_e32 v21, v22, v21, vcc_lo
	global_load_b64 v[22:23], v21, s[12:13] scale_offset
	s_wait_xcnt 0x0
	v_add3_u32 v21, v0, v13, 0x60
	global_store_b32 v21, v19, s[16:17] scale_offset
	s_wait_loadcnt 0x0
	global_store_b64 v21, v[22:23], s[14:15] scale_offset
	s_wait_xcnt 0x0
	s_or_b32 exec_lo, exec_lo, s7
	v_add_nc_u32_e32 v21, v0, v7
	s_and_saveexec_b32 s7, s19
	s_cbranch_execz .LBB219_29
.LBB219_41:                             ;   in Loop: Header=BB219_13 Depth=1
	v_add3_u32 v22, v2, s25, 0x60
	s_delay_alu instid0(VALU_DEP_1)
	v_dual_add_nc_u32 v24, v0, v14 :: v_dual_cndmask_b32 v22, v22, v21, vcc_lo
	global_load_b64 v[22:23], v22, s[12:13] scale_offset
	global_store_b32 v24, v16, s[16:17] scale_offset
	s_wait_loadcnt 0x0
	global_store_b64 v24, v[22:23], s[14:15] scale_offset
	s_wait_xcnt 0x0
	s_or_b32 exec_lo, exec_lo, s7
	s_and_saveexec_b32 s7, s35
	s_cbranch_execz .LBB219_30
.LBB219_42:                             ;   in Loop: Header=BB219_13 Depth=1
	v_add3_u32 v16, v0, v7, 32
	v_add3_u32 v22, v11, s25, 0x60
	s_delay_alu instid0(VALU_DEP_1)
	v_cndmask_b32_e32 v16, v22, v16, vcc_lo
	global_load_b64 v[22:23], v16, s[12:13] scale_offset
	s_wait_xcnt 0x0
	v_add3_u32 v16, v0, v14, 32
	global_store_b32 v16, v17, s[16:17] scale_offset
	s_wait_loadcnt 0x0
	global_store_b64 v16, v[22:23], s[14:15] scale_offset
	s_wait_xcnt 0x0
	s_or_b32 exec_lo, exec_lo, s7
	s_and_saveexec_b32 s7, s6
	s_cbranch_execz .LBB219_31
.LBB219_43:                             ;   in Loop: Header=BB219_13 Depth=1
	v_add3_u32 v16, v0, v7, 64
	v_add3_u32 v17, v10, s25, 0x60
	;; [unrolled: 1-line block ×3, first 2 shown]
	s_delay_alu instid0(VALU_DEP_2)
	v_cndmask_b32_e32 v16, v17, v16, vcc_lo
	global_load_b64 v[16:17], v16, s[12:13] scale_offset
	global_store_b32 v22, v18, s[16:17] scale_offset
	s_wait_loadcnt 0x0
	global_store_b64 v22, v[16:17], s[14:15] scale_offset
	s_wait_xcnt 0x0
	s_or_b32 exec_lo, exec_lo, s7
	s_and_saveexec_b32 s7, s3
	s_cbranch_execz .LBB219_12
.LBB219_44:                             ;   in Loop: Header=BB219_13 Depth=1
	v_cndmask_b32_e32 v16, v20, v21, vcc_lo
	v_add3_u32 v18, v0, v14, 0x60
	s_delay_alu instid0(VALU_DEP_2)
	v_add_nc_u32_e32 v16, 0x60, v16
	global_load_b64 v[16:17], v16, s[12:13] scale_offset
	global_store_b32 v18, v19, s[16:17] scale_offset
	s_wait_loadcnt 0x0
	global_store_b64 v18, v[16:17], s[14:15] scale_offset
	s_branch .LBB219_12
.LBB219_45:
	s_endpgm
	.section	.rodata,"a",@progbits
	.p2align	6, 0x0
	.amdhsa_kernel _ZN9rocsparseL35bsr2csr_block_per_row_33_256_kernelILj1024ELj128ELj32EdiiEEv20rocsparse_direction_T4_S2_21rocsparse_index_base_PKT2_PKT3_PKS2_S2_S3_PS4_PS7_PS2_
		.amdhsa_group_segment_fixed_size 0
		.amdhsa_private_segment_fixed_size 0
		.amdhsa_kernarg_size 72
		.amdhsa_user_sgpr_count 2
		.amdhsa_user_sgpr_dispatch_ptr 0
		.amdhsa_user_sgpr_queue_ptr 0
		.amdhsa_user_sgpr_kernarg_segment_ptr 1
		.amdhsa_user_sgpr_dispatch_id 0
		.amdhsa_user_sgpr_kernarg_preload_length 0
		.amdhsa_user_sgpr_kernarg_preload_offset 0
		.amdhsa_user_sgpr_private_segment_size 0
		.amdhsa_wavefront_size32 1
		.amdhsa_uses_dynamic_stack 0
		.amdhsa_enable_private_segment 0
		.amdhsa_system_sgpr_workgroup_id_x 1
		.amdhsa_system_sgpr_workgroup_id_y 0
		.amdhsa_system_sgpr_workgroup_id_z 0
		.amdhsa_system_sgpr_workgroup_info 0
		.amdhsa_system_vgpr_workitem_id 0
		.amdhsa_next_free_vgpr 27
		.amdhsa_next_free_sgpr 36
		.amdhsa_named_barrier_count 0
		.amdhsa_reserve_vcc 1
		.amdhsa_float_round_mode_32 0
		.amdhsa_float_round_mode_16_64 0
		.amdhsa_float_denorm_mode_32 3
		.amdhsa_float_denorm_mode_16_64 3
		.amdhsa_fp16_overflow 0
		.amdhsa_memory_ordered 1
		.amdhsa_forward_progress 1
		.amdhsa_inst_pref_size 21
		.amdhsa_round_robin_scheduling 0
		.amdhsa_exception_fp_ieee_invalid_op 0
		.amdhsa_exception_fp_denorm_src 0
		.amdhsa_exception_fp_ieee_div_zero 0
		.amdhsa_exception_fp_ieee_overflow 0
		.amdhsa_exception_fp_ieee_underflow 0
		.amdhsa_exception_fp_ieee_inexact 0
		.amdhsa_exception_int_div_zero 0
	.end_amdhsa_kernel
	.section	.text._ZN9rocsparseL35bsr2csr_block_per_row_33_256_kernelILj1024ELj128ELj32EdiiEEv20rocsparse_direction_T4_S2_21rocsparse_index_base_PKT2_PKT3_PKS2_S2_S3_PS4_PS7_PS2_,"axG",@progbits,_ZN9rocsparseL35bsr2csr_block_per_row_33_256_kernelILj1024ELj128ELj32EdiiEEv20rocsparse_direction_T4_S2_21rocsparse_index_base_PKT2_PKT3_PKS2_S2_S3_PS4_PS7_PS2_,comdat
.Lfunc_end219:
	.size	_ZN9rocsparseL35bsr2csr_block_per_row_33_256_kernelILj1024ELj128ELj32EdiiEEv20rocsparse_direction_T4_S2_21rocsparse_index_base_PKT2_PKT3_PKS2_S2_S3_PS4_PS7_PS2_, .Lfunc_end219-_ZN9rocsparseL35bsr2csr_block_per_row_33_256_kernelILj1024ELj128ELj32EdiiEEv20rocsparse_direction_T4_S2_21rocsparse_index_base_PKT2_PKT3_PKS2_S2_S3_PS4_PS7_PS2_
                                        ; -- End function
	.set _ZN9rocsparseL35bsr2csr_block_per_row_33_256_kernelILj1024ELj128ELj32EdiiEEv20rocsparse_direction_T4_S2_21rocsparse_index_base_PKT2_PKT3_PKS2_S2_S3_PS4_PS7_PS2_.num_vgpr, 27
	.set _ZN9rocsparseL35bsr2csr_block_per_row_33_256_kernelILj1024ELj128ELj32EdiiEEv20rocsparse_direction_T4_S2_21rocsparse_index_base_PKT2_PKT3_PKS2_S2_S3_PS4_PS7_PS2_.num_agpr, 0
	.set _ZN9rocsparseL35bsr2csr_block_per_row_33_256_kernelILj1024ELj128ELj32EdiiEEv20rocsparse_direction_T4_S2_21rocsparse_index_base_PKT2_PKT3_PKS2_S2_S3_PS4_PS7_PS2_.numbered_sgpr, 36
	.set _ZN9rocsparseL35bsr2csr_block_per_row_33_256_kernelILj1024ELj128ELj32EdiiEEv20rocsparse_direction_T4_S2_21rocsparse_index_base_PKT2_PKT3_PKS2_S2_S3_PS4_PS7_PS2_.num_named_barrier, 0
	.set _ZN9rocsparseL35bsr2csr_block_per_row_33_256_kernelILj1024ELj128ELj32EdiiEEv20rocsparse_direction_T4_S2_21rocsparse_index_base_PKT2_PKT3_PKS2_S2_S3_PS4_PS7_PS2_.private_seg_size, 0
	.set _ZN9rocsparseL35bsr2csr_block_per_row_33_256_kernelILj1024ELj128ELj32EdiiEEv20rocsparse_direction_T4_S2_21rocsparse_index_base_PKT2_PKT3_PKS2_S2_S3_PS4_PS7_PS2_.uses_vcc, 1
	.set _ZN9rocsparseL35bsr2csr_block_per_row_33_256_kernelILj1024ELj128ELj32EdiiEEv20rocsparse_direction_T4_S2_21rocsparse_index_base_PKT2_PKT3_PKS2_S2_S3_PS4_PS7_PS2_.uses_flat_scratch, 0
	.set _ZN9rocsparseL35bsr2csr_block_per_row_33_256_kernelILj1024ELj128ELj32EdiiEEv20rocsparse_direction_T4_S2_21rocsparse_index_base_PKT2_PKT3_PKS2_S2_S3_PS4_PS7_PS2_.has_dyn_sized_stack, 0
	.set _ZN9rocsparseL35bsr2csr_block_per_row_33_256_kernelILj1024ELj128ELj32EdiiEEv20rocsparse_direction_T4_S2_21rocsparse_index_base_PKT2_PKT3_PKS2_S2_S3_PS4_PS7_PS2_.has_recursion, 0
	.set _ZN9rocsparseL35bsr2csr_block_per_row_33_256_kernelILj1024ELj128ELj32EdiiEEv20rocsparse_direction_T4_S2_21rocsparse_index_base_PKT2_PKT3_PKS2_S2_S3_PS4_PS7_PS2_.has_indirect_call, 0
	.section	.AMDGPU.csdata,"",@progbits
; Kernel info:
; codeLenInByte = 2604
; TotalNumSgprs: 38
; NumVgprs: 27
; ScratchSize: 0
; MemoryBound: 0
; FloatMode: 240
; IeeeMode: 1
; LDSByteSize: 0 bytes/workgroup (compile time only)
; SGPRBlocks: 0
; VGPRBlocks: 1
; NumSGPRsForWavesPerEU: 38
; NumVGPRsForWavesPerEU: 27
; NamedBarCnt: 0
; Occupancy: 16
; WaveLimiterHint : 1
; COMPUTE_PGM_RSRC2:SCRATCH_EN: 0
; COMPUTE_PGM_RSRC2:USER_SGPR: 2
; COMPUTE_PGM_RSRC2:TRAP_HANDLER: 0
; COMPUTE_PGM_RSRC2:TGID_X_EN: 1
; COMPUTE_PGM_RSRC2:TGID_Y_EN: 0
; COMPUTE_PGM_RSRC2:TGID_Z_EN: 0
; COMPUTE_PGM_RSRC2:TIDIG_COMP_CNT: 0
	.section	.text._ZN9rocsparseL35bsr2csr_block_per_row_33_256_kernelILj1024ELj256ELj32EdiiEEv20rocsparse_direction_T4_S2_21rocsparse_index_base_PKT2_PKT3_PKS2_S2_S3_PS4_PS7_PS2_,"axG",@progbits,_ZN9rocsparseL35bsr2csr_block_per_row_33_256_kernelILj1024ELj256ELj32EdiiEEv20rocsparse_direction_T4_S2_21rocsparse_index_base_PKT2_PKT3_PKS2_S2_S3_PS4_PS7_PS2_,comdat
	.globl	_ZN9rocsparseL35bsr2csr_block_per_row_33_256_kernelILj1024ELj256ELj32EdiiEEv20rocsparse_direction_T4_S2_21rocsparse_index_base_PKT2_PKT3_PKS2_S2_S3_PS4_PS7_PS2_ ; -- Begin function _ZN9rocsparseL35bsr2csr_block_per_row_33_256_kernelILj1024ELj256ELj32EdiiEEv20rocsparse_direction_T4_S2_21rocsparse_index_base_PKT2_PKT3_PKS2_S2_S3_PS4_PS7_PS2_
	.p2align	8
	.type	_ZN9rocsparseL35bsr2csr_block_per_row_33_256_kernelILj1024ELj256ELj32EdiiEEv20rocsparse_direction_T4_S2_21rocsparse_index_base_PKT2_PKT3_PKS2_S2_S3_PS4_PS7_PS2_,@function
_ZN9rocsparseL35bsr2csr_block_per_row_33_256_kernelILj1024ELj256ELj32EdiiEEv20rocsparse_direction_T4_S2_21rocsparse_index_base_PKT2_PKT3_PKS2_S2_S3_PS4_PS7_PS2_: ; @_ZN9rocsparseL35bsr2csr_block_per_row_33_256_kernelILj1024ELj256ELj32EdiiEEv20rocsparse_direction_T4_S2_21rocsparse_index_base_PKT2_PKT3_PKS2_S2_S3_PS4_PS7_PS2_
; %bb.0:
	s_load_b64 s[2:3], s[0:1], 0x18
	s_bfe_u32 s4, ttmp6, 0x4000c
	s_and_b32 s5, ttmp6, 15
	s_add_co_i32 s4, s4, 1
	s_getreg_b32 s6, hwreg(HW_REG_IB_STS2, 6, 4)
	s_mul_i32 s4, ttmp9, s4
	s_clause 0x1
	s_load_b64 s[16:17], s[0:1], 0x28
	s_load_b64 s[10:11], s[0:1], 0x38
	s_add_co_i32 s5, s5, s4
	s_cmp_eq_u32 s6, 0
	s_cselect_b32 s4, ttmp9, s5
	s_delay_alu instid0(SALU_CYCLE_1)
	s_ashr_i32 s5, s4, 31
	v_or_b32_e32 v1, s4, v0
	s_lshl_b64 s[6:7], s[4:5], 2
	s_wait_kmcnt 0x0
	s_add_nc_u64 s[2:3], s[2:3], s[6:7]
	s_load_b64 s[26:27], s[2:3], 0x0
	s_wait_xcnt 0x0
	s_mov_b32 s2, exec_lo
	v_cmpx_eq_u32_e32 0, v1
	s_cbranch_execz .LBB220_2
; %bb.1:
	v_dual_mov_b32 v1, 0 :: v_dual_mov_b32 v2, s17
	global_store_b32 v1, v2, s[10:11]
.LBB220_2:
	s_wait_xcnt 0x0
	s_or_b32 exec_lo, exec_lo, s2
	s_load_b32 s30, s[0:1], 0xc
	v_lshrrev_b32_e32 v2, 5, v0
	s_mul_i32 s12, s16, s4
	s_delay_alu instid0(VALU_DEP_1)
	v_cmp_gt_i32_e64 s2, s16, v2
	s_wait_kmcnt 0x0
	s_sub_co_i32 s18, s26, s30
	s_sub_co_i32 s31, s27, s30
	s_mul_i32 s19, s16, s18
	s_sub_co_i32 s86, s31, s18
	s_mul_i32 s3, s19, s16
	s_mul_i32 s14, s86, s16
	s_add_co_i32 s15, s3, s17
	s_delay_alu instid0(SALU_CYCLE_1)
	s_add_co_i32 s15, s15, s14
	s_and_saveexec_b32 s3, s2
	s_cbranch_execz .LBB220_4
; %bb.3:
	v_mad_u32 v1, v2, s14, s15
	v_add_nc_u32_e32 v3, s12, v2
	global_store_b32 v3, v1, s[10:11] offset:4 scale_offset
.LBB220_4:
	s_wait_xcnt 0x0
	s_or_b32 exec_lo, exec_lo, s3
	v_or_b32_e32 v1, 32, v2
	s_delay_alu instid0(VALU_DEP_1)
	v_cmp_gt_i32_e64 s3, s16, v1
	s_and_saveexec_b32 s4, s3
	s_cbranch_execz .LBB220_6
; %bb.5:
	v_mov_b32_e32 v3, 0
	s_ashr_i32 s13, s12, 31
	v_mad_u32 v1, v1, s14, s15
	s_delay_alu instid0(VALU_DEP_2) | instskip(NEXT) | instid1(VALU_DEP_1)
	v_add_nc_u64_e32 v[4:5], s[12:13], v[2:3]
	v_lshl_add_u64 v[4:5], v[4:5], 2, s[10:11]
	global_store_b32 v[4:5], v1, off offset:132
.LBB220_6:
	s_wait_xcnt 0x0
	s_or_b32 exec_lo, exec_lo, s4
	v_or_b32_e32 v1, 64, v2
	s_delay_alu instid0(VALU_DEP_1)
	v_cmp_gt_i32_e64 s5, s16, v1
	s_and_saveexec_b32 s4, s5
	s_cbranch_execz .LBB220_8
; %bb.7:
	v_mov_b32_e32 v3, 0
	s_ashr_i32 s13, s12, 31
	v_mad_u32 v1, v1, s14, s15
	s_delay_alu instid0(VALU_DEP_2) | instskip(NEXT) | instid1(VALU_DEP_1)
	v_add_nc_u64_e32 v[4:5], s[12:13], v[2:3]
	v_lshl_add_u64 v[4:5], v[4:5], 2, s[10:11]
	global_store_b32 v[4:5], v1, off offset:260
.LBB220_8:
	;; [unrolled: 16-line block ×7, first 2 shown]
	s_wait_xcnt 0x0
	s_or_b32 exec_lo, exec_lo, s20
	s_cmp_lt_i32 s26, s27
	s_cbranch_scc0 .LBB220_149
; %bb.19:
	s_clause 0x3
	s_load_b64 s[28:29], s[0:1], 0x20
	s_load_b32 s11, s[0:1], 0x0
	s_load_b64 s[20:21], s[0:1], 0x10
	s_load_b64 s[22:23], s[0:1], 0x30
	v_mad_u32 v31, v2, s86, s19
	v_dual_add_nc_u32 v22, s19, v2 :: v_dual_bitop2_b32 v0, 31, v0 bitop3:0x40
	s_load_b64 s[24:25], s[0:1], 0x40
	s_mul_i32 s33, s16, s16
	s_mov_b32 s34, 0
	s_wait_xcnt 0x0
	v_cmp_gt_i32_e64 s0, s16, v0
	v_add_nc_u32_e32 v26, 0xe0, v22
	v_dual_add_nc_u32 v14, s19, v0 :: v_dual_bitop2_b32 v1, 32, v0 bitop3:0x54
	v_or_b32_e32 v3, 64, v0
	v_mad_u32 v23, 0xe0, s27, v31
	v_mad_u32 v24, 0xc0, s27, v31
	;; [unrolled: 1-line block ×5, first 2 shown]
	v_add_nc_u32_e32 v13, 0xa0, v14
	s_wait_kmcnt 0x0
	s_cmp_eq_u32 s11, 0
	v_add_nc_u32_e32 v15, 0x80, v14
	s_cselect_b32 vcc_lo, -1, 0
	s_and_b32 s35, s2, s0
	s_and_b32 s42, s3, s0
	;; [unrolled: 1-line block ×8, first 2 shown]
	s_mul_i32 s0, s26, 0xe0
	v_add_nc_u32_e32 v11, 0xe0, v14
	v_subrev_nc_u32_e32 v27, s0, v23
	v_mad_u32 v23, s16, v26, v0
	v_mad_u32 v26, 0x60, s27, v31
	v_add_nc_u32_e32 v12, 0xc0, v14
	v_add_nc_u32_e32 v16, 0x60, v14
	v_dual_add_nc_u32 v17, 64, v14 :: v_dual_add_nc_u32 v18, 32, v14
	v_add_nc_u32_e32 v19, 32, v22
	v_add_nc_u32_e32 v25, 0xc0, v22
	v_cmp_gt_i32_e64 s1, s16, v1
	s_mul_i32 s0, s26, 0xc0
	v_mad_u32 v11, s16, v11, v2
	v_mad_u32 v12, s16, v12, v2
	;; [unrolled: 1-line block ×7, first 2 shown]
	v_add_nc_u32_e32 v18, 64, v22
	v_mad_u32 v17, s16, v19, v0
	v_add_nc_u32_e32 v19, 0x60, v22
	v_add_nc_u32_e32 v20, 0x80, v22
	;; [unrolled: 1-line block ×3, first 2 shown]
	v_mad_u32 v22, s16, v25, v0
	v_subrev_nc_u32_e32 v25, s0, v24
	v_mul_lo_u32 v24, s16, v27
	v_lshl_add_u32 v27, s27, 7, v31
	s_mul_i32 s0, s26, 0xa0
	v_lshl_add_u32 v29, s27, 6, v31
	v_lshl_add_u32 v30, s27, 5, v31
	s_and_b32 s36, s2, s1
	s_and_b32 s43, s3, s1
	s_and_b32 s50, s5, s1
	s_and_b32 s57, s6, s1
	s_and_b32 s64, s7, s1
	s_and_b32 s71, s8, s1
	s_and_b32 s78, s9, s1
	s_and_b32 s85, s4, s1
	s_lshl_b32 s1, s26, 7
	v_subrev_nc_u32_e32 v28, s0, v28
	s_mul_i32 s0, s26, 0x60
	v_subrev_nc_u32_e32 v27, s1, v27
	v_subrev_nc_u32_e32 v32, s0, v26
	s_lshl_b32 s0, s26, 6
	s_lshl_b32 s1, s26, 5
	v_subrev_nc_u32_e32 v29, s0, v29
	v_subrev_nc_u32_e32 v30, s1, v30
	v_or_b32_e32 v4, 0x60, v0
	v_or_b32_e32 v5, 0x80, v0
	;; [unrolled: 1-line block ×5, first 2 shown]
	v_mad_u32 v18, s16, v18, v0
	v_mad_u32 v19, s16, v19, v0
	;; [unrolled: 1-line block ×4, first 2 shown]
	v_mul_lo_u32 v25, s16, v25
	v_mul_lo_u32 v26, s16, v28
	;; [unrolled: 1-line block ×7, first 2 shown]
	v_cmp_gt_i32_e64 s10, s16, v3
	v_cmp_gt_i32_e64 s11, s16, v4
	;; [unrolled: 1-line block ×6, first 2 shown]
	s_ashr_i32 s19, s18, 31
	v_dual_cndmask_b32 v32, v9, v8 :: v_dual_cndmask_b32 v33, v2, v17
	s_lshl_b64 s[0:1], s[18:19], 2
	s_and_b32 s37, s2, s10
	s_and_b32 s38, s2, s11
	s_and_b32 s39, s2, s12
	s_and_b32 s40, s2, s13
	s_and_b32 s41, s2, s14
	s_and_b32 s2, s2, s15
	s_and_b32 s44, s3, s10
	s_and_b32 s45, s3, s11
	s_and_b32 s46, s3, s12
	s_and_b32 s47, s3, s13
	s_and_b32 s48, s3, s14
	s_and_b32 s3, s3, s15
	s_and_b32 s51, s5, s10
	s_and_b32 s52, s5, s11
	s_and_b32 s53, s5, s12
	s_and_b32 s54, s5, s13
	s_and_b32 s55, s5, s14
	s_and_b32 s5, s5, s15
	s_and_b32 s58, s6, s10
	s_and_b32 s59, s6, s11
	s_and_b32 s60, s6, s12
	s_and_b32 s61, s6, s13
	s_and_b32 s62, s6, s14
	s_and_b32 s6, s6, s15
	s_and_b32 s65, s7, s10
	s_and_b32 s66, s7, s11
	s_and_b32 s67, s7, s12
	s_and_b32 s68, s7, s13
	s_and_b32 s69, s7, s14
	s_and_b32 s7, s7, s15
	s_and_b32 s72, s8, s10
	s_and_b32 s73, s8, s11
	s_and_b32 s74, s8, s12
	s_and_b32 s75, s8, s13
	s_and_b32 s76, s8, s14
	s_and_b32 s8, s8, s15
	s_and_b32 s79, s9, s10
	s_and_b32 s80, s9, s11
	s_and_b32 s81, s9, s12
	s_and_b32 s82, s9, s13
	s_and_b32 s83, s9, s14
	s_and_b32 s9, s9, s15
	s_and_b32 s10, s4, s10
	s_and_b32 s11, s4, s11
	s_and_b32 s12, s4, s12
	s_and_b32 s13, s4, s13
	s_and_b32 s14, s4, s14
	s_and_b32 s4, s4, s15
	s_add_nc_u64 s[0:1], s[28:29], s[0:1]
	s_branch .LBB220_21
.LBB220_20:                             ;   in Loop: Header=BB220_21 Depth=1
	s_wait_xcnt 0x0
	s_or_b32 exec_lo, exec_lo, s15
	v_dual_add_nc_u32 v24, s16, v24 :: v_dual_add_nc_u32 v25, s16, v25
	v_dual_add_nc_u32 v26, s16, v26 :: v_dual_add_nc_u32 v27, s16, v27
	;; [unrolled: 1-line block ×4, first 2 shown]
	s_add_co_i32 s18, s18, 1
	s_add_co_i32 s34, s34, s33
	s_cmp_ge_i32 s18, s31
	s_add_nc_u64 s[0:1], s[0:1], 4
	s_cbranch_scc1 .LBB220_149
.LBB220_21:                             ; =>This Inner Loop Header: Depth=1
	s_load_b32 s15, s[0:1], 0x0
	s_wait_kmcnt 0x0
	s_sub_co_i32 s15, s15, s30
	s_delay_alu instid0(SALU_CYCLE_1) | instskip(NEXT) | instid1(SALU_CYCLE_1)
	s_mul_i32 s15, s15, s16
	s_add_co_i32 s15, s15, s17
	s_delay_alu instid0(SALU_CYCLE_1)
	v_add_nc_u32_e32 v35, s15, v0
	s_and_saveexec_b32 s19, s35
	s_cbranch_execnz .LBB220_85
; %bb.22:                               ;   in Loop: Header=BB220_21 Depth=1
	s_or_b32 exec_lo, exec_lo, s19
	v_add_nc_u32_e32 v34, s15, v1
	s_and_saveexec_b32 s19, s36
	s_cbranch_execnz .LBB220_86
.LBB220_23:                             ;   in Loop: Header=BB220_21 Depth=1
	s_or_b32 exec_lo, exec_lo, s19
	v_add_nc_u32_e32 v36, s15, v3
	s_and_saveexec_b32 s19, s37
	s_cbranch_execnz .LBB220_87
.LBB220_24:                             ;   in Loop: Header=BB220_21 Depth=1
	s_or_b32 exec_lo, exec_lo, s19
	v_add_nc_u32_e32 v37, s15, v4
	s_and_saveexec_b32 s19, s38
	s_cbranch_execnz .LBB220_88
.LBB220_25:                             ;   in Loop: Header=BB220_21 Depth=1
	s_or_b32 exec_lo, exec_lo, s19
	v_add_nc_u32_e32 v38, s15, v5
	s_and_saveexec_b32 s19, s39
	s_cbranch_execnz .LBB220_89
.LBB220_26:                             ;   in Loop: Header=BB220_21 Depth=1
	s_or_b32 exec_lo, exec_lo, s19
	v_add_nc_u32_e32 v39, s15, v6
	s_and_saveexec_b32 s19, s40
	s_cbranch_execnz .LBB220_90
.LBB220_27:                             ;   in Loop: Header=BB220_21 Depth=1
	s_or_b32 exec_lo, exec_lo, s19
	v_add_nc_u32_e32 v40, s15, v7
	s_and_saveexec_b32 s19, s41
	s_cbranch_execnz .LBB220_91
.LBB220_28:                             ;   in Loop: Header=BB220_21 Depth=1
	s_or_b32 exec_lo, exec_lo, s19
	v_add_nc_u32_e32 v41, s15, v10
	s_and_saveexec_b32 s15, s2
	s_cbranch_execnz .LBB220_92
.LBB220_29:                             ;   in Loop: Header=BB220_21 Depth=1
	s_or_b32 exec_lo, exec_lo, s15
	s_and_saveexec_b32 s15, s42
	s_cbranch_execnz .LBB220_93
.LBB220_30:                             ;   in Loop: Header=BB220_21 Depth=1
	s_or_b32 exec_lo, exec_lo, s15
	s_and_saveexec_b32 s15, s43
	s_cbranch_execnz .LBB220_94
.LBB220_31:                             ;   in Loop: Header=BB220_21 Depth=1
	s_or_b32 exec_lo, exec_lo, s15
	s_and_saveexec_b32 s15, s44
	s_cbranch_execnz .LBB220_95
.LBB220_32:                             ;   in Loop: Header=BB220_21 Depth=1
	s_or_b32 exec_lo, exec_lo, s15
	s_and_saveexec_b32 s15, s45
	s_cbranch_execnz .LBB220_96
.LBB220_33:                             ;   in Loop: Header=BB220_21 Depth=1
	s_or_b32 exec_lo, exec_lo, s15
	s_and_saveexec_b32 s15, s46
	s_cbranch_execnz .LBB220_97
.LBB220_34:                             ;   in Loop: Header=BB220_21 Depth=1
	s_or_b32 exec_lo, exec_lo, s15
	s_and_saveexec_b32 s15, s47
	s_cbranch_execnz .LBB220_98
.LBB220_35:                             ;   in Loop: Header=BB220_21 Depth=1
	s_or_b32 exec_lo, exec_lo, s15
	s_and_saveexec_b32 s15, s48
	s_cbranch_execnz .LBB220_99
.LBB220_36:                             ;   in Loop: Header=BB220_21 Depth=1
	s_or_b32 exec_lo, exec_lo, s15
	s_and_saveexec_b32 s15, s3
	s_cbranch_execnz .LBB220_100
.LBB220_37:                             ;   in Loop: Header=BB220_21 Depth=1
	s_or_b32 exec_lo, exec_lo, s15
	s_and_saveexec_b32 s15, s49
	s_cbranch_execnz .LBB220_101
.LBB220_38:                             ;   in Loop: Header=BB220_21 Depth=1
	s_or_b32 exec_lo, exec_lo, s15
	s_and_saveexec_b32 s15, s50
	s_cbranch_execnz .LBB220_102
.LBB220_39:                             ;   in Loop: Header=BB220_21 Depth=1
	s_or_b32 exec_lo, exec_lo, s15
	s_and_saveexec_b32 s15, s51
	s_cbranch_execnz .LBB220_103
.LBB220_40:                             ;   in Loop: Header=BB220_21 Depth=1
	s_or_b32 exec_lo, exec_lo, s15
	s_and_saveexec_b32 s15, s52
	s_cbranch_execnz .LBB220_104
.LBB220_41:                             ;   in Loop: Header=BB220_21 Depth=1
	s_or_b32 exec_lo, exec_lo, s15
	s_and_saveexec_b32 s15, s53
	s_cbranch_execnz .LBB220_105
.LBB220_42:                             ;   in Loop: Header=BB220_21 Depth=1
	s_or_b32 exec_lo, exec_lo, s15
	s_and_saveexec_b32 s15, s54
	s_cbranch_execnz .LBB220_106
.LBB220_43:                             ;   in Loop: Header=BB220_21 Depth=1
	s_or_b32 exec_lo, exec_lo, s15
	s_and_saveexec_b32 s15, s55
	s_cbranch_execnz .LBB220_107
.LBB220_44:                             ;   in Loop: Header=BB220_21 Depth=1
	s_or_b32 exec_lo, exec_lo, s15
	s_and_saveexec_b32 s15, s5
	s_cbranch_execnz .LBB220_108
.LBB220_45:                             ;   in Loop: Header=BB220_21 Depth=1
	s_or_b32 exec_lo, exec_lo, s15
	s_and_saveexec_b32 s15, s56
	s_cbranch_execnz .LBB220_109
.LBB220_46:                             ;   in Loop: Header=BB220_21 Depth=1
	s_or_b32 exec_lo, exec_lo, s15
	s_and_saveexec_b32 s15, s57
	s_cbranch_execnz .LBB220_110
.LBB220_47:                             ;   in Loop: Header=BB220_21 Depth=1
	s_or_b32 exec_lo, exec_lo, s15
	s_and_saveexec_b32 s15, s58
	s_cbranch_execnz .LBB220_111
.LBB220_48:                             ;   in Loop: Header=BB220_21 Depth=1
	s_or_b32 exec_lo, exec_lo, s15
	s_and_saveexec_b32 s15, s59
	s_cbranch_execnz .LBB220_112
.LBB220_49:                             ;   in Loop: Header=BB220_21 Depth=1
	s_or_b32 exec_lo, exec_lo, s15
	s_and_saveexec_b32 s15, s60
	s_cbranch_execnz .LBB220_113
.LBB220_50:                             ;   in Loop: Header=BB220_21 Depth=1
	s_or_b32 exec_lo, exec_lo, s15
	s_and_saveexec_b32 s15, s61
	s_cbranch_execnz .LBB220_114
.LBB220_51:                             ;   in Loop: Header=BB220_21 Depth=1
	s_or_b32 exec_lo, exec_lo, s15
	s_and_saveexec_b32 s15, s62
	s_cbranch_execnz .LBB220_115
.LBB220_52:                             ;   in Loop: Header=BB220_21 Depth=1
	s_or_b32 exec_lo, exec_lo, s15
	s_and_saveexec_b32 s15, s6
	s_cbranch_execnz .LBB220_116
.LBB220_53:                             ;   in Loop: Header=BB220_21 Depth=1
	s_or_b32 exec_lo, exec_lo, s15
	s_and_saveexec_b32 s15, s63
	s_cbranch_execnz .LBB220_117
.LBB220_54:                             ;   in Loop: Header=BB220_21 Depth=1
	s_or_b32 exec_lo, exec_lo, s15
	s_and_saveexec_b32 s15, s64
	s_cbranch_execnz .LBB220_118
.LBB220_55:                             ;   in Loop: Header=BB220_21 Depth=1
	s_or_b32 exec_lo, exec_lo, s15
	s_and_saveexec_b32 s15, s65
	s_cbranch_execnz .LBB220_119
.LBB220_56:                             ;   in Loop: Header=BB220_21 Depth=1
	s_or_b32 exec_lo, exec_lo, s15
	s_and_saveexec_b32 s15, s66
	s_cbranch_execnz .LBB220_120
.LBB220_57:                             ;   in Loop: Header=BB220_21 Depth=1
	s_or_b32 exec_lo, exec_lo, s15
	s_and_saveexec_b32 s15, s67
	s_cbranch_execnz .LBB220_121
.LBB220_58:                             ;   in Loop: Header=BB220_21 Depth=1
	s_or_b32 exec_lo, exec_lo, s15
	s_and_saveexec_b32 s15, s68
	s_cbranch_execnz .LBB220_122
.LBB220_59:                             ;   in Loop: Header=BB220_21 Depth=1
	s_or_b32 exec_lo, exec_lo, s15
	s_and_saveexec_b32 s15, s69
	s_cbranch_execnz .LBB220_123
.LBB220_60:                             ;   in Loop: Header=BB220_21 Depth=1
	s_or_b32 exec_lo, exec_lo, s15
	s_and_saveexec_b32 s15, s7
	s_cbranch_execnz .LBB220_124
.LBB220_61:                             ;   in Loop: Header=BB220_21 Depth=1
	s_or_b32 exec_lo, exec_lo, s15
	s_and_saveexec_b32 s15, s70
	s_cbranch_execnz .LBB220_125
.LBB220_62:                             ;   in Loop: Header=BB220_21 Depth=1
	s_or_b32 exec_lo, exec_lo, s15
	s_and_saveexec_b32 s15, s71
	s_cbranch_execnz .LBB220_126
.LBB220_63:                             ;   in Loop: Header=BB220_21 Depth=1
	s_or_b32 exec_lo, exec_lo, s15
	s_and_saveexec_b32 s15, s72
	s_cbranch_execnz .LBB220_127
.LBB220_64:                             ;   in Loop: Header=BB220_21 Depth=1
	s_or_b32 exec_lo, exec_lo, s15
	s_and_saveexec_b32 s15, s73
	s_cbranch_execnz .LBB220_128
.LBB220_65:                             ;   in Loop: Header=BB220_21 Depth=1
	s_or_b32 exec_lo, exec_lo, s15
	s_and_saveexec_b32 s15, s74
	s_cbranch_execnz .LBB220_129
.LBB220_66:                             ;   in Loop: Header=BB220_21 Depth=1
	s_or_b32 exec_lo, exec_lo, s15
	s_and_saveexec_b32 s15, s75
	s_cbranch_execnz .LBB220_130
.LBB220_67:                             ;   in Loop: Header=BB220_21 Depth=1
	s_or_b32 exec_lo, exec_lo, s15
	s_and_saveexec_b32 s15, s76
	s_cbranch_execnz .LBB220_131
.LBB220_68:                             ;   in Loop: Header=BB220_21 Depth=1
	s_or_b32 exec_lo, exec_lo, s15
	s_and_saveexec_b32 s15, s8
	s_cbranch_execnz .LBB220_132
.LBB220_69:                             ;   in Loop: Header=BB220_21 Depth=1
	s_or_b32 exec_lo, exec_lo, s15
	s_and_saveexec_b32 s15, s77
	s_cbranch_execnz .LBB220_133
.LBB220_70:                             ;   in Loop: Header=BB220_21 Depth=1
	s_or_b32 exec_lo, exec_lo, s15
	s_and_saveexec_b32 s15, s78
	s_cbranch_execnz .LBB220_134
.LBB220_71:                             ;   in Loop: Header=BB220_21 Depth=1
	s_or_b32 exec_lo, exec_lo, s15
	s_and_saveexec_b32 s15, s79
	s_cbranch_execnz .LBB220_135
.LBB220_72:                             ;   in Loop: Header=BB220_21 Depth=1
	s_or_b32 exec_lo, exec_lo, s15
	s_and_saveexec_b32 s15, s80
	s_cbranch_execnz .LBB220_136
.LBB220_73:                             ;   in Loop: Header=BB220_21 Depth=1
	s_or_b32 exec_lo, exec_lo, s15
	s_and_saveexec_b32 s15, s81
	s_cbranch_execnz .LBB220_137
.LBB220_74:                             ;   in Loop: Header=BB220_21 Depth=1
	s_or_b32 exec_lo, exec_lo, s15
	s_and_saveexec_b32 s15, s82
	s_cbranch_execnz .LBB220_138
.LBB220_75:                             ;   in Loop: Header=BB220_21 Depth=1
	s_or_b32 exec_lo, exec_lo, s15
	s_and_saveexec_b32 s15, s83
	s_cbranch_execnz .LBB220_139
.LBB220_76:                             ;   in Loop: Header=BB220_21 Depth=1
	s_or_b32 exec_lo, exec_lo, s15
	s_and_saveexec_b32 s15, s9
	s_cbranch_execnz .LBB220_140
.LBB220_77:                             ;   in Loop: Header=BB220_21 Depth=1
	s_or_b32 exec_lo, exec_lo, s15
	s_and_saveexec_b32 s15, s84
	s_cbranch_execnz .LBB220_141
.LBB220_78:                             ;   in Loop: Header=BB220_21 Depth=1
	s_or_b32 exec_lo, exec_lo, s15
	s_and_saveexec_b32 s15, s85
	s_cbranch_execnz .LBB220_142
.LBB220_79:                             ;   in Loop: Header=BB220_21 Depth=1
	s_or_b32 exec_lo, exec_lo, s15
	s_and_saveexec_b32 s15, s10
	s_cbranch_execnz .LBB220_143
.LBB220_80:                             ;   in Loop: Header=BB220_21 Depth=1
	s_or_b32 exec_lo, exec_lo, s15
	s_and_saveexec_b32 s15, s11
	s_cbranch_execnz .LBB220_144
.LBB220_81:                             ;   in Loop: Header=BB220_21 Depth=1
	s_or_b32 exec_lo, exec_lo, s15
	s_and_saveexec_b32 s15, s12
	s_cbranch_execnz .LBB220_145
.LBB220_82:                             ;   in Loop: Header=BB220_21 Depth=1
	s_or_b32 exec_lo, exec_lo, s15
	s_and_saveexec_b32 s15, s13
	s_cbranch_execnz .LBB220_146
.LBB220_83:                             ;   in Loop: Header=BB220_21 Depth=1
	s_or_b32 exec_lo, exec_lo, s15
	s_and_saveexec_b32 s15, s14
	s_cbranch_execnz .LBB220_147
.LBB220_84:                             ;   in Loop: Header=BB220_21 Depth=1
	s_or_b32 exec_lo, exec_lo, s15
	s_and_saveexec_b32 s15, s4
	s_cbranch_execz .LBB220_20
	s_branch .LBB220_148
.LBB220_85:                             ;   in Loop: Header=BB220_21 Depth=1
	v_add_nc_u32_e32 v34, s34, v32
	global_load_b64 v[36:37], v34, s[20:21] scale_offset
	s_wait_xcnt 0x0
	v_add_nc_u32_e32 v34, v0, v31
	global_store_b32 v34, v35, s[24:25] scale_offset
	s_wait_loadcnt 0x0
	global_store_b64 v34, v[36:37], s[22:23] scale_offset
	s_wait_xcnt 0x0
	s_or_b32 exec_lo, exec_lo, s19
	v_add_nc_u32_e32 v34, s15, v1
	s_and_saveexec_b32 s19, s36
	s_cbranch_execz .LBB220_23
.LBB220_86:                             ;   in Loop: Header=BB220_21 Depth=1
	v_add3_u32 v36, v8, s34, 32
	v_add_nc_u32_e32 v37, s34, v2
	v_add3_u32 v38, v0, v31, 32
	s_delay_alu instid0(VALU_DEP_2)
	v_cndmask_b32_e32 v36, v37, v36, vcc_lo
	global_load_b64 v[36:37], v36, s[20:21] scale_offset
	global_store_b32 v38, v34, s[24:25] scale_offset
	s_wait_loadcnt 0x0
	global_store_b64 v38, v[36:37], s[22:23] scale_offset
	s_wait_xcnt 0x0
	s_or_b32 exec_lo, exec_lo, s19
	v_add_nc_u32_e32 v36, s15, v3
	s_and_saveexec_b32 s19, s37
	s_cbranch_execz .LBB220_24
.LBB220_87:                             ;   in Loop: Header=BB220_21 Depth=1
	v_add3_u32 v37, v8, s34, 64
	v_add_nc_u32_e32 v38, s34, v16
	s_delay_alu instid0(VALU_DEP_1)
	v_cndmask_b32_e32 v37, v38, v37, vcc_lo
	global_load_b64 v[38:39], v37, s[20:21] scale_offset
	s_wait_xcnt 0x0
	v_add3_u32 v37, v0, v31, 64
	global_store_b32 v37, v36, s[24:25] scale_offset
	s_wait_loadcnt 0x0
	global_store_b64 v37, v[38:39], s[22:23] scale_offset
	s_wait_xcnt 0x0
	s_or_b32 exec_lo, exec_lo, s19
	v_add_nc_u32_e32 v37, s15, v4
	s_and_saveexec_b32 s19, s38
	s_cbranch_execz .LBB220_25
.LBB220_88:                             ;   in Loop: Header=BB220_21 Depth=1
	v_add3_u32 v38, v8, s34, 0x60
	v_add_nc_u32_e32 v39, s34, v15
	v_add3_u32 v40, v0, v31, 0x60
	s_delay_alu instid0(VALU_DEP_2)
	v_cndmask_b32_e32 v38, v39, v38, vcc_lo
	global_load_b64 v[38:39], v38, s[20:21] scale_offset
	global_store_b32 v40, v37, s[24:25] scale_offset
	s_wait_loadcnt 0x0
	global_store_b64 v40, v[38:39], s[22:23] scale_offset
	s_wait_xcnt 0x0
	s_or_b32 exec_lo, exec_lo, s19
	v_add_nc_u32_e32 v38, s15, v5
	s_and_saveexec_b32 s19, s39
	s_cbranch_execz .LBB220_26
.LBB220_89:                             ;   in Loop: Header=BB220_21 Depth=1
	v_add3_u32 v39, v8, s34, 0x80
	v_add_nc_u32_e32 v40, s34, v14
	s_delay_alu instid0(VALU_DEP_1)
	v_cndmask_b32_e32 v39, v40, v39, vcc_lo
	global_load_b64 v[40:41], v39, s[20:21] scale_offset
	s_wait_xcnt 0x0
	v_add3_u32 v39, v0, v31, 0x80
	global_store_b32 v39, v38, s[24:25] scale_offset
	s_wait_loadcnt 0x0
	global_store_b64 v39, v[40:41], s[22:23] scale_offset
	s_wait_xcnt 0x0
	s_or_b32 exec_lo, exec_lo, s19
	v_add_nc_u32_e32 v39, s15, v6
	s_and_saveexec_b32 s19, s40
	s_cbranch_execz .LBB220_27
.LBB220_90:                             ;   in Loop: Header=BB220_21 Depth=1
	v_add3_u32 v40, v8, s34, 0xa0
	v_add_nc_u32_e32 v41, s34, v13
	v_add3_u32 v42, v0, v31, 0xa0
	s_delay_alu instid0(VALU_DEP_2)
	v_cndmask_b32_e32 v40, v41, v40, vcc_lo
	global_load_b64 v[40:41], v40, s[20:21] scale_offset
	global_store_b32 v42, v39, s[24:25] scale_offset
	s_wait_loadcnt 0x0
	global_store_b64 v42, v[40:41], s[22:23] scale_offset
	s_wait_xcnt 0x0
	s_or_b32 exec_lo, exec_lo, s19
	v_add_nc_u32_e32 v40, s15, v7
	s_and_saveexec_b32 s19, s41
	s_cbranch_execz .LBB220_28
.LBB220_91:                             ;   in Loop: Header=BB220_21 Depth=1
	v_add3_u32 v41, v8, s34, 0xc0
	v_add_nc_u32_e32 v42, s34, v12
	s_delay_alu instid0(VALU_DEP_1)
	v_cndmask_b32_e32 v41, v42, v41, vcc_lo
	global_load_b64 v[42:43], v41, s[20:21] scale_offset
	s_wait_xcnt 0x0
	v_add3_u32 v41, v0, v31, 0xc0
	global_store_b32 v41, v40, s[24:25] scale_offset
	s_wait_loadcnt 0x0
	global_store_b64 v41, v[42:43], s[22:23] scale_offset
	s_wait_xcnt 0x0
	s_or_b32 exec_lo, exec_lo, s19
	v_add_nc_u32_e32 v41, s15, v10
	s_and_saveexec_b32 s15, s2
	s_cbranch_execz .LBB220_29
.LBB220_92:                             ;   in Loop: Header=BB220_21 Depth=1
	v_add3_u32 v42, v8, s34, 0xe0
	v_add_nc_u32_e32 v43, s34, v11
	v_add3_u32 v44, v0, v31, 0xe0
	s_delay_alu instid0(VALU_DEP_2)
	v_cndmask_b32_e32 v42, v43, v42, vcc_lo
	global_load_b64 v[42:43], v42, s[20:21] scale_offset
	global_store_b32 v44, v41, s[24:25] scale_offset
	s_wait_loadcnt 0x0
	global_store_b64 v44, v[42:43], s[22:23] scale_offset
	s_wait_xcnt 0x0
	s_or_b32 exec_lo, exec_lo, s15
	s_and_saveexec_b32 s15, s42
	s_cbranch_execz .LBB220_30
.LBB220_93:                             ;   in Loop: Header=BB220_21 Depth=1
	v_dual_add_nc_u32 v42, s34, v17 :: v_dual_add_nc_u32 v44, v0, v30
	v_add3_u32 v43, v9, s34, 32
	s_delay_alu instid0(VALU_DEP_1)
	v_cndmask_b32_e32 v42, v43, v42, vcc_lo
	global_load_b64 v[42:43], v42, s[20:21] scale_offset
	global_store_b32 v44, v35, s[24:25] scale_offset
	s_wait_loadcnt 0x0
	global_store_b64 v44, v[42:43], s[22:23] scale_offset
	s_wait_xcnt 0x0
	s_or_b32 exec_lo, exec_lo, s15
	s_and_saveexec_b32 s15, s43
	s_cbranch_execz .LBB220_31
.LBB220_94:                             ;   in Loop: Header=BB220_21 Depth=1
	v_add3_u32 v42, v33, s34, 32
	v_add3_u32 v44, v0, v30, 32
	global_load_b64 v[42:43], v42, s[20:21] scale_offset
	global_store_b32 v44, v34, s[24:25] scale_offset
	s_wait_loadcnt 0x0
	global_store_b64 v44, v[42:43], s[22:23] scale_offset
	s_wait_xcnt 0x0
	s_or_b32 exec_lo, exec_lo, s15
	s_and_saveexec_b32 s15, s44
	s_cbranch_execz .LBB220_32
.LBB220_95:                             ;   in Loop: Header=BB220_21 Depth=1
	v_add3_u32 v42, v17, s34, 64
	v_add3_u32 v43, v16, s34, 32
	v_add3_u32 v44, v0, v30, 64
	s_delay_alu instid0(VALU_DEP_2)
	v_cndmask_b32_e32 v42, v43, v42, vcc_lo
	global_load_b64 v[42:43], v42, s[20:21] scale_offset
	global_store_b32 v44, v36, s[24:25] scale_offset
	s_wait_loadcnt 0x0
	global_store_b64 v44, v[42:43], s[22:23] scale_offset
	s_wait_xcnt 0x0
	s_or_b32 exec_lo, exec_lo, s15
	s_and_saveexec_b32 s15, s45
	s_cbranch_execz .LBB220_33
.LBB220_96:                             ;   in Loop: Header=BB220_21 Depth=1
	v_add3_u32 v42, v17, s34, 0x60
	v_add3_u32 v43, v15, s34, 32
	;; [unrolled: 1-line block ×3, first 2 shown]
	s_delay_alu instid0(VALU_DEP_2)
	v_cndmask_b32_e32 v42, v43, v42, vcc_lo
	global_load_b64 v[42:43], v42, s[20:21] scale_offset
	global_store_b32 v44, v37, s[24:25] scale_offset
	s_wait_loadcnt 0x0
	global_store_b64 v44, v[42:43], s[22:23] scale_offset
	s_wait_xcnt 0x0
	s_or_b32 exec_lo, exec_lo, s15
	s_and_saveexec_b32 s15, s46
	s_cbranch_execz .LBB220_34
.LBB220_97:                             ;   in Loop: Header=BB220_21 Depth=1
	v_add3_u32 v42, v17, s34, 0x80
	v_add3_u32 v43, v14, s34, 32
	;; [unrolled: 1-line block ×3, first 2 shown]
	s_delay_alu instid0(VALU_DEP_2)
	v_cndmask_b32_e32 v42, v43, v42, vcc_lo
	global_load_b64 v[42:43], v42, s[20:21] scale_offset
	global_store_b32 v44, v38, s[24:25] scale_offset
	s_wait_loadcnt 0x0
	global_store_b64 v44, v[42:43], s[22:23] scale_offset
	s_wait_xcnt 0x0
	s_or_b32 exec_lo, exec_lo, s15
	s_and_saveexec_b32 s15, s47
	s_cbranch_execz .LBB220_35
.LBB220_98:                             ;   in Loop: Header=BB220_21 Depth=1
	v_add3_u32 v42, v17, s34, 0xa0
	v_add3_u32 v43, v13, s34, 32
	;; [unrolled: 1-line block ×3, first 2 shown]
	s_delay_alu instid0(VALU_DEP_2)
	v_cndmask_b32_e32 v42, v43, v42, vcc_lo
	global_load_b64 v[42:43], v42, s[20:21] scale_offset
	global_store_b32 v44, v39, s[24:25] scale_offset
	s_wait_loadcnt 0x0
	global_store_b64 v44, v[42:43], s[22:23] scale_offset
	s_wait_xcnt 0x0
	s_or_b32 exec_lo, exec_lo, s15
	s_and_saveexec_b32 s15, s48
	s_cbranch_execz .LBB220_36
.LBB220_99:                             ;   in Loop: Header=BB220_21 Depth=1
	v_add3_u32 v42, v17, s34, 0xc0
	v_add3_u32 v43, v12, s34, 32
	;; [unrolled: 1-line block ×3, first 2 shown]
	s_delay_alu instid0(VALU_DEP_2)
	v_cndmask_b32_e32 v42, v43, v42, vcc_lo
	global_load_b64 v[42:43], v42, s[20:21] scale_offset
	global_store_b32 v44, v40, s[24:25] scale_offset
	s_wait_loadcnt 0x0
	global_store_b64 v44, v[42:43], s[22:23] scale_offset
	s_wait_xcnt 0x0
	s_or_b32 exec_lo, exec_lo, s15
	s_and_saveexec_b32 s15, s3
	s_cbranch_execz .LBB220_37
.LBB220_100:                            ;   in Loop: Header=BB220_21 Depth=1
	v_add3_u32 v42, v17, s34, 0xe0
	v_add3_u32 v43, v11, s34, 32
	;; [unrolled: 1-line block ×3, first 2 shown]
	s_delay_alu instid0(VALU_DEP_2)
	v_cndmask_b32_e32 v42, v43, v42, vcc_lo
	global_load_b64 v[42:43], v42, s[20:21] scale_offset
	global_store_b32 v44, v41, s[24:25] scale_offset
	s_wait_loadcnt 0x0
	global_store_b64 v44, v[42:43], s[22:23] scale_offset
	s_wait_xcnt 0x0
	s_or_b32 exec_lo, exec_lo, s15
	s_and_saveexec_b32 s15, s49
	s_cbranch_execz .LBB220_38
.LBB220_101:                            ;   in Loop: Header=BB220_21 Depth=1
	v_dual_add_nc_u32 v42, s34, v18 :: v_dual_add_nc_u32 v44, v0, v29
	v_add3_u32 v43, v9, s34, 64
	s_delay_alu instid0(VALU_DEP_1)
	v_cndmask_b32_e32 v42, v43, v42, vcc_lo
	global_load_b64 v[42:43], v42, s[20:21] scale_offset
	global_store_b32 v44, v35, s[24:25] scale_offset
	s_wait_loadcnt 0x0
	global_store_b64 v44, v[42:43], s[22:23] scale_offset
	s_wait_xcnt 0x0
	s_or_b32 exec_lo, exec_lo, s15
	s_and_saveexec_b32 s15, s50
	s_cbranch_execz .LBB220_39
.LBB220_102:                            ;   in Loop: Header=BB220_21 Depth=1
	v_add3_u32 v42, v18, s34, 32
	v_add3_u32 v43, v2, s34, 64
	;; [unrolled: 1-line block ×3, first 2 shown]
	s_delay_alu instid0(VALU_DEP_2)
	v_cndmask_b32_e32 v42, v43, v42, vcc_lo
	global_load_b64 v[42:43], v42, s[20:21] scale_offset
	global_store_b32 v44, v34, s[24:25] scale_offset
	s_wait_loadcnt 0x0
	global_store_b64 v44, v[42:43], s[22:23] scale_offset
	s_wait_xcnt 0x0
	s_or_b32 exec_lo, exec_lo, s15
	s_and_saveexec_b32 s15, s51
	s_cbranch_execz .LBB220_40
.LBB220_103:                            ;   in Loop: Header=BB220_21 Depth=1
	v_cndmask_b32_e32 v42, v16, v18, vcc_lo
	v_add3_u32 v44, v0, v29, 64
	s_delay_alu instid0(VALU_DEP_2)
	v_add3_u32 v42, v42, s34, 64
	global_load_b64 v[42:43], v42, s[20:21] scale_offset
	global_store_b32 v44, v36, s[24:25] scale_offset
	s_wait_loadcnt 0x0
	global_store_b64 v44, v[42:43], s[22:23] scale_offset
	s_wait_xcnt 0x0
	s_or_b32 exec_lo, exec_lo, s15
	s_and_saveexec_b32 s15, s52
	s_cbranch_execz .LBB220_41
.LBB220_104:                            ;   in Loop: Header=BB220_21 Depth=1
	v_add3_u32 v42, v18, s34, 0x60
	v_add3_u32 v43, v15, s34, 64
	;; [unrolled: 1-line block ×3, first 2 shown]
	s_delay_alu instid0(VALU_DEP_2)
	v_cndmask_b32_e32 v42, v43, v42, vcc_lo
	global_load_b64 v[42:43], v42, s[20:21] scale_offset
	global_store_b32 v44, v37, s[24:25] scale_offset
	s_wait_loadcnt 0x0
	global_store_b64 v44, v[42:43], s[22:23] scale_offset
	s_wait_xcnt 0x0
	s_or_b32 exec_lo, exec_lo, s15
	s_and_saveexec_b32 s15, s53
	s_cbranch_execz .LBB220_42
.LBB220_105:                            ;   in Loop: Header=BB220_21 Depth=1
	v_add3_u32 v42, v18, s34, 0x80
	v_add3_u32 v43, v14, s34, 64
	;; [unrolled: 1-line block ×3, first 2 shown]
	s_delay_alu instid0(VALU_DEP_2)
	v_cndmask_b32_e32 v42, v43, v42, vcc_lo
	global_load_b64 v[42:43], v42, s[20:21] scale_offset
	global_store_b32 v44, v38, s[24:25] scale_offset
	s_wait_loadcnt 0x0
	global_store_b64 v44, v[42:43], s[22:23] scale_offset
	s_wait_xcnt 0x0
	s_or_b32 exec_lo, exec_lo, s15
	s_and_saveexec_b32 s15, s54
	s_cbranch_execz .LBB220_43
.LBB220_106:                            ;   in Loop: Header=BB220_21 Depth=1
	v_add3_u32 v42, v18, s34, 0xa0
	v_add3_u32 v43, v13, s34, 64
	;; [unrolled: 1-line block ×3, first 2 shown]
	s_delay_alu instid0(VALU_DEP_2)
	v_cndmask_b32_e32 v42, v43, v42, vcc_lo
	global_load_b64 v[42:43], v42, s[20:21] scale_offset
	global_store_b32 v44, v39, s[24:25] scale_offset
	s_wait_loadcnt 0x0
	global_store_b64 v44, v[42:43], s[22:23] scale_offset
	s_wait_xcnt 0x0
	s_or_b32 exec_lo, exec_lo, s15
	s_and_saveexec_b32 s15, s55
	s_cbranch_execz .LBB220_44
.LBB220_107:                            ;   in Loop: Header=BB220_21 Depth=1
	v_add3_u32 v42, v18, s34, 0xc0
	v_add3_u32 v43, v12, s34, 64
	v_add3_u32 v44, v0, v29, 0xc0
	s_delay_alu instid0(VALU_DEP_2)
	v_cndmask_b32_e32 v42, v43, v42, vcc_lo
	global_load_b64 v[42:43], v42, s[20:21] scale_offset
	global_store_b32 v44, v40, s[24:25] scale_offset
	s_wait_loadcnt 0x0
	global_store_b64 v44, v[42:43], s[22:23] scale_offset
	s_wait_xcnt 0x0
	s_or_b32 exec_lo, exec_lo, s15
	s_and_saveexec_b32 s15, s5
	s_cbranch_execz .LBB220_45
.LBB220_108:                            ;   in Loop: Header=BB220_21 Depth=1
	v_add3_u32 v42, v18, s34, 0xe0
	v_add3_u32 v43, v11, s34, 64
	;; [unrolled: 1-line block ×3, first 2 shown]
	s_delay_alu instid0(VALU_DEP_2)
	v_cndmask_b32_e32 v42, v43, v42, vcc_lo
	global_load_b64 v[42:43], v42, s[20:21] scale_offset
	global_store_b32 v44, v41, s[24:25] scale_offset
	s_wait_loadcnt 0x0
	global_store_b64 v44, v[42:43], s[22:23] scale_offset
	s_wait_xcnt 0x0
	s_or_b32 exec_lo, exec_lo, s15
	s_and_saveexec_b32 s15, s56
	s_cbranch_execz .LBB220_46
.LBB220_109:                            ;   in Loop: Header=BB220_21 Depth=1
	v_dual_add_nc_u32 v42, s34, v19 :: v_dual_add_nc_u32 v44, v0, v28
	v_add3_u32 v43, v9, s34, 0x60
	s_delay_alu instid0(VALU_DEP_1)
	v_cndmask_b32_e32 v42, v43, v42, vcc_lo
	global_load_b64 v[42:43], v42, s[20:21] scale_offset
	global_store_b32 v44, v35, s[24:25] scale_offset
	s_wait_loadcnt 0x0
	global_store_b64 v44, v[42:43], s[22:23] scale_offset
	s_wait_xcnt 0x0
	s_or_b32 exec_lo, exec_lo, s15
	s_and_saveexec_b32 s15, s57
	s_cbranch_execz .LBB220_47
.LBB220_110:                            ;   in Loop: Header=BB220_21 Depth=1
	v_add3_u32 v42, v19, s34, 32
	v_add3_u32 v43, v2, s34, 0x60
	;; [unrolled: 1-line block ×3, first 2 shown]
	s_delay_alu instid0(VALU_DEP_2)
	v_cndmask_b32_e32 v42, v43, v42, vcc_lo
	global_load_b64 v[42:43], v42, s[20:21] scale_offset
	global_store_b32 v44, v34, s[24:25] scale_offset
	s_wait_loadcnt 0x0
	global_store_b64 v44, v[42:43], s[22:23] scale_offset
	s_wait_xcnt 0x0
	s_or_b32 exec_lo, exec_lo, s15
	s_and_saveexec_b32 s15, s58
	s_cbranch_execz .LBB220_48
.LBB220_111:                            ;   in Loop: Header=BB220_21 Depth=1
	v_add3_u32 v42, v19, s34, 64
	v_add3_u32 v43, v16, s34, 0x60
	;; [unrolled: 1-line block ×3, first 2 shown]
	s_delay_alu instid0(VALU_DEP_2)
	v_cndmask_b32_e32 v42, v43, v42, vcc_lo
	global_load_b64 v[42:43], v42, s[20:21] scale_offset
	global_store_b32 v44, v36, s[24:25] scale_offset
	s_wait_loadcnt 0x0
	global_store_b64 v44, v[42:43], s[22:23] scale_offset
	s_wait_xcnt 0x0
	s_or_b32 exec_lo, exec_lo, s15
	s_and_saveexec_b32 s15, s59
	s_cbranch_execz .LBB220_49
.LBB220_112:                            ;   in Loop: Header=BB220_21 Depth=1
	v_cndmask_b32_e32 v42, v15, v19, vcc_lo
	v_add3_u32 v44, v0, v28, 0x60
	s_delay_alu instid0(VALU_DEP_2)
	v_add3_u32 v42, v42, s34, 0x60
	global_load_b64 v[42:43], v42, s[20:21] scale_offset
	global_store_b32 v44, v37, s[24:25] scale_offset
	s_wait_loadcnt 0x0
	global_store_b64 v44, v[42:43], s[22:23] scale_offset
	s_wait_xcnt 0x0
	s_or_b32 exec_lo, exec_lo, s15
	s_and_saveexec_b32 s15, s60
	s_cbranch_execz .LBB220_50
.LBB220_113:                            ;   in Loop: Header=BB220_21 Depth=1
	v_add3_u32 v42, v19, s34, 0x80
	v_add3_u32 v43, v14, s34, 0x60
	;; [unrolled: 1-line block ×3, first 2 shown]
	s_delay_alu instid0(VALU_DEP_2)
	v_cndmask_b32_e32 v42, v43, v42, vcc_lo
	global_load_b64 v[42:43], v42, s[20:21] scale_offset
	global_store_b32 v44, v38, s[24:25] scale_offset
	s_wait_loadcnt 0x0
	global_store_b64 v44, v[42:43], s[22:23] scale_offset
	s_wait_xcnt 0x0
	s_or_b32 exec_lo, exec_lo, s15
	s_and_saveexec_b32 s15, s61
	s_cbranch_execz .LBB220_51
.LBB220_114:                            ;   in Loop: Header=BB220_21 Depth=1
	v_add3_u32 v42, v19, s34, 0xa0
	v_add3_u32 v43, v13, s34, 0x60
	;; [unrolled: 1-line block ×3, first 2 shown]
	s_delay_alu instid0(VALU_DEP_2)
	v_cndmask_b32_e32 v42, v43, v42, vcc_lo
	global_load_b64 v[42:43], v42, s[20:21] scale_offset
	global_store_b32 v44, v39, s[24:25] scale_offset
	s_wait_loadcnt 0x0
	global_store_b64 v44, v[42:43], s[22:23] scale_offset
	s_wait_xcnt 0x0
	s_or_b32 exec_lo, exec_lo, s15
	s_and_saveexec_b32 s15, s62
	s_cbranch_execz .LBB220_52
.LBB220_115:                            ;   in Loop: Header=BB220_21 Depth=1
	v_add3_u32 v42, v19, s34, 0xc0
	v_add3_u32 v43, v12, s34, 0x60
	;; [unrolled: 1-line block ×3, first 2 shown]
	s_delay_alu instid0(VALU_DEP_2)
	v_cndmask_b32_e32 v42, v43, v42, vcc_lo
	global_load_b64 v[42:43], v42, s[20:21] scale_offset
	global_store_b32 v44, v40, s[24:25] scale_offset
	s_wait_loadcnt 0x0
	global_store_b64 v44, v[42:43], s[22:23] scale_offset
	s_wait_xcnt 0x0
	s_or_b32 exec_lo, exec_lo, s15
	s_and_saveexec_b32 s15, s6
	s_cbranch_execz .LBB220_53
.LBB220_116:                            ;   in Loop: Header=BB220_21 Depth=1
	v_add3_u32 v42, v19, s34, 0xe0
	v_add3_u32 v43, v11, s34, 0x60
	;; [unrolled: 1-line block ×3, first 2 shown]
	s_delay_alu instid0(VALU_DEP_2)
	v_cndmask_b32_e32 v42, v43, v42, vcc_lo
	global_load_b64 v[42:43], v42, s[20:21] scale_offset
	global_store_b32 v44, v41, s[24:25] scale_offset
	s_wait_loadcnt 0x0
	global_store_b64 v44, v[42:43], s[22:23] scale_offset
	s_wait_xcnt 0x0
	s_or_b32 exec_lo, exec_lo, s15
	s_and_saveexec_b32 s15, s63
	s_cbranch_execz .LBB220_54
.LBB220_117:                            ;   in Loop: Header=BB220_21 Depth=1
	v_dual_add_nc_u32 v42, s34, v20 :: v_dual_add_nc_u32 v44, v0, v27
	v_add3_u32 v43, v9, s34, 0x80
	s_delay_alu instid0(VALU_DEP_1)
	v_cndmask_b32_e32 v42, v43, v42, vcc_lo
	global_load_b64 v[42:43], v42, s[20:21] scale_offset
	global_store_b32 v44, v35, s[24:25] scale_offset
	s_wait_loadcnt 0x0
	global_store_b64 v44, v[42:43], s[22:23] scale_offset
	s_wait_xcnt 0x0
	s_or_b32 exec_lo, exec_lo, s15
	s_and_saveexec_b32 s15, s64
	s_cbranch_execz .LBB220_55
.LBB220_118:                            ;   in Loop: Header=BB220_21 Depth=1
	v_add3_u32 v42, v20, s34, 32
	v_add3_u32 v43, v2, s34, 0x80
	;; [unrolled: 1-line block ×3, first 2 shown]
	s_delay_alu instid0(VALU_DEP_2)
	v_cndmask_b32_e32 v42, v43, v42, vcc_lo
	global_load_b64 v[42:43], v42, s[20:21] scale_offset
	global_store_b32 v44, v34, s[24:25] scale_offset
	s_wait_loadcnt 0x0
	global_store_b64 v44, v[42:43], s[22:23] scale_offset
	s_wait_xcnt 0x0
	s_or_b32 exec_lo, exec_lo, s15
	s_and_saveexec_b32 s15, s65
	s_cbranch_execz .LBB220_56
.LBB220_119:                            ;   in Loop: Header=BB220_21 Depth=1
	v_add3_u32 v42, v20, s34, 64
	v_add3_u32 v43, v16, s34, 0x80
	;; [unrolled: 1-line block ×3, first 2 shown]
	s_delay_alu instid0(VALU_DEP_2)
	v_cndmask_b32_e32 v42, v43, v42, vcc_lo
	global_load_b64 v[42:43], v42, s[20:21] scale_offset
	global_store_b32 v44, v36, s[24:25] scale_offset
	s_wait_loadcnt 0x0
	global_store_b64 v44, v[42:43], s[22:23] scale_offset
	s_wait_xcnt 0x0
	s_or_b32 exec_lo, exec_lo, s15
	s_and_saveexec_b32 s15, s66
	s_cbranch_execz .LBB220_57
.LBB220_120:                            ;   in Loop: Header=BB220_21 Depth=1
	v_add3_u32 v42, v20, s34, 0x60
	v_add3_u32 v43, v15, s34, 0x80
	;; [unrolled: 1-line block ×3, first 2 shown]
	s_delay_alu instid0(VALU_DEP_2)
	v_cndmask_b32_e32 v42, v43, v42, vcc_lo
	global_load_b64 v[42:43], v42, s[20:21] scale_offset
	global_store_b32 v44, v37, s[24:25] scale_offset
	s_wait_loadcnt 0x0
	global_store_b64 v44, v[42:43], s[22:23] scale_offset
	s_wait_xcnt 0x0
	s_or_b32 exec_lo, exec_lo, s15
	s_and_saveexec_b32 s15, s67
	s_cbranch_execz .LBB220_58
.LBB220_121:                            ;   in Loop: Header=BB220_21 Depth=1
	v_cndmask_b32_e32 v42, v14, v20, vcc_lo
	v_add3_u32 v44, v0, v27, 0x80
	s_delay_alu instid0(VALU_DEP_2)
	v_add3_u32 v42, v42, s34, 0x80
	global_load_b64 v[42:43], v42, s[20:21] scale_offset
	global_store_b32 v44, v38, s[24:25] scale_offset
	s_wait_loadcnt 0x0
	global_store_b64 v44, v[42:43], s[22:23] scale_offset
	s_wait_xcnt 0x0
	s_or_b32 exec_lo, exec_lo, s15
	s_and_saveexec_b32 s15, s68
	s_cbranch_execz .LBB220_59
.LBB220_122:                            ;   in Loop: Header=BB220_21 Depth=1
	v_add3_u32 v42, v20, s34, 0xa0
	v_add3_u32 v43, v13, s34, 0x80
	;; [unrolled: 1-line block ×3, first 2 shown]
	s_delay_alu instid0(VALU_DEP_2)
	v_cndmask_b32_e32 v42, v43, v42, vcc_lo
	global_load_b64 v[42:43], v42, s[20:21] scale_offset
	global_store_b32 v44, v39, s[24:25] scale_offset
	s_wait_loadcnt 0x0
	global_store_b64 v44, v[42:43], s[22:23] scale_offset
	s_wait_xcnt 0x0
	s_or_b32 exec_lo, exec_lo, s15
	s_and_saveexec_b32 s15, s69
	s_cbranch_execz .LBB220_60
.LBB220_123:                            ;   in Loop: Header=BB220_21 Depth=1
	v_add3_u32 v42, v20, s34, 0xc0
	v_add3_u32 v43, v12, s34, 0x80
	;; [unrolled: 1-line block ×3, first 2 shown]
	s_delay_alu instid0(VALU_DEP_2)
	v_cndmask_b32_e32 v42, v43, v42, vcc_lo
	global_load_b64 v[42:43], v42, s[20:21] scale_offset
	global_store_b32 v44, v40, s[24:25] scale_offset
	s_wait_loadcnt 0x0
	global_store_b64 v44, v[42:43], s[22:23] scale_offset
	s_wait_xcnt 0x0
	s_or_b32 exec_lo, exec_lo, s15
	s_and_saveexec_b32 s15, s7
	s_cbranch_execz .LBB220_61
.LBB220_124:                            ;   in Loop: Header=BB220_21 Depth=1
	v_add3_u32 v42, v20, s34, 0xe0
	v_add3_u32 v43, v11, s34, 0x80
	;; [unrolled: 1-line block ×3, first 2 shown]
	s_delay_alu instid0(VALU_DEP_2)
	v_cndmask_b32_e32 v42, v43, v42, vcc_lo
	global_load_b64 v[42:43], v42, s[20:21] scale_offset
	global_store_b32 v44, v41, s[24:25] scale_offset
	s_wait_loadcnt 0x0
	global_store_b64 v44, v[42:43], s[22:23] scale_offset
	s_wait_xcnt 0x0
	s_or_b32 exec_lo, exec_lo, s15
	s_and_saveexec_b32 s15, s70
	s_cbranch_execz .LBB220_62
.LBB220_125:                            ;   in Loop: Header=BB220_21 Depth=1
	v_dual_add_nc_u32 v42, s34, v21 :: v_dual_add_nc_u32 v44, v0, v26
	v_add3_u32 v43, v9, s34, 0xa0
	s_delay_alu instid0(VALU_DEP_1)
	v_cndmask_b32_e32 v42, v43, v42, vcc_lo
	global_load_b64 v[42:43], v42, s[20:21] scale_offset
	global_store_b32 v44, v35, s[24:25] scale_offset
	s_wait_loadcnt 0x0
	global_store_b64 v44, v[42:43], s[22:23] scale_offset
	s_wait_xcnt 0x0
	s_or_b32 exec_lo, exec_lo, s15
	s_and_saveexec_b32 s15, s71
	s_cbranch_execz .LBB220_63
.LBB220_126:                            ;   in Loop: Header=BB220_21 Depth=1
	v_add3_u32 v42, v21, s34, 32
	v_add3_u32 v43, v2, s34, 0xa0
	;; [unrolled: 1-line block ×3, first 2 shown]
	s_delay_alu instid0(VALU_DEP_2)
	v_cndmask_b32_e32 v42, v43, v42, vcc_lo
	global_load_b64 v[42:43], v42, s[20:21] scale_offset
	global_store_b32 v44, v34, s[24:25] scale_offset
	s_wait_loadcnt 0x0
	global_store_b64 v44, v[42:43], s[22:23] scale_offset
	s_wait_xcnt 0x0
	s_or_b32 exec_lo, exec_lo, s15
	s_and_saveexec_b32 s15, s72
	s_cbranch_execz .LBB220_64
.LBB220_127:                            ;   in Loop: Header=BB220_21 Depth=1
	v_add3_u32 v42, v21, s34, 64
	v_add3_u32 v43, v16, s34, 0xa0
	;; [unrolled: 1-line block ×3, first 2 shown]
	s_delay_alu instid0(VALU_DEP_2)
	v_cndmask_b32_e32 v42, v43, v42, vcc_lo
	global_load_b64 v[42:43], v42, s[20:21] scale_offset
	global_store_b32 v44, v36, s[24:25] scale_offset
	s_wait_loadcnt 0x0
	global_store_b64 v44, v[42:43], s[22:23] scale_offset
	s_wait_xcnt 0x0
	s_or_b32 exec_lo, exec_lo, s15
	s_and_saveexec_b32 s15, s73
	s_cbranch_execz .LBB220_65
.LBB220_128:                            ;   in Loop: Header=BB220_21 Depth=1
	v_add3_u32 v42, v21, s34, 0x60
	v_add3_u32 v43, v15, s34, 0xa0
	;; [unrolled: 1-line block ×3, first 2 shown]
	s_delay_alu instid0(VALU_DEP_2)
	v_cndmask_b32_e32 v42, v43, v42, vcc_lo
	global_load_b64 v[42:43], v42, s[20:21] scale_offset
	global_store_b32 v44, v37, s[24:25] scale_offset
	s_wait_loadcnt 0x0
	global_store_b64 v44, v[42:43], s[22:23] scale_offset
	s_wait_xcnt 0x0
	s_or_b32 exec_lo, exec_lo, s15
	s_and_saveexec_b32 s15, s74
	s_cbranch_execz .LBB220_66
.LBB220_129:                            ;   in Loop: Header=BB220_21 Depth=1
	v_add3_u32 v42, v21, s34, 0x80
	v_add3_u32 v43, v14, s34, 0xa0
	v_add3_u32 v44, v0, v26, 0x80
	s_delay_alu instid0(VALU_DEP_2)
	v_cndmask_b32_e32 v42, v43, v42, vcc_lo
	global_load_b64 v[42:43], v42, s[20:21] scale_offset
	global_store_b32 v44, v38, s[24:25] scale_offset
	s_wait_loadcnt 0x0
	global_store_b64 v44, v[42:43], s[22:23] scale_offset
	s_wait_xcnt 0x0
	s_or_b32 exec_lo, exec_lo, s15
	s_and_saveexec_b32 s15, s75
	s_cbranch_execz .LBB220_67
.LBB220_130:                            ;   in Loop: Header=BB220_21 Depth=1
	v_cndmask_b32_e32 v42, v13, v21, vcc_lo
	v_add3_u32 v44, v0, v26, 0xa0
	s_delay_alu instid0(VALU_DEP_2)
	v_add3_u32 v42, v42, s34, 0xa0
	global_load_b64 v[42:43], v42, s[20:21] scale_offset
	global_store_b32 v44, v39, s[24:25] scale_offset
	s_wait_loadcnt 0x0
	global_store_b64 v44, v[42:43], s[22:23] scale_offset
	s_wait_xcnt 0x0
	s_or_b32 exec_lo, exec_lo, s15
	s_and_saveexec_b32 s15, s76
	s_cbranch_execz .LBB220_68
.LBB220_131:                            ;   in Loop: Header=BB220_21 Depth=1
	v_add3_u32 v42, v21, s34, 0xc0
	v_add3_u32 v43, v12, s34, 0xa0
	;; [unrolled: 1-line block ×3, first 2 shown]
	s_delay_alu instid0(VALU_DEP_2)
	v_cndmask_b32_e32 v42, v43, v42, vcc_lo
	global_load_b64 v[42:43], v42, s[20:21] scale_offset
	global_store_b32 v44, v40, s[24:25] scale_offset
	s_wait_loadcnt 0x0
	global_store_b64 v44, v[42:43], s[22:23] scale_offset
	s_wait_xcnt 0x0
	s_or_b32 exec_lo, exec_lo, s15
	s_and_saveexec_b32 s15, s8
	s_cbranch_execz .LBB220_69
.LBB220_132:                            ;   in Loop: Header=BB220_21 Depth=1
	v_add3_u32 v42, v21, s34, 0xe0
	v_add3_u32 v43, v11, s34, 0xa0
	;; [unrolled: 1-line block ×3, first 2 shown]
	s_delay_alu instid0(VALU_DEP_2)
	v_cndmask_b32_e32 v42, v43, v42, vcc_lo
	global_load_b64 v[42:43], v42, s[20:21] scale_offset
	global_store_b32 v44, v41, s[24:25] scale_offset
	s_wait_loadcnt 0x0
	global_store_b64 v44, v[42:43], s[22:23] scale_offset
	s_wait_xcnt 0x0
	s_or_b32 exec_lo, exec_lo, s15
	s_and_saveexec_b32 s15, s77
	s_cbranch_execz .LBB220_70
.LBB220_133:                            ;   in Loop: Header=BB220_21 Depth=1
	v_dual_add_nc_u32 v42, s34, v22 :: v_dual_add_nc_u32 v44, v0, v25
	v_add3_u32 v43, v9, s34, 0xc0
	s_delay_alu instid0(VALU_DEP_1)
	v_cndmask_b32_e32 v42, v43, v42, vcc_lo
	global_load_b64 v[42:43], v42, s[20:21] scale_offset
	global_store_b32 v44, v35, s[24:25] scale_offset
	s_wait_loadcnt 0x0
	global_store_b64 v44, v[42:43], s[22:23] scale_offset
	s_wait_xcnt 0x0
	s_or_b32 exec_lo, exec_lo, s15
	s_and_saveexec_b32 s15, s78
	s_cbranch_execz .LBB220_71
.LBB220_134:                            ;   in Loop: Header=BB220_21 Depth=1
	v_add3_u32 v42, v22, s34, 32
	v_add3_u32 v43, v2, s34, 0xc0
	;; [unrolled: 1-line block ×3, first 2 shown]
	s_delay_alu instid0(VALU_DEP_2)
	v_cndmask_b32_e32 v42, v43, v42, vcc_lo
	global_load_b64 v[42:43], v42, s[20:21] scale_offset
	global_store_b32 v44, v34, s[24:25] scale_offset
	s_wait_loadcnt 0x0
	global_store_b64 v44, v[42:43], s[22:23] scale_offset
	s_wait_xcnt 0x0
	s_or_b32 exec_lo, exec_lo, s15
	s_and_saveexec_b32 s15, s79
	s_cbranch_execz .LBB220_72
.LBB220_135:                            ;   in Loop: Header=BB220_21 Depth=1
	v_add3_u32 v42, v22, s34, 64
	v_add3_u32 v43, v16, s34, 0xc0
	;; [unrolled: 1-line block ×3, first 2 shown]
	s_delay_alu instid0(VALU_DEP_2)
	v_cndmask_b32_e32 v42, v43, v42, vcc_lo
	global_load_b64 v[42:43], v42, s[20:21] scale_offset
	global_store_b32 v44, v36, s[24:25] scale_offset
	s_wait_loadcnt 0x0
	global_store_b64 v44, v[42:43], s[22:23] scale_offset
	s_wait_xcnt 0x0
	s_or_b32 exec_lo, exec_lo, s15
	s_and_saveexec_b32 s15, s80
	s_cbranch_execz .LBB220_73
.LBB220_136:                            ;   in Loop: Header=BB220_21 Depth=1
	v_add3_u32 v42, v22, s34, 0x60
	v_add3_u32 v43, v15, s34, 0xc0
	;; [unrolled: 1-line block ×3, first 2 shown]
	s_delay_alu instid0(VALU_DEP_2)
	v_cndmask_b32_e32 v42, v43, v42, vcc_lo
	global_load_b64 v[42:43], v42, s[20:21] scale_offset
	global_store_b32 v44, v37, s[24:25] scale_offset
	s_wait_loadcnt 0x0
	global_store_b64 v44, v[42:43], s[22:23] scale_offset
	s_wait_xcnt 0x0
	s_or_b32 exec_lo, exec_lo, s15
	s_and_saveexec_b32 s15, s81
	s_cbranch_execz .LBB220_74
.LBB220_137:                            ;   in Loop: Header=BB220_21 Depth=1
	v_add3_u32 v42, v22, s34, 0x80
	v_add3_u32 v43, v14, s34, 0xc0
	v_add3_u32 v44, v0, v25, 0x80
	s_delay_alu instid0(VALU_DEP_2)
	v_cndmask_b32_e32 v42, v43, v42, vcc_lo
	global_load_b64 v[42:43], v42, s[20:21] scale_offset
	global_store_b32 v44, v38, s[24:25] scale_offset
	s_wait_loadcnt 0x0
	global_store_b64 v44, v[42:43], s[22:23] scale_offset
	s_wait_xcnt 0x0
	s_or_b32 exec_lo, exec_lo, s15
	s_and_saveexec_b32 s15, s82
	s_cbranch_execz .LBB220_75
.LBB220_138:                            ;   in Loop: Header=BB220_21 Depth=1
	v_add3_u32 v42, v22, s34, 0xa0
	v_add3_u32 v43, v13, s34, 0xc0
	v_add3_u32 v44, v0, v25, 0xa0
	s_delay_alu instid0(VALU_DEP_2)
	v_cndmask_b32_e32 v42, v43, v42, vcc_lo
	global_load_b64 v[42:43], v42, s[20:21] scale_offset
	global_store_b32 v44, v39, s[24:25] scale_offset
	s_wait_loadcnt 0x0
	global_store_b64 v44, v[42:43], s[22:23] scale_offset
	s_wait_xcnt 0x0
	s_or_b32 exec_lo, exec_lo, s15
	s_and_saveexec_b32 s15, s83
	s_cbranch_execz .LBB220_76
.LBB220_139:                            ;   in Loop: Header=BB220_21 Depth=1
	v_cndmask_b32_e32 v42, v12, v22, vcc_lo
	v_add3_u32 v44, v0, v25, 0xc0
	s_delay_alu instid0(VALU_DEP_2)
	v_add3_u32 v42, v42, s34, 0xc0
	global_load_b64 v[42:43], v42, s[20:21] scale_offset
	global_store_b32 v44, v40, s[24:25] scale_offset
	s_wait_loadcnt 0x0
	global_store_b64 v44, v[42:43], s[22:23] scale_offset
	s_wait_xcnt 0x0
	s_or_b32 exec_lo, exec_lo, s15
	s_and_saveexec_b32 s15, s9
	s_cbranch_execz .LBB220_77
.LBB220_140:                            ;   in Loop: Header=BB220_21 Depth=1
	v_add3_u32 v42, v22, s34, 0xe0
	v_add3_u32 v43, v11, s34, 0xc0
	;; [unrolled: 1-line block ×3, first 2 shown]
	s_delay_alu instid0(VALU_DEP_2)
	v_cndmask_b32_e32 v42, v43, v42, vcc_lo
	global_load_b64 v[42:43], v42, s[20:21] scale_offset
	global_store_b32 v44, v41, s[24:25] scale_offset
	s_wait_loadcnt 0x0
	global_store_b64 v44, v[42:43], s[22:23] scale_offset
	s_wait_xcnt 0x0
	s_or_b32 exec_lo, exec_lo, s15
	s_and_saveexec_b32 s15, s84
	s_cbranch_execz .LBB220_78
.LBB220_141:                            ;   in Loop: Header=BB220_21 Depth=1
	v_dual_add_nc_u32 v42, s34, v23 :: v_dual_add_nc_u32 v44, v0, v24
	v_add3_u32 v43, v9, s34, 0xe0
	s_delay_alu instid0(VALU_DEP_1)
	v_cndmask_b32_e32 v42, v43, v42, vcc_lo
	global_load_b64 v[42:43], v42, s[20:21] scale_offset
	global_store_b32 v44, v35, s[24:25] scale_offset
	s_wait_loadcnt 0x0
	global_store_b64 v44, v[42:43], s[22:23] scale_offset
	s_wait_xcnt 0x0
	s_or_b32 exec_lo, exec_lo, s15
	s_and_saveexec_b32 s15, s85
	s_cbranch_execz .LBB220_79
.LBB220_142:                            ;   in Loop: Header=BB220_21 Depth=1
	v_add3_u32 v35, v23, s34, 32
	v_add3_u32 v42, v2, s34, 0xe0
	s_delay_alu instid0(VALU_DEP_1)
	v_cndmask_b32_e32 v35, v42, v35, vcc_lo
	global_load_b64 v[42:43], v35, s[20:21] scale_offset
	s_wait_xcnt 0x0
	v_add3_u32 v35, v0, v24, 32
	global_store_b32 v35, v34, s[24:25] scale_offset
	s_wait_loadcnt 0x0
	global_store_b64 v35, v[42:43], s[22:23] scale_offset
	s_wait_xcnt 0x0
	s_or_b32 exec_lo, exec_lo, s15
	s_and_saveexec_b32 s15, s10
	s_cbranch_execz .LBB220_80
.LBB220_143:                            ;   in Loop: Header=BB220_21 Depth=1
	v_add3_u32 v34, v23, s34, 64
	v_add3_u32 v35, v16, s34, 0xe0
	;; [unrolled: 1-line block ×3, first 2 shown]
	s_delay_alu instid0(VALU_DEP_2)
	v_cndmask_b32_e32 v34, v35, v34, vcc_lo
	global_load_b64 v[34:35], v34, s[20:21] scale_offset
	global_store_b32 v42, v36, s[24:25] scale_offset
	s_wait_loadcnt 0x0
	global_store_b64 v42, v[34:35], s[22:23] scale_offset
	s_wait_xcnt 0x0
	s_or_b32 exec_lo, exec_lo, s15
	s_and_saveexec_b32 s15, s11
	s_cbranch_execz .LBB220_81
.LBB220_144:                            ;   in Loop: Header=BB220_21 Depth=1
	v_add3_u32 v34, v23, s34, 0x60
	v_add3_u32 v35, v15, s34, 0xe0
	;; [unrolled: 1-line block ×3, first 2 shown]
	s_delay_alu instid0(VALU_DEP_2)
	v_cndmask_b32_e32 v34, v35, v34, vcc_lo
	global_load_b64 v[34:35], v34, s[20:21] scale_offset
	global_store_b32 v36, v37, s[24:25] scale_offset
	s_wait_loadcnt 0x0
	global_store_b64 v36, v[34:35], s[22:23] scale_offset
	s_wait_xcnt 0x0
	s_or_b32 exec_lo, exec_lo, s15
	s_and_saveexec_b32 s15, s12
	s_cbranch_execz .LBB220_82
.LBB220_145:                            ;   in Loop: Header=BB220_21 Depth=1
	v_add3_u32 v34, v23, s34, 0x80
	v_add3_u32 v35, v14, s34, 0xe0
	;; [unrolled: 1-line block ×3, first 2 shown]
	s_delay_alu instid0(VALU_DEP_2)
	v_cndmask_b32_e32 v34, v35, v34, vcc_lo
	global_load_b64 v[34:35], v34, s[20:21] scale_offset
	global_store_b32 v36, v38, s[24:25] scale_offset
	s_wait_loadcnt 0x0
	global_store_b64 v36, v[34:35], s[22:23] scale_offset
	s_wait_xcnt 0x0
	s_or_b32 exec_lo, exec_lo, s15
	s_and_saveexec_b32 s15, s13
	s_cbranch_execz .LBB220_83
.LBB220_146:                            ;   in Loop: Header=BB220_21 Depth=1
	v_add3_u32 v34, v23, s34, 0xa0
	v_add3_u32 v35, v13, s34, 0xe0
	;; [unrolled: 1-line block ×3, first 2 shown]
	s_delay_alu instid0(VALU_DEP_2)
	v_cndmask_b32_e32 v34, v35, v34, vcc_lo
	global_load_b64 v[34:35], v34, s[20:21] scale_offset
	global_store_b32 v36, v39, s[24:25] scale_offset
	s_wait_loadcnt 0x0
	global_store_b64 v36, v[34:35], s[22:23] scale_offset
	s_wait_xcnt 0x0
	s_or_b32 exec_lo, exec_lo, s15
	s_and_saveexec_b32 s15, s14
	s_cbranch_execz .LBB220_84
.LBB220_147:                            ;   in Loop: Header=BB220_21 Depth=1
	v_add3_u32 v34, v23, s34, 0xc0
	v_add3_u32 v35, v12, s34, 0xe0
	;; [unrolled: 1-line block ×3, first 2 shown]
	s_delay_alu instid0(VALU_DEP_2)
	v_cndmask_b32_e32 v34, v35, v34, vcc_lo
	global_load_b64 v[34:35], v34, s[20:21] scale_offset
	global_store_b32 v36, v40, s[24:25] scale_offset
	s_wait_loadcnt 0x0
	global_store_b64 v36, v[34:35], s[22:23] scale_offset
	s_wait_xcnt 0x0
	s_or_b32 exec_lo, exec_lo, s15
	s_and_saveexec_b32 s15, s4
	s_cbranch_execz .LBB220_20
.LBB220_148:                            ;   in Loop: Header=BB220_21 Depth=1
	v_cndmask_b32_e32 v34, v11, v23, vcc_lo
	v_add3_u32 v36, v0, v24, 0xe0
	s_delay_alu instid0(VALU_DEP_2)
	v_add3_u32 v34, v34, s34, 0xe0
	global_load_b64 v[34:35], v34, s[20:21] scale_offset
	global_store_b32 v36, v41, s[24:25] scale_offset
	s_wait_loadcnt 0x0
	global_store_b64 v36, v[34:35], s[22:23] scale_offset
	s_branch .LBB220_20
.LBB220_149:
	s_endpgm
	.section	.rodata,"a",@progbits
	.p2align	6, 0x0
	.amdhsa_kernel _ZN9rocsparseL35bsr2csr_block_per_row_33_256_kernelILj1024ELj256ELj32EdiiEEv20rocsparse_direction_T4_S2_21rocsparse_index_base_PKT2_PKT3_PKS2_S2_S3_PS4_PS7_PS2_
		.amdhsa_group_segment_fixed_size 0
		.amdhsa_private_segment_fixed_size 0
		.amdhsa_kernarg_size 72
		.amdhsa_user_sgpr_count 2
		.amdhsa_user_sgpr_dispatch_ptr 0
		.amdhsa_user_sgpr_queue_ptr 0
		.amdhsa_user_sgpr_kernarg_segment_ptr 1
		.amdhsa_user_sgpr_dispatch_id 0
		.amdhsa_user_sgpr_kernarg_preload_length 0
		.amdhsa_user_sgpr_kernarg_preload_offset 0
		.amdhsa_user_sgpr_private_segment_size 0
		.amdhsa_wavefront_size32 1
		.amdhsa_uses_dynamic_stack 0
		.amdhsa_enable_private_segment 0
		.amdhsa_system_sgpr_workgroup_id_x 1
		.amdhsa_system_sgpr_workgroup_id_y 0
		.amdhsa_system_sgpr_workgroup_id_z 0
		.amdhsa_system_sgpr_workgroup_info 0
		.amdhsa_system_vgpr_workitem_id 0
		.amdhsa_next_free_vgpr 45
		.amdhsa_next_free_sgpr 87
		.amdhsa_named_barrier_count 0
		.amdhsa_reserve_vcc 1
		.amdhsa_float_round_mode_32 0
		.amdhsa_float_round_mode_16_64 0
		.amdhsa_float_denorm_mode_32 3
		.amdhsa_float_denorm_mode_16_64 3
		.amdhsa_fp16_overflow 0
		.amdhsa_memory_ordered 1
		.amdhsa_forward_progress 1
		.amdhsa_inst_pref_size 68
		.amdhsa_round_robin_scheduling 0
		.amdhsa_exception_fp_ieee_invalid_op 0
		.amdhsa_exception_fp_denorm_src 0
		.amdhsa_exception_fp_ieee_div_zero 0
		.amdhsa_exception_fp_ieee_overflow 0
		.amdhsa_exception_fp_ieee_underflow 0
		.amdhsa_exception_fp_ieee_inexact 0
		.amdhsa_exception_int_div_zero 0
	.end_amdhsa_kernel
	.section	.text._ZN9rocsparseL35bsr2csr_block_per_row_33_256_kernelILj1024ELj256ELj32EdiiEEv20rocsparse_direction_T4_S2_21rocsparse_index_base_PKT2_PKT3_PKS2_S2_S3_PS4_PS7_PS2_,"axG",@progbits,_ZN9rocsparseL35bsr2csr_block_per_row_33_256_kernelILj1024ELj256ELj32EdiiEEv20rocsparse_direction_T4_S2_21rocsparse_index_base_PKT2_PKT3_PKS2_S2_S3_PS4_PS7_PS2_,comdat
.Lfunc_end220:
	.size	_ZN9rocsparseL35bsr2csr_block_per_row_33_256_kernelILj1024ELj256ELj32EdiiEEv20rocsparse_direction_T4_S2_21rocsparse_index_base_PKT2_PKT3_PKS2_S2_S3_PS4_PS7_PS2_, .Lfunc_end220-_ZN9rocsparseL35bsr2csr_block_per_row_33_256_kernelILj1024ELj256ELj32EdiiEEv20rocsparse_direction_T4_S2_21rocsparse_index_base_PKT2_PKT3_PKS2_S2_S3_PS4_PS7_PS2_
                                        ; -- End function
	.set _ZN9rocsparseL35bsr2csr_block_per_row_33_256_kernelILj1024ELj256ELj32EdiiEEv20rocsparse_direction_T4_S2_21rocsparse_index_base_PKT2_PKT3_PKS2_S2_S3_PS4_PS7_PS2_.num_vgpr, 45
	.set _ZN9rocsparseL35bsr2csr_block_per_row_33_256_kernelILj1024ELj256ELj32EdiiEEv20rocsparse_direction_T4_S2_21rocsparse_index_base_PKT2_PKT3_PKS2_S2_S3_PS4_PS7_PS2_.num_agpr, 0
	.set _ZN9rocsparseL35bsr2csr_block_per_row_33_256_kernelILj1024ELj256ELj32EdiiEEv20rocsparse_direction_T4_S2_21rocsparse_index_base_PKT2_PKT3_PKS2_S2_S3_PS4_PS7_PS2_.numbered_sgpr, 87
	.set _ZN9rocsparseL35bsr2csr_block_per_row_33_256_kernelILj1024ELj256ELj32EdiiEEv20rocsparse_direction_T4_S2_21rocsparse_index_base_PKT2_PKT3_PKS2_S2_S3_PS4_PS7_PS2_.num_named_barrier, 0
	.set _ZN9rocsparseL35bsr2csr_block_per_row_33_256_kernelILj1024ELj256ELj32EdiiEEv20rocsparse_direction_T4_S2_21rocsparse_index_base_PKT2_PKT3_PKS2_S2_S3_PS4_PS7_PS2_.private_seg_size, 0
	.set _ZN9rocsparseL35bsr2csr_block_per_row_33_256_kernelILj1024ELj256ELj32EdiiEEv20rocsparse_direction_T4_S2_21rocsparse_index_base_PKT2_PKT3_PKS2_S2_S3_PS4_PS7_PS2_.uses_vcc, 1
	.set _ZN9rocsparseL35bsr2csr_block_per_row_33_256_kernelILj1024ELj256ELj32EdiiEEv20rocsparse_direction_T4_S2_21rocsparse_index_base_PKT2_PKT3_PKS2_S2_S3_PS4_PS7_PS2_.uses_flat_scratch, 0
	.set _ZN9rocsparseL35bsr2csr_block_per_row_33_256_kernelILj1024ELj256ELj32EdiiEEv20rocsparse_direction_T4_S2_21rocsparse_index_base_PKT2_PKT3_PKS2_S2_S3_PS4_PS7_PS2_.has_dyn_sized_stack, 0
	.set _ZN9rocsparseL35bsr2csr_block_per_row_33_256_kernelILj1024ELj256ELj32EdiiEEv20rocsparse_direction_T4_S2_21rocsparse_index_base_PKT2_PKT3_PKS2_S2_S3_PS4_PS7_PS2_.has_recursion, 0
	.set _ZN9rocsparseL35bsr2csr_block_per_row_33_256_kernelILj1024ELj256ELj32EdiiEEv20rocsparse_direction_T4_S2_21rocsparse_index_base_PKT2_PKT3_PKS2_S2_S3_PS4_PS7_PS2_.has_indirect_call, 0
	.section	.AMDGPU.csdata,"",@progbits
; Kernel info:
; codeLenInByte = 8628
; TotalNumSgprs: 89
; NumVgprs: 45
; ScratchSize: 0
; MemoryBound: 0
; FloatMode: 240
; IeeeMode: 1
; LDSByteSize: 0 bytes/workgroup (compile time only)
; SGPRBlocks: 0
; VGPRBlocks: 2
; NumSGPRsForWavesPerEU: 89
; NumVGPRsForWavesPerEU: 45
; NamedBarCnt: 0
; Occupancy: 16
; WaveLimiterHint : 1
; COMPUTE_PGM_RSRC2:SCRATCH_EN: 0
; COMPUTE_PGM_RSRC2:USER_SGPR: 2
; COMPUTE_PGM_RSRC2:TRAP_HANDLER: 0
; COMPUTE_PGM_RSRC2:TGID_X_EN: 1
; COMPUTE_PGM_RSRC2:TGID_Y_EN: 0
; COMPUTE_PGM_RSRC2:TGID_Z_EN: 0
; COMPUTE_PGM_RSRC2:TIDIG_COMP_CNT: 0
	.section	.text._ZN9rocsparseL35bsr2csr_block_dim_equals_one_kernelILj1024EdliEEvT2_S1_21rocsparse_index_base_PKT0_PKT1_PKS1_S2_PS3_PS6_PS1_,"axG",@progbits,_ZN9rocsparseL35bsr2csr_block_dim_equals_one_kernelILj1024EdliEEvT2_S1_21rocsparse_index_base_PKT0_PKT1_PKS1_S2_PS3_PS6_PS1_,comdat
	.globl	_ZN9rocsparseL35bsr2csr_block_dim_equals_one_kernelILj1024EdliEEvT2_S1_21rocsparse_index_base_PKT0_PKT1_PKS1_S2_PS3_PS6_PS1_ ; -- Begin function _ZN9rocsparseL35bsr2csr_block_dim_equals_one_kernelILj1024EdliEEvT2_S1_21rocsparse_index_base_PKT0_PKT1_PKS1_S2_PS3_PS6_PS1_
	.p2align	8
	.type	_ZN9rocsparseL35bsr2csr_block_dim_equals_one_kernelILj1024EdliEEvT2_S1_21rocsparse_index_base_PKT0_PKT1_PKS1_S2_PS3_PS6_PS1_,@function
_ZN9rocsparseL35bsr2csr_block_dim_equals_one_kernelILj1024EdliEEvT2_S1_21rocsparse_index_base_PKT0_PKT1_PKS1_S2_PS3_PS6_PS1_: ; @_ZN9rocsparseL35bsr2csr_block_dim_equals_one_kernelILj1024EdliEEvT2_S1_21rocsparse_index_base_PKT0_PKT1_PKS1_S2_PS3_PS6_PS1_
; %bb.0:
	s_bfe_u32 s3, ttmp6, 0x4000c
	s_clause 0x1
	s_load_b32 s2, s[0:1], 0x0
	s_load_b64 s[4:5], s[0:1], 0x18
	s_add_co_i32 s3, s3, 1
	s_and_b32 s6, ttmp6, 15
	s_mul_i32 s3, ttmp9, s3
	s_getreg_b32 s7, hwreg(HW_REG_IB_STS2, 6, 4)
	s_add_co_i32 s6, s6, s3
	s_cmp_eq_u32 s7, 0
	s_cselect_b32 s3, ttmp9, s6
	s_delay_alu instid0(SALU_CYCLE_1) | instskip(SKIP_2) | instid1(VALU_DEP_1)
	s_lshl_b32 s18, s3, 10
	s_mov_b32 s3, exec_lo
	v_or_b32_e32 v2, s18, v0
	v_ashrrev_i32_e32 v3, 31, v2
	s_wait_kmcnt 0x0
	v_cmpx_le_i32_e64 s2, v2
	s_xor_b32 s3, exec_lo, s3
	s_delay_alu instid0(SALU_CYCLE_1)
	s_or_saveexec_b32 s3, s3
	s_clause 0x1
	s_load_b32 s6, s[0:1], 0x8
	s_load_b32 s8, s[0:1], 0x28
	s_xor_b32 exec_lo, exec_lo, s3
	s_cbranch_execz .LBB221_6
; %bb.1:
	s_load_b64 s[10:11], s[0:1], 0x38
	s_mov_b32 s7, 0
                                        ; implicit-def: $sgpr12_sgpr13
	s_mov_b32 s9, exec_lo
	v_cmpx_ne_u32_e32 0, v2
	s_xor_b32 s14, exec_lo, s9
	s_cbranch_execz .LBB221_3
; %bb.2:
	s_mov_b32 s9, s7
	s_wait_kmcnt 0x0
	s_sub_nc_u64 s[12:13], s[8:9], s[6:7]
.LBB221_3:
	s_or_saveexec_b32 s14, s14
	v_mov_b64_e32 v[4:5], s[12:13]
	s_xor_b32 exec_lo, exec_lo, s14
	s_cbranch_execz .LBB221_5
; %bb.4:
	s_load_b64 s[12:13], s[4:5], 0x0
	s_mov_b32 s9, 0
	v_mov_b32_e32 v1, 0
	s_mov_b32 s7, s9
	s_wait_kmcnt 0x0
	s_sub_nc_u64 s[16:17], s[8:9], s[6:7]
	s_delay_alu instid0(SALU_CYCLE_1) | instskip(SKIP_1) | instid1(SALU_CYCLE_1)
	v_mov_b64_e32 v[4:5], s[16:17]
	s_add_nc_u64 s[12:13], s[16:17], s[12:13]
	v_mov_b64_e32 v[6:7], s[12:13]
	global_store_b64 v1, v[6:7], s[10:11]
.LBB221_5:
	s_wait_xcnt 0x0
	s_or_b32 exec_lo, exec_lo, s14
	global_load_b64 v[6:7], v2, s[4:5] offset:8 scale_offset
	s_wait_loadcnt 0x0
	v_add_nc_u64_e32 v[4:5], v[4:5], v[6:7]
	s_wait_kmcnt 0x0
	global_store_b64 v2, v[4:5], s[10:11] offset:8 scale_offset
.LBB221_6:
	s_wait_xcnt 0x0
	s_or_b32 exec_lo, exec_lo, s3
	s_ashr_i32 s3, s2, 31
	s_clause 0x3
	s_load_b64 s[10:11], s[0:1], 0x40
	s_load_b64 s[12:13], s[0:1], 0x10
	;; [unrolled: 1-line block ×4, first 2 shown]
	s_lshl_b64 s[2:3], s[2:3], 3
	s_delay_alu instid0(SALU_CYCLE_1)
	s_add_nc_u64 s[2:3], s[4:5], s[2:3]
	s_clause 0x1
	s_load_b64 s[20:21], s[2:3], 0x0
	s_load_b64 s[22:23], s[4:5], 0x0
	s_wait_xcnt 0x0
	s_mov_b32 s4, exec_lo
	s_wait_kmcnt 0x0
	s_sub_nc_u64 s[2:3], s[20:21], s[22:23]
	s_delay_alu instid0(SALU_CYCLE_1)
	v_cmpx_gt_i64_e64 s[2:3], v[2:3]
	s_cbranch_execz .LBB221_9
; %bb.7:
	s_load_b32 s0, s[0:1], 0x48
	s_wait_xcnt 0x0
	s_sub_co_i32 s1, s8, s6
	s_mov_b32 s4, 0
	s_wait_kmcnt 0x0
	s_lshl_b32 s0, s0, 10
	s_delay_alu instid0(SALU_CYCLE_1)
	v_add3_u32 v0, s0, s18, v0
.LBB221_8:                              ; =>This Inner Loop Header: Depth=1
	v_lshlrev_b64_e32 v[4:5], 2, v[2:3]
	v_lshlrev_b64_e32 v[2:3], 3, v[2:3]
	s_delay_alu instid0(VALU_DEP_3) | instskip(NEXT) | instid1(VALU_DEP_1)
	v_ashrrev_i32_e32 v1, 31, v0
	v_cmp_le_i64_e32 vcc_lo, s[2:3], v[0:1]
	s_delay_alu instid0(VALU_DEP_4) | instskip(NEXT) | instid1(VALU_DEP_4)
	v_add_nc_u64_e32 v[6:7], s[14:15], v[4:5]
	v_add_nc_u64_e32 v[8:9], s[12:13], v[2:3]
	;; [unrolled: 1-line block ×3, first 2 shown]
	global_load_b32 v12, v[6:7], off
	global_load_b64 v[10:11], v[8:9], off
	s_wait_xcnt 0x1
	v_add_nc_u64_e32 v[6:7], s[16:17], v[2:3]
	v_mov_b64_e32 v[2:3], v[0:1]
	v_add_nc_u32_e32 v0, s0, v0
	s_or_b32 s4, vcc_lo, s4
	s_wait_loadcnt 0x1
	v_add_nc_u32_e32 v1, s1, v12
	s_wait_loadcnt 0x0
	global_store_b64 v[6:7], v[10:11], off
	global_store_b32 v[4:5], v1, off
	s_wait_xcnt 0x0
	s_and_not1_b32 exec_lo, exec_lo, s4
	s_cbranch_execnz .LBB221_8
.LBB221_9:
	s_endpgm
	.section	.rodata,"a",@progbits
	.p2align	6, 0x0
	.amdhsa_kernel _ZN9rocsparseL35bsr2csr_block_dim_equals_one_kernelILj1024EdliEEvT2_S1_21rocsparse_index_base_PKT0_PKT1_PKS1_S2_PS3_PS6_PS1_
		.amdhsa_group_segment_fixed_size 0
		.amdhsa_private_segment_fixed_size 0
		.amdhsa_kernarg_size 328
		.amdhsa_user_sgpr_count 2
		.amdhsa_user_sgpr_dispatch_ptr 0
		.amdhsa_user_sgpr_queue_ptr 0
		.amdhsa_user_sgpr_kernarg_segment_ptr 1
		.amdhsa_user_sgpr_dispatch_id 0
		.amdhsa_user_sgpr_kernarg_preload_length 0
		.amdhsa_user_sgpr_kernarg_preload_offset 0
		.amdhsa_user_sgpr_private_segment_size 0
		.amdhsa_wavefront_size32 1
		.amdhsa_uses_dynamic_stack 0
		.amdhsa_enable_private_segment 0
		.amdhsa_system_sgpr_workgroup_id_x 1
		.amdhsa_system_sgpr_workgroup_id_y 0
		.amdhsa_system_sgpr_workgroup_id_z 0
		.amdhsa_system_sgpr_workgroup_info 0
		.amdhsa_system_vgpr_workitem_id 0
		.amdhsa_next_free_vgpr 13
		.amdhsa_next_free_sgpr 24
		.amdhsa_named_barrier_count 0
		.amdhsa_reserve_vcc 1
		.amdhsa_float_round_mode_32 0
		.amdhsa_float_round_mode_16_64 0
		.amdhsa_float_denorm_mode_32 3
		.amdhsa_float_denorm_mode_16_64 3
		.amdhsa_fp16_overflow 0
		.amdhsa_memory_ordered 1
		.amdhsa_forward_progress 1
		.amdhsa_inst_pref_size 5
		.amdhsa_round_robin_scheduling 0
		.amdhsa_exception_fp_ieee_invalid_op 0
		.amdhsa_exception_fp_denorm_src 0
		.amdhsa_exception_fp_ieee_div_zero 0
		.amdhsa_exception_fp_ieee_overflow 0
		.amdhsa_exception_fp_ieee_underflow 0
		.amdhsa_exception_fp_ieee_inexact 0
		.amdhsa_exception_int_div_zero 0
	.end_amdhsa_kernel
	.section	.text._ZN9rocsparseL35bsr2csr_block_dim_equals_one_kernelILj1024EdliEEvT2_S1_21rocsparse_index_base_PKT0_PKT1_PKS1_S2_PS3_PS6_PS1_,"axG",@progbits,_ZN9rocsparseL35bsr2csr_block_dim_equals_one_kernelILj1024EdliEEvT2_S1_21rocsparse_index_base_PKT0_PKT1_PKS1_S2_PS3_PS6_PS1_,comdat
.Lfunc_end221:
	.size	_ZN9rocsparseL35bsr2csr_block_dim_equals_one_kernelILj1024EdliEEvT2_S1_21rocsparse_index_base_PKT0_PKT1_PKS1_S2_PS3_PS6_PS1_, .Lfunc_end221-_ZN9rocsparseL35bsr2csr_block_dim_equals_one_kernelILj1024EdliEEvT2_S1_21rocsparse_index_base_PKT0_PKT1_PKS1_S2_PS3_PS6_PS1_
                                        ; -- End function
	.set _ZN9rocsparseL35bsr2csr_block_dim_equals_one_kernelILj1024EdliEEvT2_S1_21rocsparse_index_base_PKT0_PKT1_PKS1_S2_PS3_PS6_PS1_.num_vgpr, 13
	.set _ZN9rocsparseL35bsr2csr_block_dim_equals_one_kernelILj1024EdliEEvT2_S1_21rocsparse_index_base_PKT0_PKT1_PKS1_S2_PS3_PS6_PS1_.num_agpr, 0
	.set _ZN9rocsparseL35bsr2csr_block_dim_equals_one_kernelILj1024EdliEEvT2_S1_21rocsparse_index_base_PKT0_PKT1_PKS1_S2_PS3_PS6_PS1_.numbered_sgpr, 24
	.set _ZN9rocsparseL35bsr2csr_block_dim_equals_one_kernelILj1024EdliEEvT2_S1_21rocsparse_index_base_PKT0_PKT1_PKS1_S2_PS3_PS6_PS1_.num_named_barrier, 0
	.set _ZN9rocsparseL35bsr2csr_block_dim_equals_one_kernelILj1024EdliEEvT2_S1_21rocsparse_index_base_PKT0_PKT1_PKS1_S2_PS3_PS6_PS1_.private_seg_size, 0
	.set _ZN9rocsparseL35bsr2csr_block_dim_equals_one_kernelILj1024EdliEEvT2_S1_21rocsparse_index_base_PKT0_PKT1_PKS1_S2_PS3_PS6_PS1_.uses_vcc, 1
	.set _ZN9rocsparseL35bsr2csr_block_dim_equals_one_kernelILj1024EdliEEvT2_S1_21rocsparse_index_base_PKT0_PKT1_PKS1_S2_PS3_PS6_PS1_.uses_flat_scratch, 0
	.set _ZN9rocsparseL35bsr2csr_block_dim_equals_one_kernelILj1024EdliEEvT2_S1_21rocsparse_index_base_PKT0_PKT1_PKS1_S2_PS3_PS6_PS1_.has_dyn_sized_stack, 0
	.set _ZN9rocsparseL35bsr2csr_block_dim_equals_one_kernelILj1024EdliEEvT2_S1_21rocsparse_index_base_PKT0_PKT1_PKS1_S2_PS3_PS6_PS1_.has_recursion, 0
	.set _ZN9rocsparseL35bsr2csr_block_dim_equals_one_kernelILj1024EdliEEvT2_S1_21rocsparse_index_base_PKT0_PKT1_PKS1_S2_PS3_PS6_PS1_.has_indirect_call, 0
	.section	.AMDGPU.csdata,"",@progbits
; Kernel info:
; codeLenInByte = 568
; TotalNumSgprs: 26
; NumVgprs: 13
; ScratchSize: 0
; MemoryBound: 0
; FloatMode: 240
; IeeeMode: 1
; LDSByteSize: 0 bytes/workgroup (compile time only)
; SGPRBlocks: 0
; VGPRBlocks: 0
; NumSGPRsForWavesPerEU: 26
; NumVGPRsForWavesPerEU: 13
; NamedBarCnt: 0
; Occupancy: 16
; WaveLimiterHint : 0
; COMPUTE_PGM_RSRC2:SCRATCH_EN: 0
; COMPUTE_PGM_RSRC2:USER_SGPR: 2
; COMPUTE_PGM_RSRC2:TRAP_HANDLER: 0
; COMPUTE_PGM_RSRC2:TGID_X_EN: 1
; COMPUTE_PGM_RSRC2:TGID_Y_EN: 0
; COMPUTE_PGM_RSRC2:TGID_Z_EN: 0
; COMPUTE_PGM_RSRC2:TIDIG_COMP_CNT: 0
	.section	.text._ZN9rocsparseL32bsr2csr_block_per_row_2_7_kernelILj256ELj2EdliEEv20rocsparse_direction_T3_S2_21rocsparse_index_base_PKT1_PKT2_PKS2_S2_S3_PS4_PS7_PS2_,"axG",@progbits,_ZN9rocsparseL32bsr2csr_block_per_row_2_7_kernelILj256ELj2EdliEEv20rocsparse_direction_T3_S2_21rocsparse_index_base_PKT1_PKT2_PKS2_S2_S3_PS4_PS7_PS2_,comdat
	.globl	_ZN9rocsparseL32bsr2csr_block_per_row_2_7_kernelILj256ELj2EdliEEv20rocsparse_direction_T3_S2_21rocsparse_index_base_PKT1_PKT2_PKS2_S2_S3_PS4_PS7_PS2_ ; -- Begin function _ZN9rocsparseL32bsr2csr_block_per_row_2_7_kernelILj256ELj2EdliEEv20rocsparse_direction_T3_S2_21rocsparse_index_base_PKT1_PKT2_PKS2_S2_S3_PS4_PS7_PS2_
	.p2align	8
	.type	_ZN9rocsparseL32bsr2csr_block_per_row_2_7_kernelILj256ELj2EdliEEv20rocsparse_direction_T3_S2_21rocsparse_index_base_PKT1_PKT2_PKS2_S2_S3_PS4_PS7_PS2_,@function
_ZN9rocsparseL32bsr2csr_block_per_row_2_7_kernelILj256ELj2EdliEEv20rocsparse_direction_T3_S2_21rocsparse_index_base_PKT1_PKT2_PKS2_S2_S3_PS4_PS7_PS2_: ; @_ZN9rocsparseL32bsr2csr_block_per_row_2_7_kernelILj256ELj2EdliEEv20rocsparse_direction_T3_S2_21rocsparse_index_base_PKT1_PKT2_PKS2_S2_S3_PS4_PS7_PS2_
; %bb.0:
	s_load_b64 s[4:5], s[0:1], 0x18
	s_bfe_u32 s2, ttmp6, 0x4000c
	s_and_b32 s3, ttmp6, 15
	s_add_co_i32 s2, s2, 1
	s_getreg_b32 s6, hwreg(HW_REG_IB_STS2, 6, 4)
	s_mul_i32 s2, ttmp9, s2
	s_delay_alu instid0(SALU_CYCLE_1)
	s_add_co_i32 s3, s3, s2
	s_cmp_eq_u32 s6, 0
	s_clause 0x1
	s_load_b32 s2, s[0:1], 0x2c
	s_load_b64 s[12:13], s[0:1], 0x38
	s_cselect_b32 s10, ttmp9, s3
	s_delay_alu instid0(SALU_CYCLE_1)
	s_ashr_i32 s11, s10, 31
	v_or_b32_e32 v1, s10, v0
	s_lshl_b64 s[6:7], s[10:11], 3
	s_wait_kmcnt 0x0
	s_add_nc_u64 s[8:9], s[4:5], s[6:7]
	s_load_b128 s[4:7], s[8:9], 0x0
	s_wait_xcnt 0x0
	s_mov_b32 s9, 0
	s_mov_b32 s8, exec_lo
	s_mov_b32 s3, s9
	v_cmpx_eq_u32_e32 0, v1
	s_cbranch_execz .LBB222_2
; %bb.1:
	v_mov_b64_e32 v[2:3], s[2:3]
	v_mov_b32_e32 v1, 0
	global_store_b64 v1, v[2:3], s[12:13]
.LBB222_2:
	s_wait_xcnt 0x0
	s_or_b32 exec_lo, exec_lo, s8
	s_load_b32 s8, s[0:1], 0xc
	v_dual_mov_b32 v3, 0 :: v_dual_bitop2_b32 v2, 1, v0 bitop3:0x40
	s_delay_alu instid0(VALU_DEP_1) | instskip(SKIP_3) | instid1(VALU_DEP_1)
	v_dual_mov_b32 v7, v3 :: v_dual_lshrrev_b32 v6, 1, v0
	s_wait_kmcnt 0x0
	s_sub_nc_u64 s[14:15], s[4:5], s[8:9]
	s_sub_nc_u64 s[6:7], s[6:7], s[8:9]
	v_add_nc_u64_e32 v[0:1], s[14:15], v[6:7]
	s_sub_nc_u64 s[16:17], s[6:7], s[14:15]
	s_lshl_b64 s[14:15], s[14:15], 2
	s_lshl_b64 s[16:17], s[16:17], 1
	v_lshl_or_b32 v7, s10, 1, v2
	v_mul_u64_e32 v[4:5], s[16:17], v[2:3]
	s_add_nc_u64 s[16:17], s[16:17], s[2:3]
	s_mov_b32 s3, exec_lo
	s_add_nc_u64 s[10:11], s[16:17], s[14:15]
	v_add_nc_u32_e32 v7, 1, v7
	s_delay_alu instid0(VALU_DEP_2)
	v_add_nc_u64_e32 v[8:9], s[10:11], v[4:5]
	global_store_b64 v7, v[8:9], s[12:13] scale_offset
	s_wait_xcnt 0x0
	v_cmpx_gt_i64_e64 s[6:7], v[0:1]
	s_cbranch_execz .LBB222_5
; %bb.3:
	s_clause 0x3
	s_load_b64 s[10:11], s[0:1], 0x20
	s_load_b64 s[12:13], s[0:1], 0x30
	s_load_b32 s3, s[0:1], 0x0
	s_load_b64 s[14:15], s[0:1], 0x40
	v_lshl_add_u64 v[4:5], s[4:5], 2, v[4:5]
	v_dual_mov_b32 v7, v3 :: v_dual_lshlrev_b32 v6, 1, v6
	s_wait_xcnt 0x0
	s_load_b64 s[0:1], s[0:1], 0x10
	v_lshlrev_b64_e32 v[8:9], 5, v[0:1]
	s_delay_alu instid0(VALU_DEP_2)
	v_add_nc_u64_e32 v[4:5], v[4:5], v[6:7]
	s_wait_kmcnt 0x0
	v_lshl_add_u64 v[6:7], v[0:1], 2, s[10:11]
	s_cmp_eq_u32 s3, 0
	s_cselect_b32 vcc_lo, -1, 0
	s_lshl_b64 s[4:5], s[8:9], 2
	s_delay_alu instid0(VALU_DEP_2) | instid1(SALU_CYCLE_1)
	v_sub_nc_u64_e64 v[4:5], v[4:5], s[4:5]
	v_add_nc_u64_e32 v[8:9], s[0:1], v[8:9]
	s_mov_b32 s1, 0
	s_delay_alu instid0(VALU_DEP_2) | instskip(SKIP_3) | instid1(VALU_DEP_4)
	v_lshl_add_u64 v[10:11], v[4:5], 3, s[12:13]
	v_lshl_add_u64 v[12:13], v[4:5], 2, s[14:15]
	v_dual_mov_b32 v5, v3 :: v_dual_lshlrev_b32 v4, 3, v2
	v_lshlrev_b32_e32 v2, 4, v2
	v_add_nc_u64_e32 v[10:11], 8, v[10:11]
	s_delay_alu instid0(VALU_DEP_4)
	v_add_nc_u64_e32 v[12:13], 4, v[12:13]
.LBB222_4:                              ; =>This Inner Loop Header: Depth=1
	s_delay_alu instid0(VALU_DEP_3)
	v_add_nc_u64_e32 v[14:15], v[8:9], v[2:3]
	v_add_nc_u64_e32 v[16:17], v[8:9], v[4:5]
	global_load_b32 v24, v[6:7], off
	v_add_nc_u64_e32 v[0:1], 0x80, v[0:1]
	s_wait_xcnt 0x0
	v_add_nc_u64_e32 v[6:7], 0x200, v[6:7]
	v_add_nc_u64_e32 v[8:9], 0x1000, v[8:9]
	;; [unrolled: 1-line block ×4, first 2 shown]
	v_dual_cndmask_b32 v23, v17, v15 :: v_dual_cndmask_b32 v22, v16, v14
	v_cmp_le_i64_e64 s0, s[6:7], v[0:1]
	s_delay_alu instid0(VALU_DEP_3)
	v_dual_cndmask_b32 v19, v21, v19 :: v_dual_cndmask_b32 v18, v20, v18
	global_load_b64 v[14:15], v[22:23], off
	global_load_b64 v[16:17], v[18:19], off
	s_or_b32 s1, s0, s1
	s_wait_loadcnt 0x2
	s_wait_xcnt 0x0
	v_subrev_nc_u32_e32 v18, s8, v24
	s_delay_alu instid0(VALU_DEP_1) | instskip(NEXT) | instid1(VALU_DEP_1)
	v_lshl_add_u32 v18, v18, 1, s2
	v_add_nc_u32_e32 v19, 1, v18
	global_store_b64 v[12:13], v[18:19], off offset:-4
	s_wait_xcnt 0x0
	v_add_nc_u64_e32 v[12:13], 0x400, v[12:13]
	s_wait_loadcnt 0x0
	global_store_b128 v[10:11], v[14:17], off offset:-8
	s_wait_xcnt 0x0
	v_add_nc_u64_e32 v[10:11], 0x800, v[10:11]
	s_and_not1_b32 exec_lo, exec_lo, s1
	s_cbranch_execnz .LBB222_4
.LBB222_5:
	s_endpgm
	.section	.rodata,"a",@progbits
	.p2align	6, 0x0
	.amdhsa_kernel _ZN9rocsparseL32bsr2csr_block_per_row_2_7_kernelILj256ELj2EdliEEv20rocsparse_direction_T3_S2_21rocsparse_index_base_PKT1_PKT2_PKS2_S2_S3_PS4_PS7_PS2_
		.amdhsa_group_segment_fixed_size 0
		.amdhsa_private_segment_fixed_size 0
		.amdhsa_kernarg_size 72
		.amdhsa_user_sgpr_count 2
		.amdhsa_user_sgpr_dispatch_ptr 0
		.amdhsa_user_sgpr_queue_ptr 0
		.amdhsa_user_sgpr_kernarg_segment_ptr 1
		.amdhsa_user_sgpr_dispatch_id 0
		.amdhsa_user_sgpr_kernarg_preload_length 0
		.amdhsa_user_sgpr_kernarg_preload_offset 0
		.amdhsa_user_sgpr_private_segment_size 0
		.amdhsa_wavefront_size32 1
		.amdhsa_uses_dynamic_stack 0
		.amdhsa_enable_private_segment 0
		.amdhsa_system_sgpr_workgroup_id_x 1
		.amdhsa_system_sgpr_workgroup_id_y 0
		.amdhsa_system_sgpr_workgroup_id_z 0
		.amdhsa_system_sgpr_workgroup_info 0
		.amdhsa_system_vgpr_workitem_id 0
		.amdhsa_next_free_vgpr 25
		.amdhsa_next_free_sgpr 18
		.amdhsa_named_barrier_count 0
		.amdhsa_reserve_vcc 1
		.amdhsa_float_round_mode_32 0
		.amdhsa_float_round_mode_16_64 0
		.amdhsa_float_denorm_mode_32 3
		.amdhsa_float_denorm_mode_16_64 3
		.amdhsa_fp16_overflow 0
		.amdhsa_memory_ordered 1
		.amdhsa_forward_progress 1
		.amdhsa_inst_pref_size 6
		.amdhsa_round_robin_scheduling 0
		.amdhsa_exception_fp_ieee_invalid_op 0
		.amdhsa_exception_fp_denorm_src 0
		.amdhsa_exception_fp_ieee_div_zero 0
		.amdhsa_exception_fp_ieee_overflow 0
		.amdhsa_exception_fp_ieee_underflow 0
		.amdhsa_exception_fp_ieee_inexact 0
		.amdhsa_exception_int_div_zero 0
	.end_amdhsa_kernel
	.section	.text._ZN9rocsparseL32bsr2csr_block_per_row_2_7_kernelILj256ELj2EdliEEv20rocsparse_direction_T3_S2_21rocsparse_index_base_PKT1_PKT2_PKS2_S2_S3_PS4_PS7_PS2_,"axG",@progbits,_ZN9rocsparseL32bsr2csr_block_per_row_2_7_kernelILj256ELj2EdliEEv20rocsparse_direction_T3_S2_21rocsparse_index_base_PKT1_PKT2_PKS2_S2_S3_PS4_PS7_PS2_,comdat
.Lfunc_end222:
	.size	_ZN9rocsparseL32bsr2csr_block_per_row_2_7_kernelILj256ELj2EdliEEv20rocsparse_direction_T3_S2_21rocsparse_index_base_PKT1_PKT2_PKS2_S2_S3_PS4_PS7_PS2_, .Lfunc_end222-_ZN9rocsparseL32bsr2csr_block_per_row_2_7_kernelILj256ELj2EdliEEv20rocsparse_direction_T3_S2_21rocsparse_index_base_PKT1_PKT2_PKS2_S2_S3_PS4_PS7_PS2_
                                        ; -- End function
	.set _ZN9rocsparseL32bsr2csr_block_per_row_2_7_kernelILj256ELj2EdliEEv20rocsparse_direction_T3_S2_21rocsparse_index_base_PKT1_PKT2_PKS2_S2_S3_PS4_PS7_PS2_.num_vgpr, 25
	.set _ZN9rocsparseL32bsr2csr_block_per_row_2_7_kernelILj256ELj2EdliEEv20rocsparse_direction_T3_S2_21rocsparse_index_base_PKT1_PKT2_PKS2_S2_S3_PS4_PS7_PS2_.num_agpr, 0
	.set _ZN9rocsparseL32bsr2csr_block_per_row_2_7_kernelILj256ELj2EdliEEv20rocsparse_direction_T3_S2_21rocsparse_index_base_PKT1_PKT2_PKS2_S2_S3_PS4_PS7_PS2_.numbered_sgpr, 18
	.set _ZN9rocsparseL32bsr2csr_block_per_row_2_7_kernelILj256ELj2EdliEEv20rocsparse_direction_T3_S2_21rocsparse_index_base_PKT1_PKT2_PKS2_S2_S3_PS4_PS7_PS2_.num_named_barrier, 0
	.set _ZN9rocsparseL32bsr2csr_block_per_row_2_7_kernelILj256ELj2EdliEEv20rocsparse_direction_T3_S2_21rocsparse_index_base_PKT1_PKT2_PKS2_S2_S3_PS4_PS7_PS2_.private_seg_size, 0
	.set _ZN9rocsparseL32bsr2csr_block_per_row_2_7_kernelILj256ELj2EdliEEv20rocsparse_direction_T3_S2_21rocsparse_index_base_PKT1_PKT2_PKS2_S2_S3_PS4_PS7_PS2_.uses_vcc, 1
	.set _ZN9rocsparseL32bsr2csr_block_per_row_2_7_kernelILj256ELj2EdliEEv20rocsparse_direction_T3_S2_21rocsparse_index_base_PKT1_PKT2_PKS2_S2_S3_PS4_PS7_PS2_.uses_flat_scratch, 0
	.set _ZN9rocsparseL32bsr2csr_block_per_row_2_7_kernelILj256ELj2EdliEEv20rocsparse_direction_T3_S2_21rocsparse_index_base_PKT1_PKT2_PKS2_S2_S3_PS4_PS7_PS2_.has_dyn_sized_stack, 0
	.set _ZN9rocsparseL32bsr2csr_block_per_row_2_7_kernelILj256ELj2EdliEEv20rocsparse_direction_T3_S2_21rocsparse_index_base_PKT1_PKT2_PKS2_S2_S3_PS4_PS7_PS2_.has_recursion, 0
	.set _ZN9rocsparseL32bsr2csr_block_per_row_2_7_kernelILj256ELj2EdliEEv20rocsparse_direction_T3_S2_21rocsparse_index_base_PKT1_PKT2_PKS2_S2_S3_PS4_PS7_PS2_.has_indirect_call, 0
	.section	.AMDGPU.csdata,"",@progbits
; Kernel info:
; codeLenInByte = 648
; TotalNumSgprs: 20
; NumVgprs: 25
; ScratchSize: 0
; MemoryBound: 0
; FloatMode: 240
; IeeeMode: 1
; LDSByteSize: 0 bytes/workgroup (compile time only)
; SGPRBlocks: 0
; VGPRBlocks: 1
; NumSGPRsForWavesPerEU: 20
; NumVGPRsForWavesPerEU: 25
; NamedBarCnt: 0
; Occupancy: 16
; WaveLimiterHint : 0
; COMPUTE_PGM_RSRC2:SCRATCH_EN: 0
; COMPUTE_PGM_RSRC2:USER_SGPR: 2
; COMPUTE_PGM_RSRC2:TRAP_HANDLER: 0
; COMPUTE_PGM_RSRC2:TGID_X_EN: 1
; COMPUTE_PGM_RSRC2:TGID_Y_EN: 0
; COMPUTE_PGM_RSRC2:TGID_Z_EN: 0
; COMPUTE_PGM_RSRC2:TIDIG_COMP_CNT: 0
	.section	.text._ZN9rocsparseL32bsr2csr_block_per_row_2_7_kernelILj256ELj3EdliEEv20rocsparse_direction_T3_S2_21rocsparse_index_base_PKT1_PKT2_PKS2_S2_S3_PS4_PS7_PS2_,"axG",@progbits,_ZN9rocsparseL32bsr2csr_block_per_row_2_7_kernelILj256ELj3EdliEEv20rocsparse_direction_T3_S2_21rocsparse_index_base_PKT1_PKT2_PKS2_S2_S3_PS4_PS7_PS2_,comdat
	.globl	_ZN9rocsparseL32bsr2csr_block_per_row_2_7_kernelILj256ELj3EdliEEv20rocsparse_direction_T3_S2_21rocsparse_index_base_PKT1_PKT2_PKS2_S2_S3_PS4_PS7_PS2_ ; -- Begin function _ZN9rocsparseL32bsr2csr_block_per_row_2_7_kernelILj256ELj3EdliEEv20rocsparse_direction_T3_S2_21rocsparse_index_base_PKT1_PKT2_PKS2_S2_S3_PS4_PS7_PS2_
	.p2align	8
	.type	_ZN9rocsparseL32bsr2csr_block_per_row_2_7_kernelILj256ELj3EdliEEv20rocsparse_direction_T3_S2_21rocsparse_index_base_PKT1_PKT2_PKS2_S2_S3_PS4_PS7_PS2_,@function
_ZN9rocsparseL32bsr2csr_block_per_row_2_7_kernelILj256ELj3EdliEEv20rocsparse_direction_T3_S2_21rocsparse_index_base_PKT1_PKT2_PKS2_S2_S3_PS4_PS7_PS2_: ; @_ZN9rocsparseL32bsr2csr_block_per_row_2_7_kernelILj256ELj3EdliEEv20rocsparse_direction_T3_S2_21rocsparse_index_base_PKT1_PKT2_PKS2_S2_S3_PS4_PS7_PS2_
; %bb.0:
	s_clause 0x1
	s_load_b32 s2, s[0:1], 0x2c
	s_load_b64 s[10:11], s[0:1], 0x38
	s_bfe_u32 s3, ttmp6, 0x4000c
	s_and_b32 s4, ttmp6, 15
	s_add_co_i32 s3, s3, 1
	s_getreg_b32 s5, hwreg(HW_REG_IB_STS2, 6, 4)
	s_mul_i32 s3, ttmp9, s3
	s_delay_alu instid0(SALU_CYCLE_1) | instskip(SKIP_3) | instid1(SALU_CYCLE_1)
	s_add_co_i32 s4, s4, s3
	s_cmp_eq_u32 s5, 0
	s_mov_b32 s3, exec_lo
	s_cselect_b32 s12, ttmp9, s4
	v_or_b32_e32 v1, s12, v0
	s_delay_alu instid0(VALU_DEP_1)
	v_cmpx_eq_u32_e32 0, v1
	s_cbranch_execz .LBB223_2
; %bb.1:
	s_wait_kmcnt 0x0
	v_dual_mov_b32 v2, s2 :: v_dual_mov_b32 v3, 0
	global_store_b64 v3, v[2:3], s[10:11]
.LBB223_2:
	s_wait_xcnt 0x0
	s_or_b32 exec_lo, exec_lo, s3
	v_and_b32_e32 v2, 3, v0
	s_mov_b32 s3, exec_lo
	s_delay_alu instid0(VALU_DEP_1)
	v_cmpx_ne_u32_e32 3, v2
	s_cbranch_execz .LBB223_6
; %bb.3:
	s_clause 0x1
	s_load_b64 s[4:5], s[0:1], 0x18
	s_load_b32 s8, s[0:1], 0xc
	s_ashr_i32 s13, s12, 31
	s_mov_b32 s9, 0
	s_lshl_b64 s[6:7], s[12:13], 3
	v_dual_mov_b32 v3, 0 :: v_dual_lshrrev_b32 v4, 2, v0
	s_mov_b32 s3, s9
	s_delay_alu instid0(VALU_DEP_1)
	v_mov_b32_e32 v5, v3
	s_wait_kmcnt 0x0
	s_add_nc_u64 s[14:15], s[4:5], s[6:7]
	s_load_b128 s[4:7], s[14:15], 0x0
	s_wait_kmcnt 0x0
	s_sub_nc_u64 s[14:15], s[4:5], s[8:9]
	s_sub_nc_u64 s[6:7], s[6:7], s[8:9]
	v_add_nc_u64_e32 v[0:1], s[14:15], v[4:5]
	s_sub_nc_u64 s[16:17], s[6:7], s[14:15]
	s_mul_u64 s[18:19], s[14:15], 9
	s_mul_u64 s[16:17], s[16:17], 3
	s_delay_alu instid0(SALU_CYCLE_1)
	v_mul_u64_e32 v[6:7], s[16:17], v[2:3]
	s_add_nc_u64 s[14:15], s[16:17], s[2:3]
	s_mul_i32 s3, s12, 3
	s_add_nc_u64 s[14:15], s[14:15], s[18:19]
	v_cmp_gt_i64_e32 vcc_lo, s[6:7], v[0:1]
	v_add3_u32 v5, v2, s3, 1
	s_delay_alu instid0(VALU_DEP_3)
	v_add_nc_u64_e32 v[8:9], s[14:15], v[6:7]
	global_store_b64 v5, v[8:9], s[10:11] scale_offset
	s_wait_xcnt 0x0
	s_and_b32 exec_lo, exec_lo, vcc_lo
	s_cbranch_execz .LBB223_6
; %bb.4:
	v_mad_nc_u64_u32 v[6:7], s4, 9, v[6:7]
	s_load_b64 s[10:11], s[0:1], 0x10
	v_mul_u32_u24_e32 v12, 3, v2
	v_dual_mov_b32 v13, v3 :: v_dual_lshlrev_b32 v2, 3, v2
	s_delay_alu instid0(VALU_DEP_2) | instskip(NEXT) | instid1(VALU_DEP_4)
	v_lshlrev_b32_e32 v12, 3, v12
	v_mad_u32 v7, s5, 9, v7
	s_clause 0x3
	s_load_b64 s[4:5], s[0:1], 0x30
	s_load_b64 s[12:13], s[0:1], 0x40
	;; [unrolled: 1-line block ×3, first 2 shown]
	s_load_b32 s3, s[0:1], 0x0
	s_wait_xcnt 0x0
	s_mul_u64 s[0:1], s[8:9], 9
	s_delay_alu instid0(VALU_DEP_1) | instskip(SKIP_3) | instid1(VALU_DEP_2)
	v_mad_nc_u64_u32 v[6:7], v4, 3, v[6:7]
	s_wait_kmcnt 0x0
	v_mad_nc_u64_u32 v[4:5], 0x48, v0, s[10:11]
	s_cmp_eq_u32 s3, 0
	v_sub_nc_u64_e64 v[6:7], v[6:7], s[0:1]
	s_delay_alu instid0(VALU_DEP_2) | instskip(SKIP_1) | instid1(VALU_DEP_2)
	v_mad_u32 v5, 0x48, v1, v5
	s_cselect_b32 vcc_lo, -1, 0
	v_lshl_add_u64 v[8:9], v[6:7], 3, s[4:5]
	v_lshl_add_u64 v[10:11], v[6:7], 2, s[12:13]
	v_lshl_add_u64 v[6:7], v[0:1], 2, s[14:15]
	s_delay_alu instid0(VALU_DEP_3) | instskip(NEXT) | instid1(VALU_DEP_3)
	v_add_nc_u64_e32 v[8:9], 8, v[8:9]
	v_add_nc_u64_e32 v[10:11], 4, v[10:11]
.LBB223_5:                              ; =>This Inner Loop Header: Depth=1
	global_load_b32 v26, v[6:7], off
	v_add_nc_u64_e32 v[14:15], v[4:5], v[2:3]
	v_add_nc_u64_e32 v[16:17], v[4:5], v[12:13]
	;; [unrolled: 1-line block ×3, first 2 shown]
	s_wait_xcnt 0x0
	v_add_nc_u64_e32 v[6:7], 0x100, v[6:7]
	v_add_nc_u64_e32 v[4:5], 0x1200, v[4:5]
	;; [unrolled: 1-line block ×4, first 2 shown]
	v_dual_cndmask_b32 v19, v15, v17 :: v_dual_cndmask_b32 v18, v14, v16
	v_add_nc_u64_e32 v[16:17], 16, v[16:17]
	v_add_nc_u64_e32 v[24:25], 48, v[14:15]
	v_cmp_le_i64_e64 s0, s[6:7], v[0:1]
	global_load_b64 v[14:15], v[18:19], off
	s_wait_xcnt 0x0
	v_dual_cndmask_b32 v19, v23, v21 :: v_dual_cndmask_b32 v18, v22, v20
	v_dual_cndmask_b32 v21, v25, v17 :: v_dual_cndmask_b32 v20, v24, v16
	global_load_b64 v[16:17], v[18:19], off
	global_load_b64 v[22:23], v[20:21], off
	s_or_b32 s9, s0, s9
	s_wait_loadcnt 0x1
	global_store_b128 v[8:9], v[14:17], off offset:-8
	s_wait_loadcnt 0x0
	global_store_b64 v[8:9], v[22:23], off offset:8
	s_wait_xcnt 0x3
	v_subrev_nc_u32_e32 v18, s8, v26
	s_wait_xcnt 0x0
	v_add_nc_u64_e32 v[8:9], 0x600, v[8:9]
	s_delay_alu instid0(VALU_DEP_2) | instskip(NEXT) | instid1(VALU_DEP_1)
	v_mad_u32 v18, v18, 3, s2
	v_dual_add_nc_u32 v20, 2, v18 :: v_dual_add_nc_u32 v19, 1, v18
	global_store_b96 v[10:11], v[18:20], off offset:-4
	s_wait_xcnt 0x0
	v_add_nc_u64_e32 v[10:11], 0x300, v[10:11]
	s_and_not1_b32 exec_lo, exec_lo, s9
	s_cbranch_execnz .LBB223_5
.LBB223_6:
	s_endpgm
	.section	.rodata,"a",@progbits
	.p2align	6, 0x0
	.amdhsa_kernel _ZN9rocsparseL32bsr2csr_block_per_row_2_7_kernelILj256ELj3EdliEEv20rocsparse_direction_T3_S2_21rocsparse_index_base_PKT1_PKT2_PKS2_S2_S3_PS4_PS7_PS2_
		.amdhsa_group_segment_fixed_size 0
		.amdhsa_private_segment_fixed_size 0
		.amdhsa_kernarg_size 72
		.amdhsa_user_sgpr_count 2
		.amdhsa_user_sgpr_dispatch_ptr 0
		.amdhsa_user_sgpr_queue_ptr 0
		.amdhsa_user_sgpr_kernarg_segment_ptr 1
		.amdhsa_user_sgpr_dispatch_id 0
		.amdhsa_user_sgpr_kernarg_preload_length 0
		.amdhsa_user_sgpr_kernarg_preload_offset 0
		.amdhsa_user_sgpr_private_segment_size 0
		.amdhsa_wavefront_size32 1
		.amdhsa_uses_dynamic_stack 0
		.amdhsa_enable_private_segment 0
		.amdhsa_system_sgpr_workgroup_id_x 1
		.amdhsa_system_sgpr_workgroup_id_y 0
		.amdhsa_system_sgpr_workgroup_id_z 0
		.amdhsa_system_sgpr_workgroup_info 0
		.amdhsa_system_vgpr_workitem_id 0
		.amdhsa_next_free_vgpr 27
		.amdhsa_next_free_sgpr 20
		.amdhsa_named_barrier_count 0
		.amdhsa_reserve_vcc 1
		.amdhsa_float_round_mode_32 0
		.amdhsa_float_round_mode_16_64 0
		.amdhsa_float_denorm_mode_32 3
		.amdhsa_float_denorm_mode_16_64 3
		.amdhsa_fp16_overflow 0
		.amdhsa_memory_ordered 1
		.amdhsa_forward_progress 1
		.amdhsa_inst_pref_size 6
		.amdhsa_round_robin_scheduling 0
		.amdhsa_exception_fp_ieee_invalid_op 0
		.amdhsa_exception_fp_denorm_src 0
		.amdhsa_exception_fp_ieee_div_zero 0
		.amdhsa_exception_fp_ieee_overflow 0
		.amdhsa_exception_fp_ieee_underflow 0
		.amdhsa_exception_fp_ieee_inexact 0
		.amdhsa_exception_int_div_zero 0
	.end_amdhsa_kernel
	.section	.text._ZN9rocsparseL32bsr2csr_block_per_row_2_7_kernelILj256ELj3EdliEEv20rocsparse_direction_T3_S2_21rocsparse_index_base_PKT1_PKT2_PKS2_S2_S3_PS4_PS7_PS2_,"axG",@progbits,_ZN9rocsparseL32bsr2csr_block_per_row_2_7_kernelILj256ELj3EdliEEv20rocsparse_direction_T3_S2_21rocsparse_index_base_PKT1_PKT2_PKS2_S2_S3_PS4_PS7_PS2_,comdat
.Lfunc_end223:
	.size	_ZN9rocsparseL32bsr2csr_block_per_row_2_7_kernelILj256ELj3EdliEEv20rocsparse_direction_T3_S2_21rocsparse_index_base_PKT1_PKT2_PKS2_S2_S3_PS4_PS7_PS2_, .Lfunc_end223-_ZN9rocsparseL32bsr2csr_block_per_row_2_7_kernelILj256ELj3EdliEEv20rocsparse_direction_T3_S2_21rocsparse_index_base_PKT1_PKT2_PKS2_S2_S3_PS4_PS7_PS2_
                                        ; -- End function
	.set _ZN9rocsparseL32bsr2csr_block_per_row_2_7_kernelILj256ELj3EdliEEv20rocsparse_direction_T3_S2_21rocsparse_index_base_PKT1_PKT2_PKS2_S2_S3_PS4_PS7_PS2_.num_vgpr, 27
	.set _ZN9rocsparseL32bsr2csr_block_per_row_2_7_kernelILj256ELj3EdliEEv20rocsparse_direction_T3_S2_21rocsparse_index_base_PKT1_PKT2_PKS2_S2_S3_PS4_PS7_PS2_.num_agpr, 0
	.set _ZN9rocsparseL32bsr2csr_block_per_row_2_7_kernelILj256ELj3EdliEEv20rocsparse_direction_T3_S2_21rocsparse_index_base_PKT1_PKT2_PKS2_S2_S3_PS4_PS7_PS2_.numbered_sgpr, 20
	.set _ZN9rocsparseL32bsr2csr_block_per_row_2_7_kernelILj256ELj3EdliEEv20rocsparse_direction_T3_S2_21rocsparse_index_base_PKT1_PKT2_PKS2_S2_S3_PS4_PS7_PS2_.num_named_barrier, 0
	.set _ZN9rocsparseL32bsr2csr_block_per_row_2_7_kernelILj256ELj3EdliEEv20rocsparse_direction_T3_S2_21rocsparse_index_base_PKT1_PKT2_PKS2_S2_S3_PS4_PS7_PS2_.private_seg_size, 0
	.set _ZN9rocsparseL32bsr2csr_block_per_row_2_7_kernelILj256ELj3EdliEEv20rocsparse_direction_T3_S2_21rocsparse_index_base_PKT1_PKT2_PKS2_S2_S3_PS4_PS7_PS2_.uses_vcc, 1
	.set _ZN9rocsparseL32bsr2csr_block_per_row_2_7_kernelILj256ELj3EdliEEv20rocsparse_direction_T3_S2_21rocsparse_index_base_PKT1_PKT2_PKS2_S2_S3_PS4_PS7_PS2_.uses_flat_scratch, 0
	.set _ZN9rocsparseL32bsr2csr_block_per_row_2_7_kernelILj256ELj3EdliEEv20rocsparse_direction_T3_S2_21rocsparse_index_base_PKT1_PKT2_PKS2_S2_S3_PS4_PS7_PS2_.has_dyn_sized_stack, 0
	.set _ZN9rocsparseL32bsr2csr_block_per_row_2_7_kernelILj256ELj3EdliEEv20rocsparse_direction_T3_S2_21rocsparse_index_base_PKT1_PKT2_PKS2_S2_S3_PS4_PS7_PS2_.has_recursion, 0
	.set _ZN9rocsparseL32bsr2csr_block_per_row_2_7_kernelILj256ELj3EdliEEv20rocsparse_direction_T3_S2_21rocsparse_index_base_PKT1_PKT2_PKS2_S2_S3_PS4_PS7_PS2_.has_indirect_call, 0
	.section	.AMDGPU.csdata,"",@progbits
; Kernel info:
; codeLenInByte = 724
; TotalNumSgprs: 22
; NumVgprs: 27
; ScratchSize: 0
; MemoryBound: 0
; FloatMode: 240
; IeeeMode: 1
; LDSByteSize: 0 bytes/workgroup (compile time only)
; SGPRBlocks: 0
; VGPRBlocks: 1
; NumSGPRsForWavesPerEU: 22
; NumVGPRsForWavesPerEU: 27
; NamedBarCnt: 0
; Occupancy: 16
; WaveLimiterHint : 0
; COMPUTE_PGM_RSRC2:SCRATCH_EN: 0
; COMPUTE_PGM_RSRC2:USER_SGPR: 2
; COMPUTE_PGM_RSRC2:TRAP_HANDLER: 0
; COMPUTE_PGM_RSRC2:TGID_X_EN: 1
; COMPUTE_PGM_RSRC2:TGID_Y_EN: 0
; COMPUTE_PGM_RSRC2:TGID_Z_EN: 0
; COMPUTE_PGM_RSRC2:TIDIG_COMP_CNT: 0
	.section	.text._ZN9rocsparseL32bsr2csr_block_per_row_2_7_kernelILj256ELj4EdliEEv20rocsparse_direction_T3_S2_21rocsparse_index_base_PKT1_PKT2_PKS2_S2_S3_PS4_PS7_PS2_,"axG",@progbits,_ZN9rocsparseL32bsr2csr_block_per_row_2_7_kernelILj256ELj4EdliEEv20rocsparse_direction_T3_S2_21rocsparse_index_base_PKT1_PKT2_PKS2_S2_S3_PS4_PS7_PS2_,comdat
	.globl	_ZN9rocsparseL32bsr2csr_block_per_row_2_7_kernelILj256ELj4EdliEEv20rocsparse_direction_T3_S2_21rocsparse_index_base_PKT1_PKT2_PKS2_S2_S3_PS4_PS7_PS2_ ; -- Begin function _ZN9rocsparseL32bsr2csr_block_per_row_2_7_kernelILj256ELj4EdliEEv20rocsparse_direction_T3_S2_21rocsparse_index_base_PKT1_PKT2_PKS2_S2_S3_PS4_PS7_PS2_
	.p2align	8
	.type	_ZN9rocsparseL32bsr2csr_block_per_row_2_7_kernelILj256ELj4EdliEEv20rocsparse_direction_T3_S2_21rocsparse_index_base_PKT1_PKT2_PKS2_S2_S3_PS4_PS7_PS2_,@function
_ZN9rocsparseL32bsr2csr_block_per_row_2_7_kernelILj256ELj4EdliEEv20rocsparse_direction_T3_S2_21rocsparse_index_base_PKT1_PKT2_PKS2_S2_S3_PS4_PS7_PS2_: ; @_ZN9rocsparseL32bsr2csr_block_per_row_2_7_kernelILj256ELj4EdliEEv20rocsparse_direction_T3_S2_21rocsparse_index_base_PKT1_PKT2_PKS2_S2_S3_PS4_PS7_PS2_
; %bb.0:
	s_load_b64 s[4:5], s[0:1], 0x18
	s_bfe_u32 s2, ttmp6, 0x4000c
	s_and_b32 s3, ttmp6, 15
	s_add_co_i32 s2, s2, 1
	s_getreg_b32 s6, hwreg(HW_REG_IB_STS2, 6, 4)
	s_mul_i32 s2, ttmp9, s2
	s_delay_alu instid0(SALU_CYCLE_1)
	s_add_co_i32 s3, s3, s2
	s_cmp_eq_u32 s6, 0
	s_clause 0x1
	s_load_b32 s2, s[0:1], 0x2c
	s_load_b64 s[12:13], s[0:1], 0x38
	s_cselect_b32 s10, ttmp9, s3
	s_delay_alu instid0(SALU_CYCLE_1)
	s_ashr_i32 s11, s10, 31
	v_or_b32_e32 v1, s10, v0
	s_lshl_b64 s[6:7], s[10:11], 3
	s_wait_kmcnt 0x0
	s_add_nc_u64 s[8:9], s[4:5], s[6:7]
	s_load_b128 s[4:7], s[8:9], 0x0
	s_wait_xcnt 0x0
	s_mov_b32 s9, 0
	s_mov_b32 s8, exec_lo
	s_mov_b32 s3, s9
	v_cmpx_eq_u32_e32 0, v1
	s_cbranch_execz .LBB224_2
; %bb.1:
	v_mov_b64_e32 v[2:3], s[2:3]
	v_mov_b32_e32 v1, 0
	global_store_b64 v1, v[2:3], s[12:13]
.LBB224_2:
	s_wait_xcnt 0x0
	s_or_b32 exec_lo, exec_lo, s8
	s_load_b32 s8, s[0:1], 0xc
	v_dual_mov_b32 v3, 0 :: v_dual_bitop2_b32 v2, 3, v0 bitop3:0x40
	s_delay_alu instid0(VALU_DEP_1) | instskip(SKIP_3) | instid1(VALU_DEP_1)
	v_dual_mov_b32 v7, v3 :: v_dual_lshrrev_b32 v6, 2, v0
	s_wait_kmcnt 0x0
	s_sub_nc_u64 s[14:15], s[4:5], s[8:9]
	s_sub_nc_u64 s[6:7], s[6:7], s[8:9]
	v_add_nc_u64_e32 v[0:1], s[14:15], v[6:7]
	s_sub_nc_u64 s[16:17], s[6:7], s[14:15]
	s_lshl_b64 s[14:15], s[14:15], 4
	s_lshl_b64 s[16:17], s[16:17], 2
	v_lshl_or_b32 v7, s10, 2, v2
	v_mul_u64_e32 v[4:5], s[16:17], v[2:3]
	s_add_nc_u64 s[16:17], s[16:17], s[2:3]
	s_mov_b32 s3, exec_lo
	s_add_nc_u64 s[10:11], s[16:17], s[14:15]
	v_add_nc_u32_e32 v7, 1, v7
	s_delay_alu instid0(VALU_DEP_2)
	v_add_nc_u64_e32 v[8:9], s[10:11], v[4:5]
	global_store_b64 v7, v[8:9], s[12:13] scale_offset
	s_wait_xcnt 0x0
	v_cmpx_gt_i64_e64 s[6:7], v[0:1]
	s_cbranch_execz .LBB224_5
; %bb.3:
	s_clause 0x2
	s_load_b64 s[10:11], s[0:1], 0x20
	s_load_b64 s[12:13], s[0:1], 0x30
	s_load_b32 s3, s[0:1], 0x0
	v_lshl_add_u64 v[4:5], s[4:5], 4, v[4:5]
	v_dual_mov_b32 v7, v3 :: v_dual_lshlrev_b32 v6, 2, v6
	s_load_b64 s[4:5], s[0:1], 0x10
	v_lshlrev_b64_e32 v[8:9], 7, v[0:1]
	s_wait_xcnt 0x0
	s_load_b64 s[0:1], s[0:1], 0x40
	v_add_nc_u64_e32 v[4:5], v[4:5], v[6:7]
	v_dual_lshlrev_b32 v6, 3, v2 :: v_dual_lshlrev_b32 v2, 5, v2
	s_wait_kmcnt 0x0
	s_cmp_eq_u32 s3, 0
	s_cselect_b32 vcc_lo, -1, 0
	s_lshl_b64 s[14:15], s[8:9], 4
	v_add_nc_u64_e32 v[8:9], s[4:5], v[8:9]
	v_sub_nc_u64_e64 v[12:13], v[4:5], s[14:15]
	v_lshl_add_u64 v[4:5], v[0:1], 2, s[10:11]
	s_delay_alu instid0(VALU_DEP_2) | instskip(SKIP_2) | instid1(VALU_DEP_2)
	v_lshl_add_u64 v[10:11], v[12:13], 3, s[12:13]
	v_lshl_add_u64 v[12:13], v[12:13], 2, s[0:1]
	s_mov_b32 s1, 0
	v_add_nc_u64_e32 v[10:11], 16, v[10:11]
.LBB224_4:                              ; =>This Inner Loop Header: Depth=1
	v_add_nc_u64_e32 v[14:15], v[8:9], v[2:3]
	v_add_nc_u64_e32 v[16:17], v[8:9], v[6:7]
	global_load_b32 v34, v[4:5], off
	v_add_nc_u64_e32 v[0:1], 64, v[0:1]
	s_wait_xcnt 0x0
	v_add_nc_u64_e32 v[4:5], 0x100, v[4:5]
	v_add_nc_u64_e32 v[8:9], 0x2000, v[8:9]
	;; [unrolled: 1-line block ×8, first 2 shown]
	v_dual_cndmask_b32 v31, v17, v15 :: v_dual_cndmask_b32 v30, v16, v14
	v_dual_cndmask_b32 v33, v21, v19 :: v_dual_cndmask_b32 v32, v20, v18
	;; [unrolled: 1-line block ×3, first 2 shown]
	s_delay_alu instid0(VALU_DEP_4)
	v_dual_cndmask_b32 v25, v29, v27 :: v_dual_cndmask_b32 v24, v28, v26
	global_load_b64 v[14:15], v[30:31], off
	global_load_b64 v[16:17], v[32:33], off
	;; [unrolled: 1-line block ×4, first 2 shown]
	v_cmp_le_i64_e64 s0, s[6:7], v[0:1]
	s_or_b32 s1, s0, s1
	s_wait_loadcnt 0x4
	s_wait_xcnt 0x1
	v_subrev_nc_u32_e32 v22, s8, v34
	s_delay_alu instid0(VALU_DEP_1) | instskip(SKIP_1) | instid1(VALU_DEP_1)
	v_lshl_add_u32 v22, v22, 2, s2
	s_wait_xcnt 0x0
	v_dual_add_nc_u32 v24, 2, v22 :: v_dual_add_nc_u32 v23, 1, v22
	v_add_nc_u32_e32 v25, 3, v22
	global_store_b128 v[12:13], v[22:25], off
	s_wait_xcnt 0x0
	v_add_nc_u64_e32 v[12:13], 0x400, v[12:13]
	s_wait_loadcnt 0x2
	global_store_b128 v[10:11], v[14:17], off offset:-16
	s_wait_loadcnt 0x0
	global_store_b128 v[10:11], v[18:21], off
	s_wait_xcnt 0x0
	v_add_nc_u64_e32 v[10:11], 0x800, v[10:11]
	s_and_not1_b32 exec_lo, exec_lo, s1
	s_cbranch_execnz .LBB224_4
.LBB224_5:
	s_endpgm
	.section	.rodata,"a",@progbits
	.p2align	6, 0x0
	.amdhsa_kernel _ZN9rocsparseL32bsr2csr_block_per_row_2_7_kernelILj256ELj4EdliEEv20rocsparse_direction_T3_S2_21rocsparse_index_base_PKT1_PKT2_PKS2_S2_S3_PS4_PS7_PS2_
		.amdhsa_group_segment_fixed_size 0
		.amdhsa_private_segment_fixed_size 0
		.amdhsa_kernarg_size 72
		.amdhsa_user_sgpr_count 2
		.amdhsa_user_sgpr_dispatch_ptr 0
		.amdhsa_user_sgpr_queue_ptr 0
		.amdhsa_user_sgpr_kernarg_segment_ptr 1
		.amdhsa_user_sgpr_dispatch_id 0
		.amdhsa_user_sgpr_kernarg_preload_length 0
		.amdhsa_user_sgpr_kernarg_preload_offset 0
		.amdhsa_user_sgpr_private_segment_size 0
		.amdhsa_wavefront_size32 1
		.amdhsa_uses_dynamic_stack 0
		.amdhsa_enable_private_segment 0
		.amdhsa_system_sgpr_workgroup_id_x 1
		.amdhsa_system_sgpr_workgroup_id_y 0
		.amdhsa_system_sgpr_workgroup_id_z 0
		.amdhsa_system_sgpr_workgroup_info 0
		.amdhsa_system_vgpr_workitem_id 0
		.amdhsa_next_free_vgpr 35
		.amdhsa_next_free_sgpr 18
		.amdhsa_named_barrier_count 0
		.amdhsa_reserve_vcc 1
		.amdhsa_float_round_mode_32 0
		.amdhsa_float_round_mode_16_64 0
		.amdhsa_float_denorm_mode_32 3
		.amdhsa_float_denorm_mode_16_64 3
		.amdhsa_fp16_overflow 0
		.amdhsa_memory_ordered 1
		.amdhsa_forward_progress 1
		.amdhsa_inst_pref_size 6
		.amdhsa_round_robin_scheduling 0
		.amdhsa_exception_fp_ieee_invalid_op 0
		.amdhsa_exception_fp_denorm_src 0
		.amdhsa_exception_fp_ieee_div_zero 0
		.amdhsa_exception_fp_ieee_overflow 0
		.amdhsa_exception_fp_ieee_underflow 0
		.amdhsa_exception_fp_ieee_inexact 0
		.amdhsa_exception_int_div_zero 0
	.end_amdhsa_kernel
	.section	.text._ZN9rocsparseL32bsr2csr_block_per_row_2_7_kernelILj256ELj4EdliEEv20rocsparse_direction_T3_S2_21rocsparse_index_base_PKT1_PKT2_PKS2_S2_S3_PS4_PS7_PS2_,"axG",@progbits,_ZN9rocsparseL32bsr2csr_block_per_row_2_7_kernelILj256ELj4EdliEEv20rocsparse_direction_T3_S2_21rocsparse_index_base_PKT1_PKT2_PKS2_S2_S3_PS4_PS7_PS2_,comdat
.Lfunc_end224:
	.size	_ZN9rocsparseL32bsr2csr_block_per_row_2_7_kernelILj256ELj4EdliEEv20rocsparse_direction_T3_S2_21rocsparse_index_base_PKT1_PKT2_PKS2_S2_S3_PS4_PS7_PS2_, .Lfunc_end224-_ZN9rocsparseL32bsr2csr_block_per_row_2_7_kernelILj256ELj4EdliEEv20rocsparse_direction_T3_S2_21rocsparse_index_base_PKT1_PKT2_PKS2_S2_S3_PS4_PS7_PS2_
                                        ; -- End function
	.set _ZN9rocsparseL32bsr2csr_block_per_row_2_7_kernelILj256ELj4EdliEEv20rocsparse_direction_T3_S2_21rocsparse_index_base_PKT1_PKT2_PKS2_S2_S3_PS4_PS7_PS2_.num_vgpr, 35
	.set _ZN9rocsparseL32bsr2csr_block_per_row_2_7_kernelILj256ELj4EdliEEv20rocsparse_direction_T3_S2_21rocsparse_index_base_PKT1_PKT2_PKS2_S2_S3_PS4_PS7_PS2_.num_agpr, 0
	.set _ZN9rocsparseL32bsr2csr_block_per_row_2_7_kernelILj256ELj4EdliEEv20rocsparse_direction_T3_S2_21rocsparse_index_base_PKT1_PKT2_PKS2_S2_S3_PS4_PS7_PS2_.numbered_sgpr, 18
	.set _ZN9rocsparseL32bsr2csr_block_per_row_2_7_kernelILj256ELj4EdliEEv20rocsparse_direction_T3_S2_21rocsparse_index_base_PKT1_PKT2_PKS2_S2_S3_PS4_PS7_PS2_.num_named_barrier, 0
	.set _ZN9rocsparseL32bsr2csr_block_per_row_2_7_kernelILj256ELj4EdliEEv20rocsparse_direction_T3_S2_21rocsparse_index_base_PKT1_PKT2_PKS2_S2_S3_PS4_PS7_PS2_.private_seg_size, 0
	.set _ZN9rocsparseL32bsr2csr_block_per_row_2_7_kernelILj256ELj4EdliEEv20rocsparse_direction_T3_S2_21rocsparse_index_base_PKT1_PKT2_PKS2_S2_S3_PS4_PS7_PS2_.uses_vcc, 1
	.set _ZN9rocsparseL32bsr2csr_block_per_row_2_7_kernelILj256ELj4EdliEEv20rocsparse_direction_T3_S2_21rocsparse_index_base_PKT1_PKT2_PKS2_S2_S3_PS4_PS7_PS2_.uses_flat_scratch, 0
	.set _ZN9rocsparseL32bsr2csr_block_per_row_2_7_kernelILj256ELj4EdliEEv20rocsparse_direction_T3_S2_21rocsparse_index_base_PKT1_PKT2_PKS2_S2_S3_PS4_PS7_PS2_.has_dyn_sized_stack, 0
	.set _ZN9rocsparseL32bsr2csr_block_per_row_2_7_kernelILj256ELj4EdliEEv20rocsparse_direction_T3_S2_21rocsparse_index_base_PKT1_PKT2_PKS2_S2_S3_PS4_PS7_PS2_.has_recursion, 0
	.set _ZN9rocsparseL32bsr2csr_block_per_row_2_7_kernelILj256ELj4EdliEEv20rocsparse_direction_T3_S2_21rocsparse_index_base_PKT1_PKT2_PKS2_S2_S3_PS4_PS7_PS2_.has_indirect_call, 0
	.section	.AMDGPU.csdata,"",@progbits
; Kernel info:
; codeLenInByte = 716
; TotalNumSgprs: 20
; NumVgprs: 35
; ScratchSize: 0
; MemoryBound: 0
; FloatMode: 240
; IeeeMode: 1
; LDSByteSize: 0 bytes/workgroup (compile time only)
; SGPRBlocks: 0
; VGPRBlocks: 2
; NumSGPRsForWavesPerEU: 20
; NumVGPRsForWavesPerEU: 35
; NamedBarCnt: 0
; Occupancy: 16
; WaveLimiterHint : 0
; COMPUTE_PGM_RSRC2:SCRATCH_EN: 0
; COMPUTE_PGM_RSRC2:USER_SGPR: 2
; COMPUTE_PGM_RSRC2:TRAP_HANDLER: 0
; COMPUTE_PGM_RSRC2:TGID_X_EN: 1
; COMPUTE_PGM_RSRC2:TGID_Y_EN: 0
; COMPUTE_PGM_RSRC2:TGID_Z_EN: 0
; COMPUTE_PGM_RSRC2:TIDIG_COMP_CNT: 0
	.section	.text._ZN9rocsparseL32bsr2csr_block_per_row_2_7_kernelILj256ELj5EdliEEv20rocsparse_direction_T3_S2_21rocsparse_index_base_PKT1_PKT2_PKS2_S2_S3_PS4_PS7_PS2_,"axG",@progbits,_ZN9rocsparseL32bsr2csr_block_per_row_2_7_kernelILj256ELj5EdliEEv20rocsparse_direction_T3_S2_21rocsparse_index_base_PKT1_PKT2_PKS2_S2_S3_PS4_PS7_PS2_,comdat
	.globl	_ZN9rocsparseL32bsr2csr_block_per_row_2_7_kernelILj256ELj5EdliEEv20rocsparse_direction_T3_S2_21rocsparse_index_base_PKT1_PKT2_PKS2_S2_S3_PS4_PS7_PS2_ ; -- Begin function _ZN9rocsparseL32bsr2csr_block_per_row_2_7_kernelILj256ELj5EdliEEv20rocsparse_direction_T3_S2_21rocsparse_index_base_PKT1_PKT2_PKS2_S2_S3_PS4_PS7_PS2_
	.p2align	8
	.type	_ZN9rocsparseL32bsr2csr_block_per_row_2_7_kernelILj256ELj5EdliEEv20rocsparse_direction_T3_S2_21rocsparse_index_base_PKT1_PKT2_PKS2_S2_S3_PS4_PS7_PS2_,@function
_ZN9rocsparseL32bsr2csr_block_per_row_2_7_kernelILj256ELj5EdliEEv20rocsparse_direction_T3_S2_21rocsparse_index_base_PKT1_PKT2_PKS2_S2_S3_PS4_PS7_PS2_: ; @_ZN9rocsparseL32bsr2csr_block_per_row_2_7_kernelILj256ELj5EdliEEv20rocsparse_direction_T3_S2_21rocsparse_index_base_PKT1_PKT2_PKS2_S2_S3_PS4_PS7_PS2_
; %bb.0:
	s_clause 0x1
	s_load_b32 s2, s[0:1], 0x2c
	s_load_b64 s[10:11], s[0:1], 0x38
	s_bfe_u32 s3, ttmp6, 0x4000c
	s_and_b32 s4, ttmp6, 15
	s_add_co_i32 s3, s3, 1
	s_getreg_b32 s5, hwreg(HW_REG_IB_STS2, 6, 4)
	s_mul_i32 s3, ttmp9, s3
	s_delay_alu instid0(SALU_CYCLE_1) | instskip(SKIP_3) | instid1(SALU_CYCLE_1)
	s_add_co_i32 s4, s4, s3
	s_cmp_eq_u32 s5, 0
	s_mov_b32 s3, exec_lo
	s_cselect_b32 s12, ttmp9, s4
	v_or_b32_e32 v1, s12, v0
	s_delay_alu instid0(VALU_DEP_1)
	v_cmpx_eq_u32_e32 0, v1
	s_cbranch_execz .LBB225_2
; %bb.1:
	s_wait_kmcnt 0x0
	v_dual_mov_b32 v2, s2 :: v_dual_mov_b32 v3, 0
	global_store_b64 v3, v[2:3], s[10:11]
.LBB225_2:
	s_wait_xcnt 0x0
	s_or_b32 exec_lo, exec_lo, s3
	v_and_b32_e32 v2, 7, v0
	s_mov_b32 s3, exec_lo
	s_delay_alu instid0(VALU_DEP_1)
	v_cmpx_gt_u32_e32 5, v2
	s_cbranch_execz .LBB225_6
; %bb.3:
	s_clause 0x1
	s_load_b64 s[4:5], s[0:1], 0x18
	s_load_b32 s8, s[0:1], 0xc
	s_ashr_i32 s13, s12, 31
	s_mov_b32 s9, 0
	s_lshl_b64 s[6:7], s[12:13], 3
	v_dual_mov_b32 v3, 0 :: v_dual_lshrrev_b32 v4, 3, v0
	s_mov_b32 s3, s9
	s_delay_alu instid0(VALU_DEP_1)
	v_mov_b32_e32 v5, v3
	s_wait_kmcnt 0x0
	s_add_nc_u64 s[14:15], s[4:5], s[6:7]
	s_load_b128 s[4:7], s[14:15], 0x0
	s_wait_kmcnt 0x0
	s_sub_nc_u64 s[14:15], s[4:5], s[8:9]
	s_sub_nc_u64 s[6:7], s[6:7], s[8:9]
	v_add_nc_u64_e32 v[0:1], s[14:15], v[4:5]
	s_sub_nc_u64 s[16:17], s[6:7], s[14:15]
	s_mul_u64 s[18:19], s[14:15], 25
	s_mul_u64 s[16:17], s[16:17], 5
	s_delay_alu instid0(SALU_CYCLE_1)
	v_mul_u64_e32 v[6:7], s[16:17], v[2:3]
	s_add_nc_u64 s[14:15], s[16:17], s[2:3]
	s_mul_i32 s3, s12, 5
	s_add_nc_u64 s[14:15], s[14:15], s[18:19]
	v_cmp_gt_i64_e32 vcc_lo, s[6:7], v[0:1]
	v_add3_u32 v5, v2, s3, 1
	s_delay_alu instid0(VALU_DEP_3)
	v_add_nc_u64_e32 v[8:9], s[14:15], v[6:7]
	global_store_b64 v5, v[8:9], s[10:11] scale_offset
	s_wait_xcnt 0x0
	s_and_b32 exec_lo, exec_lo, vcc_lo
	s_cbranch_execz .LBB225_6
; %bb.4:
	v_mad_nc_u64_u32 v[6:7], s4, 25, v[6:7]
	s_load_b64 s[10:11], s[0:1], 0x10
	v_mul_u32_u24_e32 v12, 5, v2
	v_dual_mov_b32 v13, v3 :: v_dual_lshlrev_b32 v2, 3, v2
	s_delay_alu instid0(VALU_DEP_2) | instskip(NEXT) | instid1(VALU_DEP_4)
	v_lshlrev_b32_e32 v12, 3, v12
	v_mad_u32 v7, s5, 25, v7
	s_clause 0x3
	s_load_b64 s[4:5], s[0:1], 0x30
	s_load_b64 s[12:13], s[0:1], 0x40
	;; [unrolled: 1-line block ×3, first 2 shown]
	s_load_b32 s3, s[0:1], 0x0
	s_wait_xcnt 0x0
	s_mul_u64 s[0:1], s[8:9], 25
	s_delay_alu instid0(VALU_DEP_1) | instskip(SKIP_3) | instid1(VALU_DEP_2)
	v_mad_nc_u64_u32 v[6:7], v4, 5, v[6:7]
	s_wait_kmcnt 0x0
	v_mad_nc_u64_u32 v[4:5], 0xc8, v0, s[10:11]
	s_cmp_eq_u32 s3, 0
	v_sub_nc_u64_e64 v[6:7], v[6:7], s[0:1]
	s_delay_alu instid0(VALU_DEP_2) | instskip(SKIP_1) | instid1(VALU_DEP_2)
	v_mad_u32 v5, 0xc8, v1, v5
	s_cselect_b32 vcc_lo, -1, 0
	v_lshl_add_u64 v[8:9], v[6:7], 3, s[4:5]
	v_lshl_add_u64 v[10:11], v[6:7], 2, s[12:13]
	;; [unrolled: 1-line block ×3, first 2 shown]
	s_delay_alu instid0(VALU_DEP_3) | instskip(NEXT) | instid1(VALU_DEP_3)
	v_add_nc_u64_e32 v[8:9], 16, v[8:9]
	v_add_nc_u64_e32 v[10:11], 12, v[10:11]
.LBB225_5:                              ; =>This Inner Loop Header: Depth=1
	global_load_b32 v34, v[6:7], off
	v_add_nc_u64_e32 v[14:15], v[4:5], v[2:3]
	v_add_nc_u64_e32 v[16:17], v[4:5], v[12:13]
	;; [unrolled: 1-line block ×3, first 2 shown]
	s_wait_xcnt 0x0
	v_add_nc_u64_e32 v[6:7], 0x80, v[6:7]
	v_add_nc_u64_e32 v[4:5], 0x1900, v[4:5]
	;; [unrolled: 1-line block ×8, first 2 shown]
	v_dual_cndmask_b32 v19, v15, v17 :: v_dual_cndmask_b32 v18, v14, v16
	v_add_nc_u64_e32 v[16:17], 32, v[16:17]
	v_add_nc_u64_e32 v[32:33], 0xa0, v[14:15]
	v_dual_cndmask_b32 v23, v23, v21 :: v_dual_cndmask_b32 v22, v22, v20
	v_dual_cndmask_b32 v25, v27, v25 :: v_dual_cndmask_b32 v24, v26, v24
	v_dual_cndmask_b32 v27, v31, v29 :: v_dual_cndmask_b32 v26, v30, v28
	s_delay_alu instid0(VALU_DEP_4)
	v_dual_cndmask_b32 v29, v33, v17 :: v_dual_cndmask_b32 v28, v32, v16
	global_load_b64 v[14:15], v[18:19], off
	global_load_b64 v[16:17], v[22:23], off
	;; [unrolled: 1-line block ×5, first 2 shown]
	v_cmp_le_i64_e64 s0, s[6:7], v[0:1]
	s_wait_loadcnt 0x3
	global_store_b128 v[8:9], v[14:17], off offset:-16
	s_wait_loadcnt 0x1
	global_store_b128 v[8:9], v[18:21], off
	s_wait_loadcnt 0x0
	global_store_b64 v[8:9], v[30:31], off offset:16
	s_wait_xcnt 0x6
	v_subrev_nc_u32_e32 v22, s8, v34
	s_wait_xcnt 0x0
	v_add_nc_u64_e32 v[8:9], 0x500, v[8:9]
	s_or_b32 s9, s0, s9
	s_delay_alu instid0(VALU_DEP_2) | instskip(NEXT) | instid1(VALU_DEP_1)
	v_mad_u32 v22, v22, 5, s2
	v_dual_add_nc_u32 v24, 2, v22 :: v_dual_add_nc_u32 v23, 1, v22
	v_dual_add_nc_u32 v27, 4, v22 :: v_dual_add_nc_u32 v26, 3, v22
	s_clause 0x1
	global_store_b96 v[10:11], v[22:24], off offset:-12
	global_store_b64 v[10:11], v[26:27], off
	s_wait_xcnt 0x0
	v_add_nc_u64_e32 v[10:11], 0x280, v[10:11]
	s_and_not1_b32 exec_lo, exec_lo, s9
	s_cbranch_execnz .LBB225_5
.LBB225_6:
	s_endpgm
	.section	.rodata,"a",@progbits
	.p2align	6, 0x0
	.amdhsa_kernel _ZN9rocsparseL32bsr2csr_block_per_row_2_7_kernelILj256ELj5EdliEEv20rocsparse_direction_T3_S2_21rocsparse_index_base_PKT1_PKT2_PKS2_S2_S3_PS4_PS7_PS2_
		.amdhsa_group_segment_fixed_size 0
		.amdhsa_private_segment_fixed_size 0
		.amdhsa_kernarg_size 72
		.amdhsa_user_sgpr_count 2
		.amdhsa_user_sgpr_dispatch_ptr 0
		.amdhsa_user_sgpr_queue_ptr 0
		.amdhsa_user_sgpr_kernarg_segment_ptr 1
		.amdhsa_user_sgpr_dispatch_id 0
		.amdhsa_user_sgpr_kernarg_preload_length 0
		.amdhsa_user_sgpr_kernarg_preload_offset 0
		.amdhsa_user_sgpr_private_segment_size 0
		.amdhsa_wavefront_size32 1
		.amdhsa_uses_dynamic_stack 0
		.amdhsa_enable_private_segment 0
		.amdhsa_system_sgpr_workgroup_id_x 1
		.amdhsa_system_sgpr_workgroup_id_y 0
		.amdhsa_system_sgpr_workgroup_id_z 0
		.amdhsa_system_sgpr_workgroup_info 0
		.amdhsa_system_vgpr_workitem_id 0
		.amdhsa_next_free_vgpr 35
		.amdhsa_next_free_sgpr 20
		.amdhsa_named_barrier_count 0
		.amdhsa_reserve_vcc 1
		.amdhsa_float_round_mode_32 0
		.amdhsa_float_round_mode_16_64 0
		.amdhsa_float_denorm_mode_32 3
		.amdhsa_float_denorm_mode_16_64 3
		.amdhsa_fp16_overflow 0
		.amdhsa_memory_ordered 1
		.amdhsa_forward_progress 1
		.amdhsa_inst_pref_size 7
		.amdhsa_round_robin_scheduling 0
		.amdhsa_exception_fp_ieee_invalid_op 0
		.amdhsa_exception_fp_denorm_src 0
		.amdhsa_exception_fp_ieee_div_zero 0
		.amdhsa_exception_fp_ieee_overflow 0
		.amdhsa_exception_fp_ieee_underflow 0
		.amdhsa_exception_fp_ieee_inexact 0
		.amdhsa_exception_int_div_zero 0
	.end_amdhsa_kernel
	.section	.text._ZN9rocsparseL32bsr2csr_block_per_row_2_7_kernelILj256ELj5EdliEEv20rocsparse_direction_T3_S2_21rocsparse_index_base_PKT1_PKT2_PKS2_S2_S3_PS4_PS7_PS2_,"axG",@progbits,_ZN9rocsparseL32bsr2csr_block_per_row_2_7_kernelILj256ELj5EdliEEv20rocsparse_direction_T3_S2_21rocsparse_index_base_PKT1_PKT2_PKS2_S2_S3_PS4_PS7_PS2_,comdat
.Lfunc_end225:
	.size	_ZN9rocsparseL32bsr2csr_block_per_row_2_7_kernelILj256ELj5EdliEEv20rocsparse_direction_T3_S2_21rocsparse_index_base_PKT1_PKT2_PKS2_S2_S3_PS4_PS7_PS2_, .Lfunc_end225-_ZN9rocsparseL32bsr2csr_block_per_row_2_7_kernelILj256ELj5EdliEEv20rocsparse_direction_T3_S2_21rocsparse_index_base_PKT1_PKT2_PKS2_S2_S3_PS4_PS7_PS2_
                                        ; -- End function
	.set _ZN9rocsparseL32bsr2csr_block_per_row_2_7_kernelILj256ELj5EdliEEv20rocsparse_direction_T3_S2_21rocsparse_index_base_PKT1_PKT2_PKS2_S2_S3_PS4_PS7_PS2_.num_vgpr, 35
	.set _ZN9rocsparseL32bsr2csr_block_per_row_2_7_kernelILj256ELj5EdliEEv20rocsparse_direction_T3_S2_21rocsparse_index_base_PKT1_PKT2_PKS2_S2_S3_PS4_PS7_PS2_.num_agpr, 0
	.set _ZN9rocsparseL32bsr2csr_block_per_row_2_7_kernelILj256ELj5EdliEEv20rocsparse_direction_T3_S2_21rocsparse_index_base_PKT1_PKT2_PKS2_S2_S3_PS4_PS7_PS2_.numbered_sgpr, 20
	.set _ZN9rocsparseL32bsr2csr_block_per_row_2_7_kernelILj256ELj5EdliEEv20rocsparse_direction_T3_S2_21rocsparse_index_base_PKT1_PKT2_PKS2_S2_S3_PS4_PS7_PS2_.num_named_barrier, 0
	.set _ZN9rocsparseL32bsr2csr_block_per_row_2_7_kernelILj256ELj5EdliEEv20rocsparse_direction_T3_S2_21rocsparse_index_base_PKT1_PKT2_PKS2_S2_S3_PS4_PS7_PS2_.private_seg_size, 0
	.set _ZN9rocsparseL32bsr2csr_block_per_row_2_7_kernelILj256ELj5EdliEEv20rocsparse_direction_T3_S2_21rocsparse_index_base_PKT1_PKT2_PKS2_S2_S3_PS4_PS7_PS2_.uses_vcc, 1
	.set _ZN9rocsparseL32bsr2csr_block_per_row_2_7_kernelILj256ELj5EdliEEv20rocsparse_direction_T3_S2_21rocsparse_index_base_PKT1_PKT2_PKS2_S2_S3_PS4_PS7_PS2_.uses_flat_scratch, 0
	.set _ZN9rocsparseL32bsr2csr_block_per_row_2_7_kernelILj256ELj5EdliEEv20rocsparse_direction_T3_S2_21rocsparse_index_base_PKT1_PKT2_PKS2_S2_S3_PS4_PS7_PS2_.has_dyn_sized_stack, 0
	.set _ZN9rocsparseL32bsr2csr_block_per_row_2_7_kernelILj256ELj5EdliEEv20rocsparse_direction_T3_S2_21rocsparse_index_base_PKT1_PKT2_PKS2_S2_S3_PS4_PS7_PS2_.has_recursion, 0
	.set _ZN9rocsparseL32bsr2csr_block_per_row_2_7_kernelILj256ELj5EdliEEv20rocsparse_direction_T3_S2_21rocsparse_index_base_PKT1_PKT2_PKS2_S2_S3_PS4_PS7_PS2_.has_indirect_call, 0
	.section	.AMDGPU.csdata,"",@progbits
; Kernel info:
; codeLenInByte = 836
; TotalNumSgprs: 22
; NumVgprs: 35
; ScratchSize: 0
; MemoryBound: 0
; FloatMode: 240
; IeeeMode: 1
; LDSByteSize: 0 bytes/workgroup (compile time only)
; SGPRBlocks: 0
; VGPRBlocks: 2
; NumSGPRsForWavesPerEU: 22
; NumVGPRsForWavesPerEU: 35
; NamedBarCnt: 0
; Occupancy: 16
; WaveLimiterHint : 0
; COMPUTE_PGM_RSRC2:SCRATCH_EN: 0
; COMPUTE_PGM_RSRC2:USER_SGPR: 2
; COMPUTE_PGM_RSRC2:TRAP_HANDLER: 0
; COMPUTE_PGM_RSRC2:TGID_X_EN: 1
; COMPUTE_PGM_RSRC2:TGID_Y_EN: 0
; COMPUTE_PGM_RSRC2:TGID_Z_EN: 0
; COMPUTE_PGM_RSRC2:TIDIG_COMP_CNT: 0
	.section	.text._ZN9rocsparseL32bsr2csr_block_per_row_2_7_kernelILj256ELj6EdliEEv20rocsparse_direction_T3_S2_21rocsparse_index_base_PKT1_PKT2_PKS2_S2_S3_PS4_PS7_PS2_,"axG",@progbits,_ZN9rocsparseL32bsr2csr_block_per_row_2_7_kernelILj256ELj6EdliEEv20rocsparse_direction_T3_S2_21rocsparse_index_base_PKT1_PKT2_PKS2_S2_S3_PS4_PS7_PS2_,comdat
	.globl	_ZN9rocsparseL32bsr2csr_block_per_row_2_7_kernelILj256ELj6EdliEEv20rocsparse_direction_T3_S2_21rocsparse_index_base_PKT1_PKT2_PKS2_S2_S3_PS4_PS7_PS2_ ; -- Begin function _ZN9rocsparseL32bsr2csr_block_per_row_2_7_kernelILj256ELj6EdliEEv20rocsparse_direction_T3_S2_21rocsparse_index_base_PKT1_PKT2_PKS2_S2_S3_PS4_PS7_PS2_
	.p2align	8
	.type	_ZN9rocsparseL32bsr2csr_block_per_row_2_7_kernelILj256ELj6EdliEEv20rocsparse_direction_T3_S2_21rocsparse_index_base_PKT1_PKT2_PKS2_S2_S3_PS4_PS7_PS2_,@function
_ZN9rocsparseL32bsr2csr_block_per_row_2_7_kernelILj256ELj6EdliEEv20rocsparse_direction_T3_S2_21rocsparse_index_base_PKT1_PKT2_PKS2_S2_S3_PS4_PS7_PS2_: ; @_ZN9rocsparseL32bsr2csr_block_per_row_2_7_kernelILj256ELj6EdliEEv20rocsparse_direction_T3_S2_21rocsparse_index_base_PKT1_PKT2_PKS2_S2_S3_PS4_PS7_PS2_
; %bb.0:
	s_clause 0x1
	s_load_b32 s2, s[0:1], 0x2c
	s_load_b64 s[10:11], s[0:1], 0x38
	s_bfe_u32 s3, ttmp6, 0x4000c
	s_and_b32 s4, ttmp6, 15
	s_add_co_i32 s3, s3, 1
	s_getreg_b32 s5, hwreg(HW_REG_IB_STS2, 6, 4)
	s_mul_i32 s3, ttmp9, s3
	s_delay_alu instid0(SALU_CYCLE_1) | instskip(SKIP_3) | instid1(SALU_CYCLE_1)
	s_add_co_i32 s4, s4, s3
	s_cmp_eq_u32 s5, 0
	s_mov_b32 s3, exec_lo
	s_cselect_b32 s12, ttmp9, s4
	v_or_b32_e32 v1, s12, v0
	s_delay_alu instid0(VALU_DEP_1)
	v_cmpx_eq_u32_e32 0, v1
	s_cbranch_execz .LBB226_2
; %bb.1:
	s_wait_kmcnt 0x0
	v_dual_mov_b32 v2, s2 :: v_dual_mov_b32 v3, 0
	global_store_b64 v3, v[2:3], s[10:11]
.LBB226_2:
	s_wait_xcnt 0x0
	s_or_b32 exec_lo, exec_lo, s3
	v_and_b32_e32 v2, 7, v0
	s_mov_b32 s3, exec_lo
	s_delay_alu instid0(VALU_DEP_1)
	v_cmpx_gt_u32_e32 6, v2
	s_cbranch_execz .LBB226_6
; %bb.3:
	s_clause 0x1
	s_load_b64 s[4:5], s[0:1], 0x18
	s_load_b32 s8, s[0:1], 0xc
	s_ashr_i32 s13, s12, 31
	s_mov_b32 s9, 0
	s_lshl_b64 s[6:7], s[12:13], 3
	v_dual_mov_b32 v3, 0 :: v_dual_lshrrev_b32 v4, 3, v0
	s_mov_b32 s3, s9
	s_delay_alu instid0(VALU_DEP_1)
	v_mov_b32_e32 v5, v3
	s_wait_kmcnt 0x0
	s_add_nc_u64 s[14:15], s[4:5], s[6:7]
	s_load_b128 s[4:7], s[14:15], 0x0
	s_wait_kmcnt 0x0
	s_sub_nc_u64 s[14:15], s[4:5], s[8:9]
	s_sub_nc_u64 s[6:7], s[6:7], s[8:9]
	v_add_nc_u64_e32 v[0:1], s[14:15], v[4:5]
	s_sub_nc_u64 s[16:17], s[6:7], s[14:15]
	s_mul_u64 s[18:19], s[14:15], 36
	s_mul_u64 s[16:17], s[16:17], 6
	s_delay_alu instid0(SALU_CYCLE_1)
	v_mul_u64_e32 v[6:7], s[16:17], v[2:3]
	s_add_nc_u64 s[14:15], s[16:17], s[2:3]
	s_mul_i32 s3, s12, 6
	s_add_nc_u64 s[14:15], s[14:15], s[18:19]
	v_cmp_gt_i64_e32 vcc_lo, s[6:7], v[0:1]
	v_add3_u32 v5, v2, s3, 1
	s_delay_alu instid0(VALU_DEP_3)
	v_add_nc_u64_e32 v[8:9], s[14:15], v[6:7]
	global_store_b64 v5, v[8:9], s[10:11] scale_offset
	s_wait_xcnt 0x0
	s_and_b32 exec_lo, exec_lo, vcc_lo
	s_cbranch_execz .LBB226_6
; %bb.4:
	v_mad_nc_u64_u32 v[6:7], s4, 36, v[6:7]
	s_load_b64 s[10:11], s[0:1], 0x10
	v_mul_u32_u24_e32 v12, 6, v2
	v_dual_mov_b32 v13, v3 :: v_dual_lshlrev_b32 v2, 3, v2
	s_delay_alu instid0(VALU_DEP_2) | instskip(NEXT) | instid1(VALU_DEP_4)
	v_lshlrev_b32_e32 v12, 3, v12
	v_mad_u32 v7, s5, 36, v7
	s_clause 0x3
	s_load_b64 s[4:5], s[0:1], 0x30
	s_load_b64 s[12:13], s[0:1], 0x40
	;; [unrolled: 1-line block ×3, first 2 shown]
	s_load_b32 s3, s[0:1], 0x0
	s_wait_xcnt 0x0
	s_mul_u64 s[0:1], s[8:9], 36
	s_delay_alu instid0(VALU_DEP_1) | instskip(SKIP_3) | instid1(VALU_DEP_2)
	v_mad_nc_u64_u32 v[6:7], v4, 6, v[6:7]
	s_wait_kmcnt 0x0
	v_mad_nc_u64_u32 v[4:5], 0x120, v0, s[10:11]
	s_cmp_eq_u32 s3, 0
	v_sub_nc_u64_e64 v[6:7], v[6:7], s[0:1]
	s_delay_alu instid0(VALU_DEP_2) | instskip(SKIP_1) | instid1(VALU_DEP_2)
	v_mad_u32 v5, 0x120, v1, v5
	s_cselect_b32 vcc_lo, -1, 0
	v_lshl_add_u64 v[8:9], v[6:7], 3, s[4:5]
	v_lshl_add_u64 v[10:11], v[6:7], 2, s[12:13]
	;; [unrolled: 1-line block ×3, first 2 shown]
	s_delay_alu instid0(VALU_DEP_3) | instskip(NEXT) | instid1(VALU_DEP_3)
	v_add_nc_u64_e32 v[8:9], 24, v[8:9]
	v_add_nc_u64_e32 v[10:11], 12, v[10:11]
.LBB226_5:                              ; =>This Inner Loop Header: Depth=1
	global_load_b32 v40, v[6:7], off
	v_add_nc_u64_e32 v[14:15], v[4:5], v[2:3]
	v_add_nc_u64_e32 v[16:17], v[4:5], v[12:13]
	;; [unrolled: 1-line block ×3, first 2 shown]
	s_wait_xcnt 0x0
	v_add_nc_u64_e32 v[6:7], 0x80, v[6:7]
	v_add_nc_u64_e32 v[4:5], 0x2400, v[4:5]
	;; [unrolled: 1-line block ×10, first 2 shown]
	v_dual_cndmask_b32 v19, v15, v17 :: v_dual_cndmask_b32 v18, v14, v16
	v_add_nc_u64_e32 v[16:17], 40, v[16:17]
	v_add_nc_u64_e32 v[36:37], 0xf0, v[14:15]
	v_dual_cndmask_b32 v39, v23, v21 :: v_dual_cndmask_b32 v38, v22, v20
	v_dual_cndmask_b32 v27, v27, v25 :: v_dual_cndmask_b32 v26, v26, v24
	;; [unrolled: 1-line block ×5, first 2 shown]
	global_load_b64 v[14:15], v[18:19], off
	global_load_b64 v[16:17], v[38:39], off
	;; [unrolled: 1-line block ×6, first 2 shown]
	v_cmp_le_i64_e64 s0, s[6:7], v[0:1]
	s_wait_loadcnt 0x4
	global_store_b128 v[8:9], v[14:17], off offset:-24
	s_wait_loadcnt 0x2
	global_store_b128 v[8:9], v[18:21], off offset:-8
	s_wait_loadcnt 0x0
	global_store_b128 v[8:9], v[22:25], off offset:8
	s_wait_xcnt 0x6
	v_subrev_nc_u32_e32 v26, s8, v40
	s_wait_xcnt 0x0
	v_add_nc_u64_e32 v[8:9], 0x600, v[8:9]
	s_or_b32 s9, s0, s9
	s_delay_alu instid0(VALU_DEP_2) | instskip(NEXT) | instid1(VALU_DEP_1)
	v_mad_u32 v26, v26, 6, s2
	v_dual_add_nc_u32 v28, 2, v26 :: v_dual_add_nc_u32 v27, 1, v26
	v_dual_add_nc_u32 v31, 4, v26 :: v_dual_add_nc_u32 v30, 3, v26
	v_add_nc_u32_e32 v32, 5, v26
	s_clause 0x1
	global_store_b96 v[10:11], v[26:28], off offset:-12
	global_store_b96 v[10:11], v[30:32], off
	s_wait_xcnt 0x0
	v_add_nc_u64_e32 v[10:11], 0x300, v[10:11]
	s_and_not1_b32 exec_lo, exec_lo, s9
	s_cbranch_execnz .LBB226_5
.LBB226_6:
	s_endpgm
	.section	.rodata,"a",@progbits
	.p2align	6, 0x0
	.amdhsa_kernel _ZN9rocsparseL32bsr2csr_block_per_row_2_7_kernelILj256ELj6EdliEEv20rocsparse_direction_T3_S2_21rocsparse_index_base_PKT1_PKT2_PKS2_S2_S3_PS4_PS7_PS2_
		.amdhsa_group_segment_fixed_size 0
		.amdhsa_private_segment_fixed_size 0
		.amdhsa_kernarg_size 72
		.amdhsa_user_sgpr_count 2
		.amdhsa_user_sgpr_dispatch_ptr 0
		.amdhsa_user_sgpr_queue_ptr 0
		.amdhsa_user_sgpr_kernarg_segment_ptr 1
		.amdhsa_user_sgpr_dispatch_id 0
		.amdhsa_user_sgpr_kernarg_preload_length 0
		.amdhsa_user_sgpr_kernarg_preload_offset 0
		.amdhsa_user_sgpr_private_segment_size 0
		.amdhsa_wavefront_size32 1
		.amdhsa_uses_dynamic_stack 0
		.amdhsa_enable_private_segment 0
		.amdhsa_system_sgpr_workgroup_id_x 1
		.amdhsa_system_sgpr_workgroup_id_y 0
		.amdhsa_system_sgpr_workgroup_id_z 0
		.amdhsa_system_sgpr_workgroup_info 0
		.amdhsa_system_vgpr_workitem_id 0
		.amdhsa_next_free_vgpr 41
		.amdhsa_next_free_sgpr 20
		.amdhsa_named_barrier_count 0
		.amdhsa_reserve_vcc 1
		.amdhsa_float_round_mode_32 0
		.amdhsa_float_round_mode_16_64 0
		.amdhsa_float_denorm_mode_32 3
		.amdhsa_float_denorm_mode_16_64 3
		.amdhsa_fp16_overflow 0
		.amdhsa_memory_ordered 1
		.amdhsa_forward_progress 1
		.amdhsa_inst_pref_size 7
		.amdhsa_round_robin_scheduling 0
		.amdhsa_exception_fp_ieee_invalid_op 0
		.amdhsa_exception_fp_denorm_src 0
		.amdhsa_exception_fp_ieee_div_zero 0
		.amdhsa_exception_fp_ieee_overflow 0
		.amdhsa_exception_fp_ieee_underflow 0
		.amdhsa_exception_fp_ieee_inexact 0
		.amdhsa_exception_int_div_zero 0
	.end_amdhsa_kernel
	.section	.text._ZN9rocsparseL32bsr2csr_block_per_row_2_7_kernelILj256ELj6EdliEEv20rocsparse_direction_T3_S2_21rocsparse_index_base_PKT1_PKT2_PKS2_S2_S3_PS4_PS7_PS2_,"axG",@progbits,_ZN9rocsparseL32bsr2csr_block_per_row_2_7_kernelILj256ELj6EdliEEv20rocsparse_direction_T3_S2_21rocsparse_index_base_PKT1_PKT2_PKS2_S2_S3_PS4_PS7_PS2_,comdat
.Lfunc_end226:
	.size	_ZN9rocsparseL32bsr2csr_block_per_row_2_7_kernelILj256ELj6EdliEEv20rocsparse_direction_T3_S2_21rocsparse_index_base_PKT1_PKT2_PKS2_S2_S3_PS4_PS7_PS2_, .Lfunc_end226-_ZN9rocsparseL32bsr2csr_block_per_row_2_7_kernelILj256ELj6EdliEEv20rocsparse_direction_T3_S2_21rocsparse_index_base_PKT1_PKT2_PKS2_S2_S3_PS4_PS7_PS2_
                                        ; -- End function
	.set _ZN9rocsparseL32bsr2csr_block_per_row_2_7_kernelILj256ELj6EdliEEv20rocsparse_direction_T3_S2_21rocsparse_index_base_PKT1_PKT2_PKS2_S2_S3_PS4_PS7_PS2_.num_vgpr, 41
	.set _ZN9rocsparseL32bsr2csr_block_per_row_2_7_kernelILj256ELj6EdliEEv20rocsparse_direction_T3_S2_21rocsparse_index_base_PKT1_PKT2_PKS2_S2_S3_PS4_PS7_PS2_.num_agpr, 0
	.set _ZN9rocsparseL32bsr2csr_block_per_row_2_7_kernelILj256ELj6EdliEEv20rocsparse_direction_T3_S2_21rocsparse_index_base_PKT1_PKT2_PKS2_S2_S3_PS4_PS7_PS2_.numbered_sgpr, 20
	.set _ZN9rocsparseL32bsr2csr_block_per_row_2_7_kernelILj256ELj6EdliEEv20rocsparse_direction_T3_S2_21rocsparse_index_base_PKT1_PKT2_PKS2_S2_S3_PS4_PS7_PS2_.num_named_barrier, 0
	.set _ZN9rocsparseL32bsr2csr_block_per_row_2_7_kernelILj256ELj6EdliEEv20rocsparse_direction_T3_S2_21rocsparse_index_base_PKT1_PKT2_PKS2_S2_S3_PS4_PS7_PS2_.private_seg_size, 0
	.set _ZN9rocsparseL32bsr2csr_block_per_row_2_7_kernelILj256ELj6EdliEEv20rocsparse_direction_T3_S2_21rocsparse_index_base_PKT1_PKT2_PKS2_S2_S3_PS4_PS7_PS2_.uses_vcc, 1
	.set _ZN9rocsparseL32bsr2csr_block_per_row_2_7_kernelILj256ELj6EdliEEv20rocsparse_direction_T3_S2_21rocsparse_index_base_PKT1_PKT2_PKS2_S2_S3_PS4_PS7_PS2_.uses_flat_scratch, 0
	.set _ZN9rocsparseL32bsr2csr_block_per_row_2_7_kernelILj256ELj6EdliEEv20rocsparse_direction_T3_S2_21rocsparse_index_base_PKT1_PKT2_PKS2_S2_S3_PS4_PS7_PS2_.has_dyn_sized_stack, 0
	.set _ZN9rocsparseL32bsr2csr_block_per_row_2_7_kernelILj256ELj6EdliEEv20rocsparse_direction_T3_S2_21rocsparse_index_base_PKT1_PKT2_PKS2_S2_S3_PS4_PS7_PS2_.has_recursion, 0
	.set _ZN9rocsparseL32bsr2csr_block_per_row_2_7_kernelILj256ELj6EdliEEv20rocsparse_direction_T3_S2_21rocsparse_index_base_PKT1_PKT2_PKS2_S2_S3_PS4_PS7_PS2_.has_indirect_call, 0
	.section	.AMDGPU.csdata,"",@progbits
; Kernel info:
; codeLenInByte = 868
; TotalNumSgprs: 22
; NumVgprs: 41
; ScratchSize: 0
; MemoryBound: 0
; FloatMode: 240
; IeeeMode: 1
; LDSByteSize: 0 bytes/workgroup (compile time only)
; SGPRBlocks: 0
; VGPRBlocks: 2
; NumSGPRsForWavesPerEU: 22
; NumVGPRsForWavesPerEU: 41
; NamedBarCnt: 0
; Occupancy: 16
; WaveLimiterHint : 0
; COMPUTE_PGM_RSRC2:SCRATCH_EN: 0
; COMPUTE_PGM_RSRC2:USER_SGPR: 2
; COMPUTE_PGM_RSRC2:TRAP_HANDLER: 0
; COMPUTE_PGM_RSRC2:TGID_X_EN: 1
; COMPUTE_PGM_RSRC2:TGID_Y_EN: 0
; COMPUTE_PGM_RSRC2:TGID_Z_EN: 0
; COMPUTE_PGM_RSRC2:TIDIG_COMP_CNT: 0
	.section	.text._ZN9rocsparseL32bsr2csr_block_per_row_2_7_kernelILj256ELj7EdliEEv20rocsparse_direction_T3_S2_21rocsparse_index_base_PKT1_PKT2_PKS2_S2_S3_PS4_PS7_PS2_,"axG",@progbits,_ZN9rocsparseL32bsr2csr_block_per_row_2_7_kernelILj256ELj7EdliEEv20rocsparse_direction_T3_S2_21rocsparse_index_base_PKT1_PKT2_PKS2_S2_S3_PS4_PS7_PS2_,comdat
	.globl	_ZN9rocsparseL32bsr2csr_block_per_row_2_7_kernelILj256ELj7EdliEEv20rocsparse_direction_T3_S2_21rocsparse_index_base_PKT1_PKT2_PKS2_S2_S3_PS4_PS7_PS2_ ; -- Begin function _ZN9rocsparseL32bsr2csr_block_per_row_2_7_kernelILj256ELj7EdliEEv20rocsparse_direction_T3_S2_21rocsparse_index_base_PKT1_PKT2_PKS2_S2_S3_PS4_PS7_PS2_
	.p2align	8
	.type	_ZN9rocsparseL32bsr2csr_block_per_row_2_7_kernelILj256ELj7EdliEEv20rocsparse_direction_T3_S2_21rocsparse_index_base_PKT1_PKT2_PKS2_S2_S3_PS4_PS7_PS2_,@function
_ZN9rocsparseL32bsr2csr_block_per_row_2_7_kernelILj256ELj7EdliEEv20rocsparse_direction_T3_S2_21rocsparse_index_base_PKT1_PKT2_PKS2_S2_S3_PS4_PS7_PS2_: ; @_ZN9rocsparseL32bsr2csr_block_per_row_2_7_kernelILj256ELj7EdliEEv20rocsparse_direction_T3_S2_21rocsparse_index_base_PKT1_PKT2_PKS2_S2_S3_PS4_PS7_PS2_
; %bb.0:
	s_clause 0x1
	s_load_b32 s2, s[0:1], 0x2c
	s_load_b64 s[10:11], s[0:1], 0x38
	s_bfe_u32 s3, ttmp6, 0x4000c
	s_and_b32 s4, ttmp6, 15
	s_add_co_i32 s3, s3, 1
	s_getreg_b32 s5, hwreg(HW_REG_IB_STS2, 6, 4)
	s_mul_i32 s3, ttmp9, s3
	s_delay_alu instid0(SALU_CYCLE_1) | instskip(SKIP_3) | instid1(SALU_CYCLE_1)
	s_add_co_i32 s4, s4, s3
	s_cmp_eq_u32 s5, 0
	s_mov_b32 s3, exec_lo
	s_cselect_b32 s12, ttmp9, s4
	v_or_b32_e32 v1, s12, v0
	s_delay_alu instid0(VALU_DEP_1)
	v_cmpx_eq_u32_e32 0, v1
	s_cbranch_execz .LBB227_2
; %bb.1:
	s_wait_kmcnt 0x0
	v_dual_mov_b32 v2, s2 :: v_dual_mov_b32 v3, 0
	global_store_b64 v3, v[2:3], s[10:11]
.LBB227_2:
	s_wait_xcnt 0x0
	s_or_b32 exec_lo, exec_lo, s3
	v_and_b32_e32 v2, 7, v0
	s_mov_b32 s3, exec_lo
	s_delay_alu instid0(VALU_DEP_1)
	v_cmpx_ne_u32_e32 7, v2
	s_cbranch_execz .LBB227_6
; %bb.3:
	s_clause 0x1
	s_load_b64 s[4:5], s[0:1], 0x18
	s_load_b32 s8, s[0:1], 0xc
	s_ashr_i32 s13, s12, 31
	s_mov_b32 s9, 0
	s_lshl_b64 s[6:7], s[12:13], 3
	v_dual_mov_b32 v3, 0 :: v_dual_lshrrev_b32 v4, 3, v0
	s_mov_b32 s3, s9
	s_delay_alu instid0(VALU_DEP_1)
	v_mov_b32_e32 v5, v3
	s_wait_kmcnt 0x0
	s_add_nc_u64 s[14:15], s[4:5], s[6:7]
	s_load_b128 s[4:7], s[14:15], 0x0
	s_wait_kmcnt 0x0
	s_sub_nc_u64 s[14:15], s[4:5], s[8:9]
	s_sub_nc_u64 s[6:7], s[6:7], s[8:9]
	v_add_nc_u64_e32 v[0:1], s[14:15], v[4:5]
	s_sub_nc_u64 s[16:17], s[6:7], s[14:15]
	s_mul_u64 s[18:19], s[14:15], 49
	s_mul_u64 s[16:17], s[16:17], 7
	s_delay_alu instid0(SALU_CYCLE_1)
	v_mul_u64_e32 v[6:7], s[16:17], v[2:3]
	s_add_nc_u64 s[14:15], s[16:17], s[2:3]
	s_mul_i32 s3, s12, 7
	s_add_nc_u64 s[14:15], s[14:15], s[18:19]
	v_cmp_gt_i64_e32 vcc_lo, s[6:7], v[0:1]
	v_add3_u32 v5, v2, s3, 1
	s_delay_alu instid0(VALU_DEP_3)
	v_add_nc_u64_e32 v[8:9], s[14:15], v[6:7]
	global_store_b64 v5, v[8:9], s[10:11] scale_offset
	s_wait_xcnt 0x0
	s_and_b32 exec_lo, exec_lo, vcc_lo
	s_cbranch_execz .LBB227_6
; %bb.4:
	v_mad_nc_u64_u32 v[6:7], s4, 49, v[6:7]
	s_load_b64 s[10:11], s[0:1], 0x10
	v_mul_u32_u24_e32 v12, 7, v2
	v_dual_mov_b32 v13, v3 :: v_dual_lshlrev_b32 v2, 3, v2
	s_delay_alu instid0(VALU_DEP_2) | instskip(NEXT) | instid1(VALU_DEP_4)
	v_lshlrev_b32_e32 v12, 3, v12
	v_mad_u32 v7, s5, 49, v7
	s_clause 0x3
	s_load_b64 s[4:5], s[0:1], 0x30
	s_load_b64 s[12:13], s[0:1], 0x40
	;; [unrolled: 1-line block ×3, first 2 shown]
	s_load_b32 s3, s[0:1], 0x0
	s_wait_xcnt 0x0
	s_mul_u64 s[0:1], s[8:9], 49
	s_delay_alu instid0(VALU_DEP_1) | instskip(SKIP_3) | instid1(VALU_DEP_2)
	v_mad_nc_u64_u32 v[6:7], v4, 7, v[6:7]
	s_wait_kmcnt 0x0
	v_mad_nc_u64_u32 v[4:5], 0x188, v0, s[10:11]
	s_cmp_eq_u32 s3, 0
	v_sub_nc_u64_e64 v[6:7], v[6:7], s[0:1]
	s_delay_alu instid0(VALU_DEP_2) | instskip(SKIP_1) | instid1(VALU_DEP_2)
	v_mad_u32 v5, 0x188, v1, v5
	s_cselect_b32 vcc_lo, -1, 0
	v_lshl_add_u64 v[8:9], v[6:7], 3, s[4:5]
	v_lshl_add_u64 v[10:11], v[6:7], 2, s[12:13]
	;; [unrolled: 1-line block ×3, first 2 shown]
	s_delay_alu instid0(VALU_DEP_3) | instskip(NEXT) | instid1(VALU_DEP_3)
	v_add_nc_u64_e32 v[8:9], 24, v[8:9]
	v_add_nc_u64_e32 v[10:11], 20, v[10:11]
.LBB227_5:                              ; =>This Inner Loop Header: Depth=1
	global_load_b32 v44, v[6:7], off
	v_add_nc_u64_e32 v[14:15], v[4:5], v[2:3]
	v_add_nc_u64_e32 v[16:17], v[4:5], v[12:13]
	;; [unrolled: 1-line block ×3, first 2 shown]
	s_wait_xcnt 0x0
	v_add_nc_u64_e32 v[6:7], 0x80, v[6:7]
	v_add_nc_u64_e32 v[4:5], 0x3100, v[4:5]
	;; [unrolled: 1-line block ×12, first 2 shown]
	v_dual_cndmask_b32 v19, v15, v17 :: v_dual_cndmask_b32 v18, v14, v16
	v_add_nc_u64_e32 v[16:17], 48, v[16:17]
	v_add_nc_u64_e32 v[40:41], 0x150, v[14:15]
	v_dual_cndmask_b32 v43, v23, v21 :: v_dual_cndmask_b32 v42, v22, v20
	v_dual_cndmask_b32 v27, v27, v25 :: v_dual_cndmask_b32 v26, v26, v24
	;; [unrolled: 1-line block ×5, first 2 shown]
	global_load_b64 v[14:15], v[18:19], off
	v_dual_cndmask_b32 v35, v41, v17 :: v_dual_cndmask_b32 v34, v40, v16
	global_load_b64 v[16:17], v[42:43], off
	global_load_b64 v[18:19], v[26:27], off
	;; [unrolled: 1-line block ×6, first 2 shown]
	v_cmp_le_i64_e64 s0, s[6:7], v[0:1]
	s_wait_loadcnt 0x5
	global_store_b128 v[8:9], v[14:17], off offset:-24
	s_wait_loadcnt 0x3
	global_store_b128 v[8:9], v[18:21], off offset:-8
	s_wait_loadcnt 0x1
	global_store_b128 v[8:9], v[22:25], off offset:8
	s_wait_loadcnt 0x0
	global_store_b64 v[8:9], v[36:37], off offset:24
	s_wait_xcnt 0x8
	v_subrev_nc_u32_e32 v26, s8, v44
	s_wait_xcnt 0x0
	v_add_nc_u64_e32 v[8:9], 0x700, v[8:9]
	s_or_b32 s9, s0, s9
	s_delay_alu instid0(VALU_DEP_2) | instskip(NEXT) | instid1(VALU_DEP_1)
	v_mad_u32 v30, v26, 7, s2
	v_dual_add_nc_u32 v32, 2, v30 :: v_dual_add_nc_u32 v31, 1, v30
	v_dual_add_nc_u32 v27, 4, v30 :: v_dual_add_nc_u32 v26, 3, v30
	v_dual_add_nc_u32 v29, 6, v30 :: v_dual_add_nc_u32 v28, 5, v30
	s_clause 0x1
	global_store_b96 v[10:11], v[30:32], off offset:-20
	global_store_b128 v[10:11], v[26:29], off offset:-8
	s_wait_xcnt 0x0
	v_add_nc_u64_e32 v[10:11], 0x380, v[10:11]
	s_and_not1_b32 exec_lo, exec_lo, s9
	s_cbranch_execnz .LBB227_5
.LBB227_6:
	s_endpgm
	.section	.rodata,"a",@progbits
	.p2align	6, 0x0
	.amdhsa_kernel _ZN9rocsparseL32bsr2csr_block_per_row_2_7_kernelILj256ELj7EdliEEv20rocsparse_direction_T3_S2_21rocsparse_index_base_PKT1_PKT2_PKS2_S2_S3_PS4_PS7_PS2_
		.amdhsa_group_segment_fixed_size 0
		.amdhsa_private_segment_fixed_size 0
		.amdhsa_kernarg_size 72
		.amdhsa_user_sgpr_count 2
		.amdhsa_user_sgpr_dispatch_ptr 0
		.amdhsa_user_sgpr_queue_ptr 0
		.amdhsa_user_sgpr_kernarg_segment_ptr 1
		.amdhsa_user_sgpr_dispatch_id 0
		.amdhsa_user_sgpr_kernarg_preload_length 0
		.amdhsa_user_sgpr_kernarg_preload_offset 0
		.amdhsa_user_sgpr_private_segment_size 0
		.amdhsa_wavefront_size32 1
		.amdhsa_uses_dynamic_stack 0
		.amdhsa_enable_private_segment 0
		.amdhsa_system_sgpr_workgroup_id_x 1
		.amdhsa_system_sgpr_workgroup_id_y 0
		.amdhsa_system_sgpr_workgroup_id_z 0
		.amdhsa_system_sgpr_workgroup_info 0
		.amdhsa_system_vgpr_workitem_id 0
		.amdhsa_next_free_vgpr 45
		.amdhsa_next_free_sgpr 20
		.amdhsa_named_barrier_count 0
		.amdhsa_reserve_vcc 1
		.amdhsa_float_round_mode_32 0
		.amdhsa_float_round_mode_16_64 0
		.amdhsa_float_denorm_mode_32 3
		.amdhsa_float_denorm_mode_16_64 3
		.amdhsa_fp16_overflow 0
		.amdhsa_memory_ordered 1
		.amdhsa_forward_progress 1
		.amdhsa_inst_pref_size 8
		.amdhsa_round_robin_scheduling 0
		.amdhsa_exception_fp_ieee_invalid_op 0
		.amdhsa_exception_fp_denorm_src 0
		.amdhsa_exception_fp_ieee_div_zero 0
		.amdhsa_exception_fp_ieee_overflow 0
		.amdhsa_exception_fp_ieee_underflow 0
		.amdhsa_exception_fp_ieee_inexact 0
		.amdhsa_exception_int_div_zero 0
	.end_amdhsa_kernel
	.section	.text._ZN9rocsparseL32bsr2csr_block_per_row_2_7_kernelILj256ELj7EdliEEv20rocsparse_direction_T3_S2_21rocsparse_index_base_PKT1_PKT2_PKS2_S2_S3_PS4_PS7_PS2_,"axG",@progbits,_ZN9rocsparseL32bsr2csr_block_per_row_2_7_kernelILj256ELj7EdliEEv20rocsparse_direction_T3_S2_21rocsparse_index_base_PKT1_PKT2_PKS2_S2_S3_PS4_PS7_PS2_,comdat
.Lfunc_end227:
	.size	_ZN9rocsparseL32bsr2csr_block_per_row_2_7_kernelILj256ELj7EdliEEv20rocsparse_direction_T3_S2_21rocsparse_index_base_PKT1_PKT2_PKS2_S2_S3_PS4_PS7_PS2_, .Lfunc_end227-_ZN9rocsparseL32bsr2csr_block_per_row_2_7_kernelILj256ELj7EdliEEv20rocsparse_direction_T3_S2_21rocsparse_index_base_PKT1_PKT2_PKS2_S2_S3_PS4_PS7_PS2_
                                        ; -- End function
	.set _ZN9rocsparseL32bsr2csr_block_per_row_2_7_kernelILj256ELj7EdliEEv20rocsparse_direction_T3_S2_21rocsparse_index_base_PKT1_PKT2_PKS2_S2_S3_PS4_PS7_PS2_.num_vgpr, 45
	.set _ZN9rocsparseL32bsr2csr_block_per_row_2_7_kernelILj256ELj7EdliEEv20rocsparse_direction_T3_S2_21rocsparse_index_base_PKT1_PKT2_PKS2_S2_S3_PS4_PS7_PS2_.num_agpr, 0
	.set _ZN9rocsparseL32bsr2csr_block_per_row_2_7_kernelILj256ELj7EdliEEv20rocsparse_direction_T3_S2_21rocsparse_index_base_PKT1_PKT2_PKS2_S2_S3_PS4_PS7_PS2_.numbered_sgpr, 20
	.set _ZN9rocsparseL32bsr2csr_block_per_row_2_7_kernelILj256ELj7EdliEEv20rocsparse_direction_T3_S2_21rocsparse_index_base_PKT1_PKT2_PKS2_S2_S3_PS4_PS7_PS2_.num_named_barrier, 0
	.set _ZN9rocsparseL32bsr2csr_block_per_row_2_7_kernelILj256ELj7EdliEEv20rocsparse_direction_T3_S2_21rocsparse_index_base_PKT1_PKT2_PKS2_S2_S3_PS4_PS7_PS2_.private_seg_size, 0
	.set _ZN9rocsparseL32bsr2csr_block_per_row_2_7_kernelILj256ELj7EdliEEv20rocsparse_direction_T3_S2_21rocsparse_index_base_PKT1_PKT2_PKS2_S2_S3_PS4_PS7_PS2_.uses_vcc, 1
	.set _ZN9rocsparseL32bsr2csr_block_per_row_2_7_kernelILj256ELj7EdliEEv20rocsparse_direction_T3_S2_21rocsparse_index_base_PKT1_PKT2_PKS2_S2_S3_PS4_PS7_PS2_.uses_flat_scratch, 0
	.set _ZN9rocsparseL32bsr2csr_block_per_row_2_7_kernelILj256ELj7EdliEEv20rocsparse_direction_T3_S2_21rocsparse_index_base_PKT1_PKT2_PKS2_S2_S3_PS4_PS7_PS2_.has_dyn_sized_stack, 0
	.set _ZN9rocsparseL32bsr2csr_block_per_row_2_7_kernelILj256ELj7EdliEEv20rocsparse_direction_T3_S2_21rocsparse_index_base_PKT1_PKT2_PKS2_S2_S3_PS4_PS7_PS2_.has_recursion, 0
	.set _ZN9rocsparseL32bsr2csr_block_per_row_2_7_kernelILj256ELj7EdliEEv20rocsparse_direction_T3_S2_21rocsparse_index_base_PKT1_PKT2_PKS2_S2_S3_PS4_PS7_PS2_.has_indirect_call, 0
	.section	.AMDGPU.csdata,"",@progbits
; Kernel info:
; codeLenInByte = 924
; TotalNumSgprs: 22
; NumVgprs: 45
; ScratchSize: 0
; MemoryBound: 0
; FloatMode: 240
; IeeeMode: 1
; LDSByteSize: 0 bytes/workgroup (compile time only)
; SGPRBlocks: 0
; VGPRBlocks: 2
; NumSGPRsForWavesPerEU: 22
; NumVGPRsForWavesPerEU: 45
; NamedBarCnt: 0
; Occupancy: 16
; WaveLimiterHint : 0
; COMPUTE_PGM_RSRC2:SCRATCH_EN: 0
; COMPUTE_PGM_RSRC2:USER_SGPR: 2
; COMPUTE_PGM_RSRC2:TRAP_HANDLER: 0
; COMPUTE_PGM_RSRC2:TGID_X_EN: 1
; COMPUTE_PGM_RSRC2:TGID_Y_EN: 0
; COMPUTE_PGM_RSRC2:TGID_Z_EN: 0
; COMPUTE_PGM_RSRC2:TIDIG_COMP_CNT: 0
	.section	.text._ZN9rocsparseL33bsr2csr_block_per_row_8_32_kernelILj1024ELj8EdliEEv20rocsparse_direction_T3_S2_21rocsparse_index_base_PKT1_PKT2_PKS2_S2_S3_PS4_PS7_PS2_,"axG",@progbits,_ZN9rocsparseL33bsr2csr_block_per_row_8_32_kernelILj1024ELj8EdliEEv20rocsparse_direction_T3_S2_21rocsparse_index_base_PKT1_PKT2_PKS2_S2_S3_PS4_PS7_PS2_,comdat
	.globl	_ZN9rocsparseL33bsr2csr_block_per_row_8_32_kernelILj1024ELj8EdliEEv20rocsparse_direction_T3_S2_21rocsparse_index_base_PKT1_PKT2_PKS2_S2_S3_PS4_PS7_PS2_ ; -- Begin function _ZN9rocsparseL33bsr2csr_block_per_row_8_32_kernelILj1024ELj8EdliEEv20rocsparse_direction_T3_S2_21rocsparse_index_base_PKT1_PKT2_PKS2_S2_S3_PS4_PS7_PS2_
	.p2align	8
	.type	_ZN9rocsparseL33bsr2csr_block_per_row_8_32_kernelILj1024ELj8EdliEEv20rocsparse_direction_T3_S2_21rocsparse_index_base_PKT1_PKT2_PKS2_S2_S3_PS4_PS7_PS2_,@function
_ZN9rocsparseL33bsr2csr_block_per_row_8_32_kernelILj1024ELj8EdliEEv20rocsparse_direction_T3_S2_21rocsparse_index_base_PKT1_PKT2_PKS2_S2_S3_PS4_PS7_PS2_: ; @_ZN9rocsparseL33bsr2csr_block_per_row_8_32_kernelILj1024ELj8EdliEEv20rocsparse_direction_T3_S2_21rocsparse_index_base_PKT1_PKT2_PKS2_S2_S3_PS4_PS7_PS2_
; %bb.0:
	s_clause 0x1
	s_load_b64 s[2:3], s[0:1], 0x28
	s_load_b64 s[12:13], s[0:1], 0x38
	s_bfe_u32 s4, ttmp6, 0x4000c
	s_and_b32 s5, ttmp6, 15
	s_add_co_i32 s4, s4, 1
	s_getreg_b32 s6, hwreg(HW_REG_IB_STS2, 6, 4)
	s_mul_i32 s4, ttmp9, s4
	s_delay_alu instid0(SALU_CYCLE_1) | instskip(SKIP_3) | instid1(SALU_CYCLE_1)
	s_add_co_i32 s5, s5, s4
	s_cmp_eq_u32 s6, 0
	s_mov_b32 s4, exec_lo
	s_cselect_b32 s14, ttmp9, s5
	v_or_b32_e32 v1, s14, v0
	s_delay_alu instid0(VALU_DEP_1)
	v_cmpx_eq_u32_e32 0, v1
	s_cbranch_execz .LBB228_2
; %bb.1:
	s_wait_kmcnt 0x0
	v_dual_mov_b32 v2, s3 :: v_dual_mov_b32 v3, 0
	global_store_b64 v3, v[2:3], s[12:13]
.LBB228_2:
	s_wait_xcnt 0x0
	s_or_b32 exec_lo, exec_lo, s4
	v_and_b32_e32 v2, 7, v0
	v_bfe_u32 v3, v0, 3, 3
	s_mov_b32 s4, exec_lo
	s_delay_alu instid0(VALU_DEP_1) | instskip(SKIP_1) | instid1(VALU_DEP_1)
	v_max_i32_e32 v1, v3, v2
	s_wait_kmcnt 0x0
	v_cmpx_gt_i32_e64 s2, v1
	s_cbranch_execz .LBB228_6
; %bb.3:
	s_clause 0x1
	s_load_b64 s[6:7], s[0:1], 0x18
	s_load_b32 s4, s[0:1], 0xc
	s_ashr_i32 s15, s14, 31
	s_mov_b32 s10, s2
	s_lshl_b64 s[8:9], s[14:15], 3
	s_mov_b32 s20, s3
	v_dual_mov_b32 v5, 0 :: v_dual_lshrrev_b32 v4, 6, v0
	v_mad_u32 v8, s2, s14, v3
	s_wait_kmcnt 0x0
	s_add_nc_u64 s[6:7], s[6:7], s[8:9]
	s_load_b128 s[16:19], s[6:7], 0x0
	s_wait_xcnt 0x0
	s_mov_b32 s7, 0
	s_mul_i32 s6, s2, s2
	s_mov_b32 s5, s7
	s_mov_b32 s11, s7
	s_mov_b32 s21, s7
	s_wait_kmcnt 0x0
	s_sub_nc_u64 s[22:23], s[16:17], s[4:5]
	s_sub_nc_u64 s[8:9], s[18:19], s[4:5]
	s_mul_u64 s[18:19], s[22:23], s[6:7]
	s_sub_nc_u64 s[16:17], s[8:9], s[22:23]
	v_add_nc_u64_e32 v[0:1], s[22:23], v[4:5]
	s_mul_u64 s[24:25], s[16:17], s[10:11]
	s_delay_alu instid0(SALU_CYCLE_1) | instskip(NEXT) | instid1(SALU_CYCLE_1)
	s_add_nc_u64 s[20:21], s[24:25], s[20:21]
	s_add_nc_u64 s[20:21], s[20:21], s[18:19]
	s_delay_alu instid0(SALU_CYCLE_1) | instskip(NEXT) | instid1(VALU_DEP_2)
	v_mad_nc_u64_u32 v[6:7], s24, v3, s[20:21]
	v_cmp_gt_i64_e32 vcc_lo, s[8:9], v[0:1]
	s_delay_alu instid0(VALU_DEP_2)
	v_mad_u32 v7, s25, v3, v7
	global_store_b64 v8, v[6:7], s[12:13] offset:8 scale_offset
	s_wait_xcnt 0x0
	s_and_b32 exec_lo, exec_lo, vcc_lo
	s_cbranch_execz .LBB228_6
; %bb.4:
	v_mad_nc_u64_u32 v[6:7], s16, v3, v[4:5]
	s_clause 0x3
	s_load_b64 s[12:13], s[0:1], 0x10
	s_load_b64 s[14:15], s[0:1], 0x20
	;; [unrolled: 1-line block ×3, first 2 shown]
	s_load_b32 s5, s[0:1], 0x0
	v_mul_u64_e32 v[8:9], s[6:7], v[0:1]
	v_mul_lo_u32 v10, s2, v2
	v_mul_lo_u32 v12, s2, v3
	v_dual_mov_b32 v11, v5 :: v_dual_lshlrev_b32 v14, 3, v3
	v_dual_mov_b32 v13, v5 :: v_dual_mov_b32 v15, v5
	s_wait_xcnt 0x0
	s_load_b64 s[0:1], s[0:1], 0x40
	v_dual_mov_b32 v17, v5 :: v_dual_lshlrev_b32 v16, 3, v2
	v_mad_u32 v4, s17, v3, v7
	v_mad_nc_u64_u32 v[6:7], v6, s10, s[18:19]
	s_wait_kmcnt 0x0
	v_lshl_add_u64 v[10:11], v[10:11], 3, s[12:13]
	v_lshl_add_u64 v[12:13], v[12:13], 3, s[12:13]
	s_cmp_eq_u32 s5, 0
	s_delay_alu instid0(VALU_DEP_2) | instskip(NEXT) | instid1(VALU_DEP_4)
	v_add_nc_u64_e32 v[10:11], v[10:11], v[14:15]
	v_mad_u32 v7, v4, s10, v7
	s_delay_alu instid0(VALU_DEP_3) | instskip(SKIP_4) | instid1(VALU_DEP_2)
	v_add_nc_u64_e32 v[12:13], v[12:13], v[16:17]
	s_cselect_b32 vcc_lo, -1, 0
	v_mov_b32_e32 v3, v5
	s_lshl_b64 s[12:13], s[10:11], 7
	s_lshl_b64 s[10:11], s[10:11], 6
	v_dual_cndmask_b32 v5, v11, v13 :: v_dual_cndmask_b32 v4, v10, v12
	v_add_nc_u32_e32 v10, s3, v2
	v_add_nc_u64_e32 v[6:7], v[6:7], v[2:3]
	s_delay_alu instid0(VALU_DEP_3) | instskip(SKIP_1) | instid1(VALU_DEP_3)
	v_lshl_add_u64 v[2:3], v[8:9], 3, v[4:5]
	v_lshl_add_u64 v[8:9], v[0:1], 2, s[14:15]
	;; [unrolled: 1-line block ×4, first 2 shown]
	s_lshl_b64 s[0:1], s[6:7], 7
.LBB228_5:                              ; =>This Inner Loop Header: Depth=1
	global_load_b32 v11, v[8:9], off
	global_load_b64 v[12:13], v[2:3], off
	v_add_nc_u64_e32 v[0:1], 16, v[0:1]
	s_wait_xcnt 0x0
	v_add_nc_u64_e32 v[2:3], s[0:1], v[2:3]
	v_add_nc_u64_e32 v[8:9], 64, v[8:9]
	s_delay_alu instid0(VALU_DEP_3)
	v_cmp_le_i64_e32 vcc_lo, s[8:9], v[0:1]
	s_or_b32 s7, vcc_lo, s7
	s_wait_loadcnt 0x1
	v_subrev_nc_u32_e32 v11, s4, v11
	s_wait_loadcnt 0x0
	global_store_b64 v[4:5], v[12:13], off
	s_wait_xcnt 0x0
	v_add_nc_u64_e32 v[4:5], s[12:13], v[4:5]
	v_mad_u32 v11, v11, s2, v10
	global_store_b32 v[6:7], v11, off
	s_wait_xcnt 0x0
	v_add_nc_u64_e32 v[6:7], s[10:11], v[6:7]
	s_and_not1_b32 exec_lo, exec_lo, s7
	s_cbranch_execnz .LBB228_5
.LBB228_6:
	s_endpgm
	.section	.rodata,"a",@progbits
	.p2align	6, 0x0
	.amdhsa_kernel _ZN9rocsparseL33bsr2csr_block_per_row_8_32_kernelILj1024ELj8EdliEEv20rocsparse_direction_T3_S2_21rocsparse_index_base_PKT1_PKT2_PKS2_S2_S3_PS4_PS7_PS2_
		.amdhsa_group_segment_fixed_size 0
		.amdhsa_private_segment_fixed_size 0
		.amdhsa_kernarg_size 72
		.amdhsa_user_sgpr_count 2
		.amdhsa_user_sgpr_dispatch_ptr 0
		.amdhsa_user_sgpr_queue_ptr 0
		.amdhsa_user_sgpr_kernarg_segment_ptr 1
		.amdhsa_user_sgpr_dispatch_id 0
		.amdhsa_user_sgpr_kernarg_preload_length 0
		.amdhsa_user_sgpr_kernarg_preload_offset 0
		.amdhsa_user_sgpr_private_segment_size 0
		.amdhsa_wavefront_size32 1
		.amdhsa_uses_dynamic_stack 0
		.amdhsa_enable_private_segment 0
		.amdhsa_system_sgpr_workgroup_id_x 1
		.amdhsa_system_sgpr_workgroup_id_y 0
		.amdhsa_system_sgpr_workgroup_id_z 0
		.amdhsa_system_sgpr_workgroup_info 0
		.amdhsa_system_vgpr_workitem_id 0
		.amdhsa_next_free_vgpr 18
		.amdhsa_next_free_sgpr 26
		.amdhsa_named_barrier_count 0
		.amdhsa_reserve_vcc 1
		.amdhsa_float_round_mode_32 0
		.amdhsa_float_round_mode_16_64 0
		.amdhsa_float_denorm_mode_32 3
		.amdhsa_float_denorm_mode_16_64 3
		.amdhsa_fp16_overflow 0
		.amdhsa_memory_ordered 1
		.amdhsa_forward_progress 1
		.amdhsa_inst_pref_size 6
		.amdhsa_round_robin_scheduling 0
		.amdhsa_exception_fp_ieee_invalid_op 0
		.amdhsa_exception_fp_denorm_src 0
		.amdhsa_exception_fp_ieee_div_zero 0
		.amdhsa_exception_fp_ieee_overflow 0
		.amdhsa_exception_fp_ieee_underflow 0
		.amdhsa_exception_fp_ieee_inexact 0
		.amdhsa_exception_int_div_zero 0
	.end_amdhsa_kernel
	.section	.text._ZN9rocsparseL33bsr2csr_block_per_row_8_32_kernelILj1024ELj8EdliEEv20rocsparse_direction_T3_S2_21rocsparse_index_base_PKT1_PKT2_PKS2_S2_S3_PS4_PS7_PS2_,"axG",@progbits,_ZN9rocsparseL33bsr2csr_block_per_row_8_32_kernelILj1024ELj8EdliEEv20rocsparse_direction_T3_S2_21rocsparse_index_base_PKT1_PKT2_PKS2_S2_S3_PS4_PS7_PS2_,comdat
.Lfunc_end228:
	.size	_ZN9rocsparseL33bsr2csr_block_per_row_8_32_kernelILj1024ELj8EdliEEv20rocsparse_direction_T3_S2_21rocsparse_index_base_PKT1_PKT2_PKS2_S2_S3_PS4_PS7_PS2_, .Lfunc_end228-_ZN9rocsparseL33bsr2csr_block_per_row_8_32_kernelILj1024ELj8EdliEEv20rocsparse_direction_T3_S2_21rocsparse_index_base_PKT1_PKT2_PKS2_S2_S3_PS4_PS7_PS2_
                                        ; -- End function
	.set _ZN9rocsparseL33bsr2csr_block_per_row_8_32_kernelILj1024ELj8EdliEEv20rocsparse_direction_T3_S2_21rocsparse_index_base_PKT1_PKT2_PKS2_S2_S3_PS4_PS7_PS2_.num_vgpr, 18
	.set _ZN9rocsparseL33bsr2csr_block_per_row_8_32_kernelILj1024ELj8EdliEEv20rocsparse_direction_T3_S2_21rocsparse_index_base_PKT1_PKT2_PKS2_S2_S3_PS4_PS7_PS2_.num_agpr, 0
	.set _ZN9rocsparseL33bsr2csr_block_per_row_8_32_kernelILj1024ELj8EdliEEv20rocsparse_direction_T3_S2_21rocsparse_index_base_PKT1_PKT2_PKS2_S2_S3_PS4_PS7_PS2_.numbered_sgpr, 26
	.set _ZN9rocsparseL33bsr2csr_block_per_row_8_32_kernelILj1024ELj8EdliEEv20rocsparse_direction_T3_S2_21rocsparse_index_base_PKT1_PKT2_PKS2_S2_S3_PS4_PS7_PS2_.num_named_barrier, 0
	.set _ZN9rocsparseL33bsr2csr_block_per_row_8_32_kernelILj1024ELj8EdliEEv20rocsparse_direction_T3_S2_21rocsparse_index_base_PKT1_PKT2_PKS2_S2_S3_PS4_PS7_PS2_.private_seg_size, 0
	.set _ZN9rocsparseL33bsr2csr_block_per_row_8_32_kernelILj1024ELj8EdliEEv20rocsparse_direction_T3_S2_21rocsparse_index_base_PKT1_PKT2_PKS2_S2_S3_PS4_PS7_PS2_.uses_vcc, 1
	.set _ZN9rocsparseL33bsr2csr_block_per_row_8_32_kernelILj1024ELj8EdliEEv20rocsparse_direction_T3_S2_21rocsparse_index_base_PKT1_PKT2_PKS2_S2_S3_PS4_PS7_PS2_.uses_flat_scratch, 0
	.set _ZN9rocsparseL33bsr2csr_block_per_row_8_32_kernelILj1024ELj8EdliEEv20rocsparse_direction_T3_S2_21rocsparse_index_base_PKT1_PKT2_PKS2_S2_S3_PS4_PS7_PS2_.has_dyn_sized_stack, 0
	.set _ZN9rocsparseL33bsr2csr_block_per_row_8_32_kernelILj1024ELj8EdliEEv20rocsparse_direction_T3_S2_21rocsparse_index_base_PKT1_PKT2_PKS2_S2_S3_PS4_PS7_PS2_.has_recursion, 0
	.set _ZN9rocsparseL33bsr2csr_block_per_row_8_32_kernelILj1024ELj8EdliEEv20rocsparse_direction_T3_S2_21rocsparse_index_base_PKT1_PKT2_PKS2_S2_S3_PS4_PS7_PS2_.has_indirect_call, 0
	.section	.AMDGPU.csdata,"",@progbits
; Kernel info:
; codeLenInByte = 700
; TotalNumSgprs: 28
; NumVgprs: 18
; ScratchSize: 0
; MemoryBound: 0
; FloatMode: 240
; IeeeMode: 1
; LDSByteSize: 0 bytes/workgroup (compile time only)
; SGPRBlocks: 0
; VGPRBlocks: 1
; NumSGPRsForWavesPerEU: 28
; NumVGPRsForWavesPerEU: 18
; NamedBarCnt: 0
; Occupancy: 16
; WaveLimiterHint : 0
; COMPUTE_PGM_RSRC2:SCRATCH_EN: 0
; COMPUTE_PGM_RSRC2:USER_SGPR: 2
; COMPUTE_PGM_RSRC2:TRAP_HANDLER: 0
; COMPUTE_PGM_RSRC2:TGID_X_EN: 1
; COMPUTE_PGM_RSRC2:TGID_Y_EN: 0
; COMPUTE_PGM_RSRC2:TGID_Z_EN: 0
; COMPUTE_PGM_RSRC2:TIDIG_COMP_CNT: 0
	.section	.text._ZN9rocsparseL33bsr2csr_block_per_row_8_32_kernelILj1024ELj16EdliEEv20rocsparse_direction_T3_S2_21rocsparse_index_base_PKT1_PKT2_PKS2_S2_S3_PS4_PS7_PS2_,"axG",@progbits,_ZN9rocsparseL33bsr2csr_block_per_row_8_32_kernelILj1024ELj16EdliEEv20rocsparse_direction_T3_S2_21rocsparse_index_base_PKT1_PKT2_PKS2_S2_S3_PS4_PS7_PS2_,comdat
	.globl	_ZN9rocsparseL33bsr2csr_block_per_row_8_32_kernelILj1024ELj16EdliEEv20rocsparse_direction_T3_S2_21rocsparse_index_base_PKT1_PKT2_PKS2_S2_S3_PS4_PS7_PS2_ ; -- Begin function _ZN9rocsparseL33bsr2csr_block_per_row_8_32_kernelILj1024ELj16EdliEEv20rocsparse_direction_T3_S2_21rocsparse_index_base_PKT1_PKT2_PKS2_S2_S3_PS4_PS7_PS2_
	.p2align	8
	.type	_ZN9rocsparseL33bsr2csr_block_per_row_8_32_kernelILj1024ELj16EdliEEv20rocsparse_direction_T3_S2_21rocsparse_index_base_PKT1_PKT2_PKS2_S2_S3_PS4_PS7_PS2_,@function
_ZN9rocsparseL33bsr2csr_block_per_row_8_32_kernelILj1024ELj16EdliEEv20rocsparse_direction_T3_S2_21rocsparse_index_base_PKT1_PKT2_PKS2_S2_S3_PS4_PS7_PS2_: ; @_ZN9rocsparseL33bsr2csr_block_per_row_8_32_kernelILj1024ELj16EdliEEv20rocsparse_direction_T3_S2_21rocsparse_index_base_PKT1_PKT2_PKS2_S2_S3_PS4_PS7_PS2_
; %bb.0:
	s_clause 0x1
	s_load_b64 s[2:3], s[0:1], 0x28
	s_load_b64 s[12:13], s[0:1], 0x38
	s_bfe_u32 s4, ttmp6, 0x4000c
	s_and_b32 s5, ttmp6, 15
	s_add_co_i32 s4, s4, 1
	s_getreg_b32 s6, hwreg(HW_REG_IB_STS2, 6, 4)
	s_mul_i32 s4, ttmp9, s4
	s_delay_alu instid0(SALU_CYCLE_1) | instskip(SKIP_3) | instid1(SALU_CYCLE_1)
	s_add_co_i32 s5, s5, s4
	s_cmp_eq_u32 s6, 0
	s_mov_b32 s4, exec_lo
	s_cselect_b32 s14, ttmp9, s5
	v_or_b32_e32 v1, s14, v0
	s_delay_alu instid0(VALU_DEP_1)
	v_cmpx_eq_u32_e32 0, v1
	s_cbranch_execz .LBB229_2
; %bb.1:
	s_wait_kmcnt 0x0
	v_dual_mov_b32 v2, s3 :: v_dual_mov_b32 v3, 0
	global_store_b64 v3, v[2:3], s[12:13]
.LBB229_2:
	s_wait_xcnt 0x0
	s_or_b32 exec_lo, exec_lo, s4
	v_and_b32_e32 v2, 15, v0
	v_bfe_u32 v3, v0, 4, 4
	s_mov_b32 s4, exec_lo
	s_delay_alu instid0(VALU_DEP_1) | instskip(SKIP_1) | instid1(VALU_DEP_1)
	v_max_i32_e32 v1, v3, v2
	s_wait_kmcnt 0x0
	v_cmpx_gt_i32_e64 s2, v1
	s_cbranch_execz .LBB229_6
; %bb.3:
	s_clause 0x1
	s_load_b64 s[6:7], s[0:1], 0x18
	s_load_b32 s4, s[0:1], 0xc
	s_ashr_i32 s15, s14, 31
	s_mov_b32 s10, s2
	s_lshl_b64 s[8:9], s[14:15], 3
	s_mov_b32 s20, s3
	v_dual_mov_b32 v5, 0 :: v_dual_lshrrev_b32 v4, 8, v0
	v_mad_u32 v8, s2, s14, v3
	s_wait_kmcnt 0x0
	s_add_nc_u64 s[6:7], s[6:7], s[8:9]
	s_load_b128 s[16:19], s[6:7], 0x0
	s_wait_xcnt 0x0
	s_mov_b32 s7, 0
	s_mul_i32 s6, s2, s2
	s_mov_b32 s5, s7
	s_mov_b32 s11, s7
	s_mov_b32 s21, s7
	s_wait_kmcnt 0x0
	s_sub_nc_u64 s[22:23], s[16:17], s[4:5]
	s_sub_nc_u64 s[8:9], s[18:19], s[4:5]
	s_mul_u64 s[18:19], s[22:23], s[6:7]
	s_sub_nc_u64 s[16:17], s[8:9], s[22:23]
	v_add_nc_u64_e32 v[0:1], s[22:23], v[4:5]
	s_mul_u64 s[24:25], s[16:17], s[10:11]
	s_delay_alu instid0(SALU_CYCLE_1) | instskip(NEXT) | instid1(SALU_CYCLE_1)
	s_add_nc_u64 s[20:21], s[24:25], s[20:21]
	s_add_nc_u64 s[20:21], s[20:21], s[18:19]
	s_delay_alu instid0(SALU_CYCLE_1) | instskip(NEXT) | instid1(VALU_DEP_2)
	v_mad_nc_u64_u32 v[6:7], s24, v3, s[20:21]
	v_cmp_gt_i64_e32 vcc_lo, s[8:9], v[0:1]
	s_delay_alu instid0(VALU_DEP_2)
	v_mad_u32 v7, s25, v3, v7
	global_store_b64 v8, v[6:7], s[12:13] offset:8 scale_offset
	s_wait_xcnt 0x0
	s_and_b32 exec_lo, exec_lo, vcc_lo
	s_cbranch_execz .LBB229_6
; %bb.4:
	v_mad_nc_u64_u32 v[6:7], s16, v3, v[4:5]
	s_clause 0x3
	s_load_b64 s[12:13], s[0:1], 0x10
	s_load_b64 s[14:15], s[0:1], 0x20
	;; [unrolled: 1-line block ×3, first 2 shown]
	s_load_b32 s5, s[0:1], 0x0
	v_mul_u64_e32 v[8:9], s[6:7], v[0:1]
	v_mul_lo_u32 v10, s2, v2
	v_mul_lo_u32 v12, s2, v3
	v_dual_mov_b32 v11, v5 :: v_dual_lshlrev_b32 v14, 3, v3
	v_dual_mov_b32 v13, v5 :: v_dual_mov_b32 v15, v5
	s_wait_xcnt 0x0
	s_load_b64 s[0:1], s[0:1], 0x40
	v_dual_mov_b32 v17, v5 :: v_dual_lshlrev_b32 v16, 3, v2
	v_mad_u32 v4, s17, v3, v7
	v_mad_nc_u64_u32 v[6:7], v6, s10, s[18:19]
	s_wait_kmcnt 0x0
	v_lshl_add_u64 v[10:11], v[10:11], 3, s[12:13]
	v_lshl_add_u64 v[12:13], v[12:13], 3, s[12:13]
	s_cmp_eq_u32 s5, 0
	s_delay_alu instid0(VALU_DEP_2) | instskip(NEXT) | instid1(VALU_DEP_4)
	v_add_nc_u64_e32 v[10:11], v[10:11], v[14:15]
	v_mad_u32 v7, v4, s10, v7
	s_delay_alu instid0(VALU_DEP_3) | instskip(SKIP_4) | instid1(VALU_DEP_2)
	v_add_nc_u64_e32 v[12:13], v[12:13], v[16:17]
	s_cselect_b32 vcc_lo, -1, 0
	v_mov_b32_e32 v3, v5
	s_lshl_b64 s[12:13], s[10:11], 5
	s_lshl_b64 s[10:11], s[10:11], 4
	v_dual_cndmask_b32 v5, v11, v13 :: v_dual_cndmask_b32 v4, v10, v12
	v_add_nc_u32_e32 v10, s3, v2
	v_add_nc_u64_e32 v[6:7], v[6:7], v[2:3]
	s_delay_alu instid0(VALU_DEP_3) | instskip(SKIP_1) | instid1(VALU_DEP_3)
	v_lshl_add_u64 v[2:3], v[8:9], 3, v[4:5]
	v_lshl_add_u64 v[8:9], v[0:1], 2, s[14:15]
	;; [unrolled: 1-line block ×4, first 2 shown]
	s_lshl_b64 s[0:1], s[6:7], 5
.LBB229_5:                              ; =>This Inner Loop Header: Depth=1
	global_load_b32 v11, v[8:9], off
	global_load_b64 v[12:13], v[2:3], off
	v_add_nc_u64_e32 v[0:1], 4, v[0:1]
	s_wait_xcnt 0x0
	v_add_nc_u64_e32 v[2:3], s[0:1], v[2:3]
	v_add_nc_u64_e32 v[8:9], 16, v[8:9]
	s_delay_alu instid0(VALU_DEP_3)
	v_cmp_le_i64_e32 vcc_lo, s[8:9], v[0:1]
	s_or_b32 s7, vcc_lo, s7
	s_wait_loadcnt 0x1
	v_subrev_nc_u32_e32 v11, s4, v11
	s_wait_loadcnt 0x0
	global_store_b64 v[4:5], v[12:13], off
	s_wait_xcnt 0x0
	v_add_nc_u64_e32 v[4:5], s[12:13], v[4:5]
	v_mad_u32 v11, v11, s2, v10
	global_store_b32 v[6:7], v11, off
	s_wait_xcnt 0x0
	v_add_nc_u64_e32 v[6:7], s[10:11], v[6:7]
	s_and_not1_b32 exec_lo, exec_lo, s7
	s_cbranch_execnz .LBB229_5
.LBB229_6:
	s_endpgm
	.section	.rodata,"a",@progbits
	.p2align	6, 0x0
	.amdhsa_kernel _ZN9rocsparseL33bsr2csr_block_per_row_8_32_kernelILj1024ELj16EdliEEv20rocsparse_direction_T3_S2_21rocsparse_index_base_PKT1_PKT2_PKS2_S2_S3_PS4_PS7_PS2_
		.amdhsa_group_segment_fixed_size 0
		.amdhsa_private_segment_fixed_size 0
		.amdhsa_kernarg_size 72
		.amdhsa_user_sgpr_count 2
		.amdhsa_user_sgpr_dispatch_ptr 0
		.amdhsa_user_sgpr_queue_ptr 0
		.amdhsa_user_sgpr_kernarg_segment_ptr 1
		.amdhsa_user_sgpr_dispatch_id 0
		.amdhsa_user_sgpr_kernarg_preload_length 0
		.amdhsa_user_sgpr_kernarg_preload_offset 0
		.amdhsa_user_sgpr_private_segment_size 0
		.amdhsa_wavefront_size32 1
		.amdhsa_uses_dynamic_stack 0
		.amdhsa_enable_private_segment 0
		.amdhsa_system_sgpr_workgroup_id_x 1
		.amdhsa_system_sgpr_workgroup_id_y 0
		.amdhsa_system_sgpr_workgroup_id_z 0
		.amdhsa_system_sgpr_workgroup_info 0
		.amdhsa_system_vgpr_workitem_id 0
		.amdhsa_next_free_vgpr 18
		.amdhsa_next_free_sgpr 26
		.amdhsa_named_barrier_count 0
		.amdhsa_reserve_vcc 1
		.amdhsa_float_round_mode_32 0
		.amdhsa_float_round_mode_16_64 0
		.amdhsa_float_denorm_mode_32 3
		.amdhsa_float_denorm_mode_16_64 3
		.amdhsa_fp16_overflow 0
		.amdhsa_memory_ordered 1
		.amdhsa_forward_progress 1
		.amdhsa_inst_pref_size 6
		.amdhsa_round_robin_scheduling 0
		.amdhsa_exception_fp_ieee_invalid_op 0
		.amdhsa_exception_fp_denorm_src 0
		.amdhsa_exception_fp_ieee_div_zero 0
		.amdhsa_exception_fp_ieee_overflow 0
		.amdhsa_exception_fp_ieee_underflow 0
		.amdhsa_exception_fp_ieee_inexact 0
		.amdhsa_exception_int_div_zero 0
	.end_amdhsa_kernel
	.section	.text._ZN9rocsparseL33bsr2csr_block_per_row_8_32_kernelILj1024ELj16EdliEEv20rocsparse_direction_T3_S2_21rocsparse_index_base_PKT1_PKT2_PKS2_S2_S3_PS4_PS7_PS2_,"axG",@progbits,_ZN9rocsparseL33bsr2csr_block_per_row_8_32_kernelILj1024ELj16EdliEEv20rocsparse_direction_T3_S2_21rocsparse_index_base_PKT1_PKT2_PKS2_S2_S3_PS4_PS7_PS2_,comdat
.Lfunc_end229:
	.size	_ZN9rocsparseL33bsr2csr_block_per_row_8_32_kernelILj1024ELj16EdliEEv20rocsparse_direction_T3_S2_21rocsparse_index_base_PKT1_PKT2_PKS2_S2_S3_PS4_PS7_PS2_, .Lfunc_end229-_ZN9rocsparseL33bsr2csr_block_per_row_8_32_kernelILj1024ELj16EdliEEv20rocsparse_direction_T3_S2_21rocsparse_index_base_PKT1_PKT2_PKS2_S2_S3_PS4_PS7_PS2_
                                        ; -- End function
	.set _ZN9rocsparseL33bsr2csr_block_per_row_8_32_kernelILj1024ELj16EdliEEv20rocsparse_direction_T3_S2_21rocsparse_index_base_PKT1_PKT2_PKS2_S2_S3_PS4_PS7_PS2_.num_vgpr, 18
	.set _ZN9rocsparseL33bsr2csr_block_per_row_8_32_kernelILj1024ELj16EdliEEv20rocsparse_direction_T3_S2_21rocsparse_index_base_PKT1_PKT2_PKS2_S2_S3_PS4_PS7_PS2_.num_agpr, 0
	.set _ZN9rocsparseL33bsr2csr_block_per_row_8_32_kernelILj1024ELj16EdliEEv20rocsparse_direction_T3_S2_21rocsparse_index_base_PKT1_PKT2_PKS2_S2_S3_PS4_PS7_PS2_.numbered_sgpr, 26
	.set _ZN9rocsparseL33bsr2csr_block_per_row_8_32_kernelILj1024ELj16EdliEEv20rocsparse_direction_T3_S2_21rocsparse_index_base_PKT1_PKT2_PKS2_S2_S3_PS4_PS7_PS2_.num_named_barrier, 0
	.set _ZN9rocsparseL33bsr2csr_block_per_row_8_32_kernelILj1024ELj16EdliEEv20rocsparse_direction_T3_S2_21rocsparse_index_base_PKT1_PKT2_PKS2_S2_S3_PS4_PS7_PS2_.private_seg_size, 0
	.set _ZN9rocsparseL33bsr2csr_block_per_row_8_32_kernelILj1024ELj16EdliEEv20rocsparse_direction_T3_S2_21rocsparse_index_base_PKT1_PKT2_PKS2_S2_S3_PS4_PS7_PS2_.uses_vcc, 1
	.set _ZN9rocsparseL33bsr2csr_block_per_row_8_32_kernelILj1024ELj16EdliEEv20rocsparse_direction_T3_S2_21rocsparse_index_base_PKT1_PKT2_PKS2_S2_S3_PS4_PS7_PS2_.uses_flat_scratch, 0
	.set _ZN9rocsparseL33bsr2csr_block_per_row_8_32_kernelILj1024ELj16EdliEEv20rocsparse_direction_T3_S2_21rocsparse_index_base_PKT1_PKT2_PKS2_S2_S3_PS4_PS7_PS2_.has_dyn_sized_stack, 0
	.set _ZN9rocsparseL33bsr2csr_block_per_row_8_32_kernelILj1024ELj16EdliEEv20rocsparse_direction_T3_S2_21rocsparse_index_base_PKT1_PKT2_PKS2_S2_S3_PS4_PS7_PS2_.has_recursion, 0
	.set _ZN9rocsparseL33bsr2csr_block_per_row_8_32_kernelILj1024ELj16EdliEEv20rocsparse_direction_T3_S2_21rocsparse_index_base_PKT1_PKT2_PKS2_S2_S3_PS4_PS7_PS2_.has_indirect_call, 0
	.section	.AMDGPU.csdata,"",@progbits
; Kernel info:
; codeLenInByte = 700
; TotalNumSgprs: 28
; NumVgprs: 18
; ScratchSize: 0
; MemoryBound: 0
; FloatMode: 240
; IeeeMode: 1
; LDSByteSize: 0 bytes/workgroup (compile time only)
; SGPRBlocks: 0
; VGPRBlocks: 1
; NumSGPRsForWavesPerEU: 28
; NumVGPRsForWavesPerEU: 18
; NamedBarCnt: 0
; Occupancy: 16
; WaveLimiterHint : 0
; COMPUTE_PGM_RSRC2:SCRATCH_EN: 0
; COMPUTE_PGM_RSRC2:USER_SGPR: 2
; COMPUTE_PGM_RSRC2:TRAP_HANDLER: 0
; COMPUTE_PGM_RSRC2:TGID_X_EN: 1
; COMPUTE_PGM_RSRC2:TGID_Y_EN: 0
; COMPUTE_PGM_RSRC2:TGID_Z_EN: 0
; COMPUTE_PGM_RSRC2:TIDIG_COMP_CNT: 0
	.section	.text._ZN9rocsparseL33bsr2csr_block_per_row_8_32_kernelILj1024ELj32EdliEEv20rocsparse_direction_T3_S2_21rocsparse_index_base_PKT1_PKT2_PKS2_S2_S3_PS4_PS7_PS2_,"axG",@progbits,_ZN9rocsparseL33bsr2csr_block_per_row_8_32_kernelILj1024ELj32EdliEEv20rocsparse_direction_T3_S2_21rocsparse_index_base_PKT1_PKT2_PKS2_S2_S3_PS4_PS7_PS2_,comdat
	.globl	_ZN9rocsparseL33bsr2csr_block_per_row_8_32_kernelILj1024ELj32EdliEEv20rocsparse_direction_T3_S2_21rocsparse_index_base_PKT1_PKT2_PKS2_S2_S3_PS4_PS7_PS2_ ; -- Begin function _ZN9rocsparseL33bsr2csr_block_per_row_8_32_kernelILj1024ELj32EdliEEv20rocsparse_direction_T3_S2_21rocsparse_index_base_PKT1_PKT2_PKS2_S2_S3_PS4_PS7_PS2_
	.p2align	8
	.type	_ZN9rocsparseL33bsr2csr_block_per_row_8_32_kernelILj1024ELj32EdliEEv20rocsparse_direction_T3_S2_21rocsparse_index_base_PKT1_PKT2_PKS2_S2_S3_PS4_PS7_PS2_,@function
_ZN9rocsparseL33bsr2csr_block_per_row_8_32_kernelILj1024ELj32EdliEEv20rocsparse_direction_T3_S2_21rocsparse_index_base_PKT1_PKT2_PKS2_S2_S3_PS4_PS7_PS2_: ; @_ZN9rocsparseL33bsr2csr_block_per_row_8_32_kernelILj1024ELj32EdliEEv20rocsparse_direction_T3_S2_21rocsparse_index_base_PKT1_PKT2_PKS2_S2_S3_PS4_PS7_PS2_
; %bb.0:
	s_clause 0x1
	s_load_b64 s[2:3], s[0:1], 0x28
	s_load_b64 s[16:17], s[0:1], 0x38
	s_bfe_u32 s4, ttmp6, 0x4000c
	s_and_b32 s5, ttmp6, 15
	s_add_co_i32 s4, s4, 1
	s_getreg_b32 s6, hwreg(HW_REG_IB_STS2, 6, 4)
	s_mul_i32 s4, ttmp9, s4
	s_delay_alu instid0(SALU_CYCLE_1) | instskip(SKIP_3) | instid1(SALU_CYCLE_1)
	s_add_co_i32 s5, s5, s4
	s_cmp_eq_u32 s6, 0
	s_mov_b32 s4, exec_lo
	s_cselect_b32 s22, ttmp9, s5
	v_or_b32_e32 v1, s22, v0
	s_delay_alu instid0(VALU_DEP_1)
	v_cmpx_eq_u32_e32 0, v1
	s_cbranch_execz .LBB230_2
; %bb.1:
	s_wait_kmcnt 0x0
	v_dual_mov_b32 v2, s3 :: v_dual_mov_b32 v3, 0
	global_store_b64 v3, v[2:3], s[16:17]
.LBB230_2:
	s_wait_xcnt 0x0
	s_or_b32 exec_lo, exec_lo, s4
	v_dual_lshrrev_b32 v4, 5, v0 :: v_dual_bitop2_b32 v2, 31, v0 bitop3:0x40
	s_mov_b32 s4, exec_lo
	s_delay_alu instid0(VALU_DEP_1) | instskip(SKIP_1) | instid1(VALU_DEP_1)
	v_max_i32_e32 v0, v4, v2
	s_wait_kmcnt 0x0
	v_cmpx_gt_i32_e64 s2, v0
	s_cbranch_execz .LBB230_6
; %bb.3:
	s_clause 0x1
	s_load_b64 s[4:5], s[0:1], 0x18
	s_load_b32 s8, s[0:1], 0xc
	s_ashr_i32 s23, s22, 31
	s_mov_b32 s9, 0
	s_lshl_b64 s[6:7], s[22:23], 3
	s_mul_i32 s18, s2, s2
	s_mov_b32 s14, s2
	s_mov_b32 s19, s9
	;; [unrolled: 1-line block ×4, first 2 shown]
	v_mad_u32 v3, s2, s22, v4
	s_mov_b32 s27, s9
	s_wait_kmcnt 0x0
	s_add_nc_u64 s[10:11], s[4:5], s[6:7]
	s_load_b128 s[4:7], s[10:11], 0x0
	s_wait_kmcnt 0x0
	s_sub_nc_u64 s[10:11], s[4:5], s[8:9]
	s_sub_nc_u64 s[12:13], s[6:7], s[8:9]
	s_mul_u64 s[20:21], s[10:11], s[18:19]
	s_sub_nc_u64 s[24:25], s[12:13], s[10:11]
	v_cmp_ge_i64_e64 s6, s[4:5], s[6:7]
	s_mul_u64 s[24:25], s[24:25], s[14:15]
	s_delay_alu instid0(SALU_CYCLE_1) | instskip(SKIP_2) | instid1(VALU_DEP_1)
	v_mad_nc_u64_u32 v[0:1], s24, v4, s[20:21]
	s_add_nc_u64 s[22:23], s[24:25], s[26:27]
	s_and_b32 vcc_lo, exec_lo, s6
	v_mad_u32 v1, s25, v4, v1
	s_delay_alu instid0(VALU_DEP_1)
	v_add_nc_u64_e32 v[6:7], s[22:23], v[0:1]
	global_store_b64 v3, v[6:7], s[16:17] offset:8 scale_offset
	s_cbranch_vccnz .LBB230_6
; %bb.4:
	s_clause 0x4
	s_load_b64 s[6:7], s[0:1], 0x10
	s_load_b64 s[24:25], s[0:1], 0x40
	;; [unrolled: 1-line block ×4, first 2 shown]
	s_load_b32 s26, s[0:1], 0x0
	v_mul_lo_u32 v6, s2, v2
	v_mul_lo_u32 v8, s2, v4
	v_dual_mov_b32 v3, 0 :: v_dual_lshlrev_b32 v4, 3, v4
	s_delay_alu instid0(VALU_DEP_1) | instskip(SKIP_4) | instid1(VALU_DEP_3)
	v_dual_mov_b32 v5, v3 :: v_dual_lshlrev_b32 v10, 3, v2
	v_dual_mov_b32 v7, v3 :: v_dual_mov_b32 v9, v3
	v_mov_b32_e32 v11, v3
	v_add_nc_u64_e32 v[12:13], v[0:1], v[2:3]
	s_wait_kmcnt 0x0
	v_lshl_add_u64 v[6:7], v[6:7], 3, s[6:7]
	v_lshl_add_u64 v[8:9], v[8:9], 3, s[6:7]
	s_cmp_eq_u32 s26, 0
	s_delay_alu instid0(VALU_DEP_3)
	v_lshl_add_u64 v[0:1], v[12:13], 3, s[22:23]
	s_cselect_b32 vcc_lo, -1, 0
	v_add_nc_u64_e32 v[4:5], v[6:7], v[4:5]
	v_add_nc_u32_e32 v6, s3, v2
	v_add_nc_u64_e32 v[8:9], v[8:9], v[10:11]
	s_lshl_b64 s[0:1], s[18:19], 3
	s_lshl_b64 s[4:5], s[4:5], 2
	s_lshl_b64 s[18:19], s[8:9], 2
	s_lshl_b64 s[6:7], s[14:15], 3
	s_sub_nc_u64 s[18:19], s[4:5], s[18:19]
	s_lshl_b64 s[4:5], s[14:15], 2
	v_dual_cndmask_b32 v3, v5, v9 :: v_dual_cndmask_b32 v2, v4, v8
	v_lshl_add_u64 v[4:5], v[12:13], 2, s[24:25]
	s_add_nc_u64 s[14:15], s[16:17], s[18:19]
	s_delay_alu instid0(VALU_DEP_2)
	v_lshl_add_u64 v[2:3], s[20:21], 3, v[2:3]
.LBB230_5:                              ; =>This Inner Loop Header: Depth=1
	global_load_b64 v[8:9], v[2:3], off
	s_load_b32 s3, s[14:15], 0x0
	s_add_nc_u64 s[10:11], s[10:11], 1
	v_add_nc_u64_e32 v[2:3], s[0:1], v[2:3]
	s_wait_xcnt 0x0
	s_add_nc_u64 s[14:15], s[14:15], 4
	s_wait_kmcnt 0x0
	s_sub_co_i32 s3, s3, s8
	s_delay_alu instid0(SALU_CYCLE_1)
	v_mad_u32 v7, s3, s2, v6
	v_cmp_lt_i64_e64 s3, s[10:11], s[12:13]
	s_and_b32 vcc_lo, exec_lo, s3
	global_store_b32 v[4:5], v7, off
	s_wait_xcnt 0x0
	v_add_nc_u64_e32 v[4:5], s[4:5], v[4:5]
	s_wait_loadcnt 0x0
	global_store_b64 v[0:1], v[8:9], off
	s_wait_xcnt 0x0
	v_add_nc_u64_e32 v[0:1], s[6:7], v[0:1]
	s_cbranch_vccnz .LBB230_5
.LBB230_6:
	s_endpgm
	.section	.rodata,"a",@progbits
	.p2align	6, 0x0
	.amdhsa_kernel _ZN9rocsparseL33bsr2csr_block_per_row_8_32_kernelILj1024ELj32EdliEEv20rocsparse_direction_T3_S2_21rocsparse_index_base_PKT1_PKT2_PKS2_S2_S3_PS4_PS7_PS2_
		.amdhsa_group_segment_fixed_size 0
		.amdhsa_private_segment_fixed_size 0
		.amdhsa_kernarg_size 72
		.amdhsa_user_sgpr_count 2
		.amdhsa_user_sgpr_dispatch_ptr 0
		.amdhsa_user_sgpr_queue_ptr 0
		.amdhsa_user_sgpr_kernarg_segment_ptr 1
		.amdhsa_user_sgpr_dispatch_id 0
		.amdhsa_user_sgpr_kernarg_preload_length 0
		.amdhsa_user_sgpr_kernarg_preload_offset 0
		.amdhsa_user_sgpr_private_segment_size 0
		.amdhsa_wavefront_size32 1
		.amdhsa_uses_dynamic_stack 0
		.amdhsa_enable_private_segment 0
		.amdhsa_system_sgpr_workgroup_id_x 1
		.amdhsa_system_sgpr_workgroup_id_y 0
		.amdhsa_system_sgpr_workgroup_id_z 0
		.amdhsa_system_sgpr_workgroup_info 0
		.amdhsa_system_vgpr_workitem_id 0
		.amdhsa_next_free_vgpr 14
		.amdhsa_next_free_sgpr 28
		.amdhsa_named_barrier_count 0
		.amdhsa_reserve_vcc 1
		.amdhsa_float_round_mode_32 0
		.amdhsa_float_round_mode_16_64 0
		.amdhsa_float_denorm_mode_32 3
		.amdhsa_float_denorm_mode_16_64 3
		.amdhsa_fp16_overflow 0
		.amdhsa_memory_ordered 1
		.amdhsa_forward_progress 1
		.amdhsa_inst_pref_size 6
		.amdhsa_round_robin_scheduling 0
		.amdhsa_exception_fp_ieee_invalid_op 0
		.amdhsa_exception_fp_denorm_src 0
		.amdhsa_exception_fp_ieee_div_zero 0
		.amdhsa_exception_fp_ieee_overflow 0
		.amdhsa_exception_fp_ieee_underflow 0
		.amdhsa_exception_fp_ieee_inexact 0
		.amdhsa_exception_int_div_zero 0
	.end_amdhsa_kernel
	.section	.text._ZN9rocsparseL33bsr2csr_block_per_row_8_32_kernelILj1024ELj32EdliEEv20rocsparse_direction_T3_S2_21rocsparse_index_base_PKT1_PKT2_PKS2_S2_S3_PS4_PS7_PS2_,"axG",@progbits,_ZN9rocsparseL33bsr2csr_block_per_row_8_32_kernelILj1024ELj32EdliEEv20rocsparse_direction_T3_S2_21rocsparse_index_base_PKT1_PKT2_PKS2_S2_S3_PS4_PS7_PS2_,comdat
.Lfunc_end230:
	.size	_ZN9rocsparseL33bsr2csr_block_per_row_8_32_kernelILj1024ELj32EdliEEv20rocsparse_direction_T3_S2_21rocsparse_index_base_PKT1_PKT2_PKS2_S2_S3_PS4_PS7_PS2_, .Lfunc_end230-_ZN9rocsparseL33bsr2csr_block_per_row_8_32_kernelILj1024ELj32EdliEEv20rocsparse_direction_T3_S2_21rocsparse_index_base_PKT1_PKT2_PKS2_S2_S3_PS4_PS7_PS2_
                                        ; -- End function
	.set _ZN9rocsparseL33bsr2csr_block_per_row_8_32_kernelILj1024ELj32EdliEEv20rocsparse_direction_T3_S2_21rocsparse_index_base_PKT1_PKT2_PKS2_S2_S3_PS4_PS7_PS2_.num_vgpr, 14
	.set _ZN9rocsparseL33bsr2csr_block_per_row_8_32_kernelILj1024ELj32EdliEEv20rocsparse_direction_T3_S2_21rocsparse_index_base_PKT1_PKT2_PKS2_S2_S3_PS4_PS7_PS2_.num_agpr, 0
	.set _ZN9rocsparseL33bsr2csr_block_per_row_8_32_kernelILj1024ELj32EdliEEv20rocsparse_direction_T3_S2_21rocsparse_index_base_PKT1_PKT2_PKS2_S2_S3_PS4_PS7_PS2_.numbered_sgpr, 28
	.set _ZN9rocsparseL33bsr2csr_block_per_row_8_32_kernelILj1024ELj32EdliEEv20rocsparse_direction_T3_S2_21rocsparse_index_base_PKT1_PKT2_PKS2_S2_S3_PS4_PS7_PS2_.num_named_barrier, 0
	.set _ZN9rocsparseL33bsr2csr_block_per_row_8_32_kernelILj1024ELj32EdliEEv20rocsparse_direction_T3_S2_21rocsparse_index_base_PKT1_PKT2_PKS2_S2_S3_PS4_PS7_PS2_.private_seg_size, 0
	.set _ZN9rocsparseL33bsr2csr_block_per_row_8_32_kernelILj1024ELj32EdliEEv20rocsparse_direction_T3_S2_21rocsparse_index_base_PKT1_PKT2_PKS2_S2_S3_PS4_PS7_PS2_.uses_vcc, 1
	.set _ZN9rocsparseL33bsr2csr_block_per_row_8_32_kernelILj1024ELj32EdliEEv20rocsparse_direction_T3_S2_21rocsparse_index_base_PKT1_PKT2_PKS2_S2_S3_PS4_PS7_PS2_.uses_flat_scratch, 0
	.set _ZN9rocsparseL33bsr2csr_block_per_row_8_32_kernelILj1024ELj32EdliEEv20rocsparse_direction_T3_S2_21rocsparse_index_base_PKT1_PKT2_PKS2_S2_S3_PS4_PS7_PS2_.has_dyn_sized_stack, 0
	.set _ZN9rocsparseL33bsr2csr_block_per_row_8_32_kernelILj1024ELj32EdliEEv20rocsparse_direction_T3_S2_21rocsparse_index_base_PKT1_PKT2_PKS2_S2_S3_PS4_PS7_PS2_.has_recursion, 0
	.set _ZN9rocsparseL33bsr2csr_block_per_row_8_32_kernelILj1024ELj32EdliEEv20rocsparse_direction_T3_S2_21rocsparse_index_base_PKT1_PKT2_PKS2_S2_S3_PS4_PS7_PS2_.has_indirect_call, 0
	.section	.AMDGPU.csdata,"",@progbits
; Kernel info:
; codeLenInByte = 644
; TotalNumSgprs: 30
; NumVgprs: 14
; ScratchSize: 0
; MemoryBound: 0
; FloatMode: 240
; IeeeMode: 1
; LDSByteSize: 0 bytes/workgroup (compile time only)
; SGPRBlocks: 0
; VGPRBlocks: 0
; NumSGPRsForWavesPerEU: 30
; NumVGPRsForWavesPerEU: 14
; NamedBarCnt: 0
; Occupancy: 16
; WaveLimiterHint : 0
; COMPUTE_PGM_RSRC2:SCRATCH_EN: 0
; COMPUTE_PGM_RSRC2:USER_SGPR: 2
; COMPUTE_PGM_RSRC2:TRAP_HANDLER: 0
; COMPUTE_PGM_RSRC2:TGID_X_EN: 1
; COMPUTE_PGM_RSRC2:TGID_Y_EN: 0
; COMPUTE_PGM_RSRC2:TGID_Z_EN: 0
; COMPUTE_PGM_RSRC2:TIDIG_COMP_CNT: 0
	.section	.text._ZN9rocsparseL35bsr2csr_block_per_row_33_256_kernelILj1024ELj64ELj32EdliEEv20rocsparse_direction_T4_S2_21rocsparse_index_base_PKT2_PKT3_PKS2_S2_S3_PS4_PS7_PS2_,"axG",@progbits,_ZN9rocsparseL35bsr2csr_block_per_row_33_256_kernelILj1024ELj64ELj32EdliEEv20rocsparse_direction_T4_S2_21rocsparse_index_base_PKT2_PKT3_PKS2_S2_S3_PS4_PS7_PS2_,comdat
	.globl	_ZN9rocsparseL35bsr2csr_block_per_row_33_256_kernelILj1024ELj64ELj32EdliEEv20rocsparse_direction_T4_S2_21rocsparse_index_base_PKT2_PKT3_PKS2_S2_S3_PS4_PS7_PS2_ ; -- Begin function _ZN9rocsparseL35bsr2csr_block_per_row_33_256_kernelILj1024ELj64ELj32EdliEEv20rocsparse_direction_T4_S2_21rocsparse_index_base_PKT2_PKT3_PKS2_S2_S3_PS4_PS7_PS2_
	.p2align	8
	.type	_ZN9rocsparseL35bsr2csr_block_per_row_33_256_kernelILj1024ELj64ELj32EdliEEv20rocsparse_direction_T4_S2_21rocsparse_index_base_PKT2_PKT3_PKS2_S2_S3_PS4_PS7_PS2_,@function
_ZN9rocsparseL35bsr2csr_block_per_row_33_256_kernelILj1024ELj64ELj32EdliEEv20rocsparse_direction_T4_S2_21rocsparse_index_base_PKT2_PKT3_PKS2_S2_S3_PS4_PS7_PS2_: ; @_ZN9rocsparseL35bsr2csr_block_per_row_33_256_kernelILj1024ELj64ELj32EdliEEv20rocsparse_direction_T4_S2_21rocsparse_index_base_PKT2_PKT3_PKS2_S2_S3_PS4_PS7_PS2_
; %bb.0:
	s_load_b64 s[2:3], s[0:1], 0x18
	s_bfe_u32 s4, ttmp6, 0x4000c
	s_and_b32 s5, ttmp6, 15
	s_add_co_i32 s4, s4, 1
	s_getreg_b32 s6, hwreg(HW_REG_IB_STS2, 6, 4)
	s_mul_i32 s4, ttmp9, s4
	s_clause 0x1
	s_load_b64 s[8:9], s[0:1], 0x28
	s_load_b64 s[24:25], s[0:1], 0x38
	s_add_co_i32 s5, s5, s4
	s_cmp_eq_u32 s6, 0
	s_mov_b32 s11, 0
	s_cselect_b32 s26, ttmp9, s5
	s_mov_b32 s13, s11
	s_ashr_i32 s27, s26, 31
	v_or_b32_e32 v1, s26, v0
	s_lshl_b64 s[4:5], s[26:27], 3
	s_wait_kmcnt 0x0
	s_add_nc_u64 s[2:3], s[2:3], s[4:5]
	s_load_b128 s[4:7], s[2:3], 0x0
	s_wait_xcnt 0x0
	s_mov_b32 s2, exec_lo
	s_mov_b32 s12, s9
	v_cmpx_eq_u32_e32 0, v1
	s_cbranch_execz .LBB231_2
; %bb.1:
	v_mov_b64_e32 v[2:3], s[12:13]
	v_mov_b32_e32 v1, 0
	global_store_b64 v1, v[2:3], s[24:25]
.LBB231_2:
	s_wait_xcnt 0x0
	s_or_b32 exec_lo, exec_lo, s2
	s_load_b32 s10, s[0:1], 0xc
	v_lshrrev_b32_e32 v2, 5, v0
	s_mul_i32 s20, s8, s8
	s_mov_b32 s21, s11
	s_mov_b32 s9, s11
	s_mul_i32 s26, s8, s26
	v_cmp_gt_i32_e64 s2, s8, v2
	s_wait_kmcnt 0x0
	s_sub_nc_u64 s[14:15], s[4:5], s[10:11]
	s_sub_nc_u64 s[16:17], s[6:7], s[10:11]
	s_mul_u64 s[18:19], s[14:15], s[20:21]
	s_sub_nc_u64 s[22:23], s[16:17], s[14:15]
	s_add_nc_u64 s[30:31], s[18:19], s[12:13]
	s_mul_u64 s[28:29], s[22:23], s[8:9]
	s_delay_alu instid0(SALU_CYCLE_1)
	s_add_nc_u64 s[30:31], s[30:31], s[28:29]
	s_and_saveexec_b32 s3, s2
	s_cbranch_execz .LBB231_4
; %bb.3:
	v_mad_nc_u64_u32 v[4:5], s28, v2, s[30:31]
	v_add_nc_u32_e32 v1, s26, v2
	s_delay_alu instid0(VALU_DEP_2)
	v_mad_u32 v5, s29, v2, v5
	global_store_b64 v1, v[4:5], s[24:25] offset:8 scale_offset
.LBB231_4:
	s_wait_xcnt 0x0
	s_or_b32 exec_lo, exec_lo, s3
	v_or_b32_e32 v4, 32, v2
	s_delay_alu instid0(VALU_DEP_1)
	v_cmp_gt_i32_e64 s3, s8, v4
	s_and_saveexec_b32 s13, s3
	s_cbranch_execz .LBB231_6
; %bb.5:
	v_mad_nc_u64_u32 v[6:7], s28, v4, s[30:31]
	v_mov_b32_e32 v3, 0
	s_ashr_i32 s27, s26, 31
	s_delay_alu instid0(VALU_DEP_1) | instid1(SALU_CYCLE_1)
	v_add_nc_u64_e32 v[8:9], s[26:27], v[2:3]
	s_delay_alu instid0(VALU_DEP_3) | instskip(NEXT) | instid1(VALU_DEP_2)
	v_mad_u32 v7, s29, v4, v7
	v_lshl_add_u64 v[8:9], v[8:9], 3, s[24:25]
	global_store_b64 v[8:9], v[6:7], off offset:264
.LBB231_6:
	s_wait_xcnt 0x0
	s_or_b32 exec_lo, exec_lo, s13
	v_cmp_lt_i64_e64 s6, s[4:5], s[6:7]
	s_and_b32 vcc_lo, exec_lo, s6
	s_cbranch_vccz .LBB231_17
; %bb.7:
	v_dual_mov_b32 v3, 0 :: v_dual_bitop2_b32 v0, 31, v0 bitop3:0x40
	s_load_b64 s[28:29], s[0:1], 0x40
	v_mul_lo_u32 v8, v2, s8
	s_delay_alu instid0(VALU_DEP_2) | instskip(SKIP_3) | instid1(VALU_DEP_4)
	v_dual_mov_b32 v5, v3 :: v_dual_lshlrev_b32 v10, 3, v2
	v_mul_u64_e32 v[6:7], s[22:23], v[2:3]
	v_mul_lo_u32 v12, v0, s8
	v_dual_mov_b32 v9, v3 :: v_dual_mov_b32 v1, v3
	v_mul_u64_e32 v[4:5], s[22:23], v[4:5]
	s_clause 0x3
	s_load_b64 s[22:23], s[0:1], 0x10
	s_load_b64 s[6:7], s[0:1], 0x20
	;; [unrolled: 1-line block ×3, first 2 shown]
	s_load_b32 s13, s[0:1], 0x0
	v_dual_mov_b32 v13, v3 :: v_dual_lshlrev_b32 v16, 3, v0
	v_dual_mov_b32 v17, v3 :: v_dual_mov_b32 v11, v3
	v_dual_mov_b32 v21, v3 :: v_dual_bitop2_b32 v30, 32, v0 bitop3:0x54
	v_dual_mov_b32 v23, v3 :: v_dual_lshlrev_b32 v2, 2, v0
	v_cmp_gt_i32_e32 vcc_lo, s8, v0
	s_wait_xcnt 0x0
	s_delay_alu instid0(VALU_DEP_3) | instskip(NEXT) | instid1(VALU_DEP_3)
	v_cmp_gt_i32_e64 s1, s8, v30
	v_lshl_add_u64 v[2:3], s[18:19], 2, v[2:3]
	s_wait_kmcnt 0x0
	s_cmp_eq_u32 s13, 0
	s_cselect_b32 s0, -1, 0
	s_lshl_b32 s33, s8, 5
	s_and_b32 s13, s2, vcc_lo
	v_add_nc_u32_e32 v22, s33, v8
	v_add_nc_u32_e32 v20, s33, v12
	v_mul_u64_e32 v[14:15], s[8:9], v[6:7]
	v_lshl_add_u64 v[6:7], v[12:13], 3, v[10:11]
	s_and_b32 s24, s2, s1
	v_lshl_add_u64 v[12:13], v[22:23], 3, v[16:17]
	v_mul_u64_e32 v[18:19], s[8:9], v[4:5]
	v_lshl_add_u64 v[4:5], v[8:9], 3, v[16:17]
	v_lshl_add_u64 v[10:11], v[20:21], 3, v[10:11]
	s_and_b32 s25, s3, vcc_lo
	s_and_b32 s1, s3, s1
	s_lshl_b64 s[2:3], s[18:19], 3
	v_add_nc_u64_e32 v[4:5], s[22:23], v[4:5]
	v_add_nc_u64_e32 v[6:7], s[22:23], v[6:7]
	;; [unrolled: 1-line block ×3, first 2 shown]
	s_lshl_b64 s[4:5], s[4:5], 2
	s_lshl_b64 s[30:31], s[10:11], 2
	s_delay_alu instid0(SALU_CYCLE_1)
	s_sub_nc_u64 s[30:31], s[4:5], s[30:31]
	s_lshl_b64 s[4:5], s[20:21], 3
	s_add_nc_u64 s[6:7], s[6:7], s[30:31]
	s_lshl_b64 s[20:21], s[8:9], 3
	v_lshl_add_u64 v[20:21], v[14:15], 2, s[28:29]
	v_lshl_add_u64 v[16:17], v[14:15], 3, v[16:17]
	v_add_nc_u64_e32 v[24:25], s[18:19], v[18:19]
	v_lshl_add_u64 v[18:19], v[18:19], 2, s[28:29]
	s_delay_alu instid0(VALU_DEP_3) | instskip(SKIP_1) | instid1(VALU_DEP_3)
	v_add_nc_u64_e32 v[16:17], s[2:3], v[16:17]
	s_lshl_b64 s[18:19], s[8:9], 2
	v_add_nc_u64_e32 v[8:9], v[24:25], v[0:1]
	s_delay_alu instid0(VALU_DEP_1) | instskip(SKIP_3) | instid1(VALU_DEP_3)
	v_lshl_add_u64 v[22:23], v[8:9], 3, s[26:27]
	v_add_nc_u64_e32 v[8:9], s[22:23], v[12:13]
	v_add_nc_u64_e32 v[12:13], 0x80, v[20:21]
	s_add_nc_u64 s[22:23], s[26:27], 0x100
	v_add_nc_u64_e32 v[14:15], 0x100, v[22:23]
	s_branch .LBB231_9
.LBB231_8:                              ;   in Loop: Header=BB231_9 Depth=1
	s_wait_xcnt 0x0
	s_or_b32 exec_lo, exec_lo, s9
	s_add_nc_u64 s[14:15], s[14:15], 1
	v_add_nc_u64_e32 v[4:5], s[4:5], v[4:5]
	v_cmp_ge_i64_e64 s9, s[14:15], s[16:17]
	v_add_nc_u64_e32 v[8:9], s[4:5], v[8:9]
	v_add_nc_u64_e32 v[6:7], s[4:5], v[6:7]
	;; [unrolled: 1-line block ×5, first 2 shown]
	s_add_nc_u64 s[6:7], s[6:7], 4
	s_and_b32 vcc_lo, exec_lo, s9
	s_add_nc_u64 s[22:23], s[22:23], s[20:21]
	s_cbranch_vccnz .LBB231_17
.LBB231_9:                              ; =>This Inner Loop Header: Depth=1
	s_load_b32 s9, s[6:7], 0x0
	s_delay_alu instid0(VALU_DEP_2)
	v_add_nc_u64_e32 v[24:25], v[12:13], v[2:3]
	v_add_nc_u64_e32 v[26:27], s[22:23], v[16:17]
	v_add_nc_u64_e32 v[28:29], s[2:3], v[4:5]
	v_add_nc_u64_e32 v[20:21], s[2:3], v[6:7]
	s_wait_kmcnt 0x0
	s_sub_co_i32 s9, s9, s10
	s_delay_alu instid0(SALU_CYCLE_1) | instskip(NEXT) | instid1(SALU_CYCLE_1)
	s_mul_i32 s9, s9, s8
	s_add_co_i32 s9, s9, s12
	s_delay_alu instid0(SALU_CYCLE_1)
	v_add_nc_u32_e32 v1, s9, v0
	s_and_saveexec_b32 s11, s13
	s_cbranch_execz .LBB231_11
; %bb.10:                               ;   in Loop: Header=BB231_9 Depth=1
	v_dual_cndmask_b32 v23, v21, v29, s0 :: v_dual_cndmask_b32 v22, v20, v28, s0
	global_load_b64 v[22:23], v[22:23], off
	global_store_b32 v[24:25], v1, off offset:-128
	s_wait_loadcnt 0x0
	global_store_b64 v[26:27], v[22:23], off offset:-256
.LBB231_11:                             ;   in Loop: Header=BB231_9 Depth=1
	s_wait_xcnt 0x0
	s_or_b32 exec_lo, exec_lo, s11
	v_add_nc_u64_e32 v[22:23], s[2:3], v[10:11]
	v_add_nc_u32_e32 v31, s9, v30
	s_and_saveexec_b32 s9, s24
	s_cbranch_execz .LBB231_13
; %bb.12:                               ;   in Loop: Header=BB231_9 Depth=1
	v_add_nc_u64_e32 v[28:29], 0x100, v[28:29]
	s_delay_alu instid0(VALU_DEP_1)
	v_dual_cndmask_b32 v29, v23, v29, s0 :: v_dual_cndmask_b32 v28, v22, v28, s0
	global_load_b64 v[28:29], v[28:29], off
	global_store_b32 v[24:25], v31, off
	s_wait_loadcnt 0x0
	global_store_b64 v[26:27], v[28:29], off
.LBB231_13:                             ;   in Loop: Header=BB231_9 Depth=1
	s_wait_xcnt 0x0
	s_or_b32 exec_lo, exec_lo, s9
	v_add_nc_u64_e32 v[24:25], v[18:19], v[2:3]
	v_add_nc_u64_e32 v[26:27], s[2:3], v[8:9]
	s_and_saveexec_b32 s9, s25
	s_cbranch_execz .LBB231_15
; %bb.14:                               ;   in Loop: Header=BB231_9 Depth=1
	v_add_nc_u64_e32 v[20:21], 0x100, v[20:21]
	s_delay_alu instid0(VALU_DEP_1)
	v_dual_cndmask_b32 v21, v21, v27, s0 :: v_dual_cndmask_b32 v20, v20, v26, s0
	global_load_b64 v[20:21], v[20:21], off
	global_store_b32 v[24:25], v1, off
	s_wait_loadcnt 0x0
	global_store_b64 v[14:15], v[20:21], off offset:-256
.LBB231_15:                             ;   in Loop: Header=BB231_9 Depth=1
	s_wait_xcnt 0x0
	s_or_b32 exec_lo, exec_lo, s9
	s_and_saveexec_b32 s9, s1
	s_cbranch_execz .LBB231_8
; %bb.16:                               ;   in Loop: Header=BB231_9 Depth=1
	v_dual_cndmask_b32 v21, v23, v27, s0 :: v_dual_cndmask_b32 v20, v22, v26, s0
	global_load_b64 v[20:21], v[20:21], off offset:256
	global_store_b32 v[24:25], v31, off offset:128
	s_wait_loadcnt 0x0
	global_store_b64 v[14:15], v[20:21], off
	s_branch .LBB231_8
.LBB231_17:
	s_endpgm
	.section	.rodata,"a",@progbits
	.p2align	6, 0x0
	.amdhsa_kernel _ZN9rocsparseL35bsr2csr_block_per_row_33_256_kernelILj1024ELj64ELj32EdliEEv20rocsparse_direction_T4_S2_21rocsparse_index_base_PKT2_PKT3_PKS2_S2_S3_PS4_PS7_PS2_
		.amdhsa_group_segment_fixed_size 0
		.amdhsa_private_segment_fixed_size 0
		.amdhsa_kernarg_size 72
		.amdhsa_user_sgpr_count 2
		.amdhsa_user_sgpr_dispatch_ptr 0
		.amdhsa_user_sgpr_queue_ptr 0
		.amdhsa_user_sgpr_kernarg_segment_ptr 1
		.amdhsa_user_sgpr_dispatch_id 0
		.amdhsa_user_sgpr_kernarg_preload_length 0
		.amdhsa_user_sgpr_kernarg_preload_offset 0
		.amdhsa_user_sgpr_private_segment_size 0
		.amdhsa_wavefront_size32 1
		.amdhsa_uses_dynamic_stack 0
		.amdhsa_enable_private_segment 0
		.amdhsa_system_sgpr_workgroup_id_x 1
		.amdhsa_system_sgpr_workgroup_id_y 0
		.amdhsa_system_sgpr_workgroup_id_z 0
		.amdhsa_system_sgpr_workgroup_info 0
		.amdhsa_system_vgpr_workitem_id 0
		.amdhsa_next_free_vgpr 32
		.amdhsa_next_free_sgpr 34
		.amdhsa_named_barrier_count 0
		.amdhsa_reserve_vcc 1
		.amdhsa_float_round_mode_32 0
		.amdhsa_float_round_mode_16_64 0
		.amdhsa_float_denorm_mode_32 3
		.amdhsa_float_denorm_mode_16_64 3
		.amdhsa_fp16_overflow 0
		.amdhsa_memory_ordered 1
		.amdhsa_forward_progress 1
		.amdhsa_inst_pref_size 10
		.amdhsa_round_robin_scheduling 0
		.amdhsa_exception_fp_ieee_invalid_op 0
		.amdhsa_exception_fp_denorm_src 0
		.amdhsa_exception_fp_ieee_div_zero 0
		.amdhsa_exception_fp_ieee_overflow 0
		.amdhsa_exception_fp_ieee_underflow 0
		.amdhsa_exception_fp_ieee_inexact 0
		.amdhsa_exception_int_div_zero 0
	.end_amdhsa_kernel
	.section	.text._ZN9rocsparseL35bsr2csr_block_per_row_33_256_kernelILj1024ELj64ELj32EdliEEv20rocsparse_direction_T4_S2_21rocsparse_index_base_PKT2_PKT3_PKS2_S2_S3_PS4_PS7_PS2_,"axG",@progbits,_ZN9rocsparseL35bsr2csr_block_per_row_33_256_kernelILj1024ELj64ELj32EdliEEv20rocsparse_direction_T4_S2_21rocsparse_index_base_PKT2_PKT3_PKS2_S2_S3_PS4_PS7_PS2_,comdat
.Lfunc_end231:
	.size	_ZN9rocsparseL35bsr2csr_block_per_row_33_256_kernelILj1024ELj64ELj32EdliEEv20rocsparse_direction_T4_S2_21rocsparse_index_base_PKT2_PKT3_PKS2_S2_S3_PS4_PS7_PS2_, .Lfunc_end231-_ZN9rocsparseL35bsr2csr_block_per_row_33_256_kernelILj1024ELj64ELj32EdliEEv20rocsparse_direction_T4_S2_21rocsparse_index_base_PKT2_PKT3_PKS2_S2_S3_PS4_PS7_PS2_
                                        ; -- End function
	.set _ZN9rocsparseL35bsr2csr_block_per_row_33_256_kernelILj1024ELj64ELj32EdliEEv20rocsparse_direction_T4_S2_21rocsparse_index_base_PKT2_PKT3_PKS2_S2_S3_PS4_PS7_PS2_.num_vgpr, 32
	.set _ZN9rocsparseL35bsr2csr_block_per_row_33_256_kernelILj1024ELj64ELj32EdliEEv20rocsparse_direction_T4_S2_21rocsparse_index_base_PKT2_PKT3_PKS2_S2_S3_PS4_PS7_PS2_.num_agpr, 0
	.set _ZN9rocsparseL35bsr2csr_block_per_row_33_256_kernelILj1024ELj64ELj32EdliEEv20rocsparse_direction_T4_S2_21rocsparse_index_base_PKT2_PKT3_PKS2_S2_S3_PS4_PS7_PS2_.numbered_sgpr, 34
	.set _ZN9rocsparseL35bsr2csr_block_per_row_33_256_kernelILj1024ELj64ELj32EdliEEv20rocsparse_direction_T4_S2_21rocsparse_index_base_PKT2_PKT3_PKS2_S2_S3_PS4_PS7_PS2_.num_named_barrier, 0
	.set _ZN9rocsparseL35bsr2csr_block_per_row_33_256_kernelILj1024ELj64ELj32EdliEEv20rocsparse_direction_T4_S2_21rocsparse_index_base_PKT2_PKT3_PKS2_S2_S3_PS4_PS7_PS2_.private_seg_size, 0
	.set _ZN9rocsparseL35bsr2csr_block_per_row_33_256_kernelILj1024ELj64ELj32EdliEEv20rocsparse_direction_T4_S2_21rocsparse_index_base_PKT2_PKT3_PKS2_S2_S3_PS4_PS7_PS2_.uses_vcc, 1
	.set _ZN9rocsparseL35bsr2csr_block_per_row_33_256_kernelILj1024ELj64ELj32EdliEEv20rocsparse_direction_T4_S2_21rocsparse_index_base_PKT2_PKT3_PKS2_S2_S3_PS4_PS7_PS2_.uses_flat_scratch, 0
	.set _ZN9rocsparseL35bsr2csr_block_per_row_33_256_kernelILj1024ELj64ELj32EdliEEv20rocsparse_direction_T4_S2_21rocsparse_index_base_PKT2_PKT3_PKS2_S2_S3_PS4_PS7_PS2_.has_dyn_sized_stack, 0
	.set _ZN9rocsparseL35bsr2csr_block_per_row_33_256_kernelILj1024ELj64ELj32EdliEEv20rocsparse_direction_T4_S2_21rocsparse_index_base_PKT2_PKT3_PKS2_S2_S3_PS4_PS7_PS2_.has_recursion, 0
	.set _ZN9rocsparseL35bsr2csr_block_per_row_33_256_kernelILj1024ELj64ELj32EdliEEv20rocsparse_direction_T4_S2_21rocsparse_index_base_PKT2_PKT3_PKS2_S2_S3_PS4_PS7_PS2_.has_indirect_call, 0
	.section	.AMDGPU.csdata,"",@progbits
; Kernel info:
; codeLenInByte = 1188
; TotalNumSgprs: 36
; NumVgprs: 32
; ScratchSize: 0
; MemoryBound: 0
; FloatMode: 240
; IeeeMode: 1
; LDSByteSize: 0 bytes/workgroup (compile time only)
; SGPRBlocks: 0
; VGPRBlocks: 1
; NumSGPRsForWavesPerEU: 36
; NumVGPRsForWavesPerEU: 32
; NamedBarCnt: 0
; Occupancy: 16
; WaveLimiterHint : 1
; COMPUTE_PGM_RSRC2:SCRATCH_EN: 0
; COMPUTE_PGM_RSRC2:USER_SGPR: 2
; COMPUTE_PGM_RSRC2:TRAP_HANDLER: 0
; COMPUTE_PGM_RSRC2:TGID_X_EN: 1
; COMPUTE_PGM_RSRC2:TGID_Y_EN: 0
; COMPUTE_PGM_RSRC2:TGID_Z_EN: 0
; COMPUTE_PGM_RSRC2:TIDIG_COMP_CNT: 0
	.section	.text._ZN9rocsparseL35bsr2csr_block_per_row_33_256_kernelILj1024ELj128ELj32EdliEEv20rocsparse_direction_T4_S2_21rocsparse_index_base_PKT2_PKT3_PKS2_S2_S3_PS4_PS7_PS2_,"axG",@progbits,_ZN9rocsparseL35bsr2csr_block_per_row_33_256_kernelILj1024ELj128ELj32EdliEEv20rocsparse_direction_T4_S2_21rocsparse_index_base_PKT2_PKT3_PKS2_S2_S3_PS4_PS7_PS2_,comdat
	.globl	_ZN9rocsparseL35bsr2csr_block_per_row_33_256_kernelILj1024ELj128ELj32EdliEEv20rocsparse_direction_T4_S2_21rocsparse_index_base_PKT2_PKT3_PKS2_S2_S3_PS4_PS7_PS2_ ; -- Begin function _ZN9rocsparseL35bsr2csr_block_per_row_33_256_kernelILj1024ELj128ELj32EdliEEv20rocsparse_direction_T4_S2_21rocsparse_index_base_PKT2_PKT3_PKS2_S2_S3_PS4_PS7_PS2_
	.p2align	8
	.type	_ZN9rocsparseL35bsr2csr_block_per_row_33_256_kernelILj1024ELj128ELj32EdliEEv20rocsparse_direction_T4_S2_21rocsparse_index_base_PKT2_PKT3_PKS2_S2_S3_PS4_PS7_PS2_,@function
_ZN9rocsparseL35bsr2csr_block_per_row_33_256_kernelILj1024ELj128ELj32EdliEEv20rocsparse_direction_T4_S2_21rocsparse_index_base_PKT2_PKT3_PKS2_S2_S3_PS4_PS7_PS2_: ; @_ZN9rocsparseL35bsr2csr_block_per_row_33_256_kernelILj1024ELj128ELj32EdliEEv20rocsparse_direction_T4_S2_21rocsparse_index_base_PKT2_PKT3_PKS2_S2_S3_PS4_PS7_PS2_
; %bb.0:
	s_load_b64 s[2:3], s[0:1], 0x18
	s_bfe_u32 s4, ttmp6, 0x4000c
	s_and_b32 s5, ttmp6, 15
	s_add_co_i32 s4, s4, 1
	s_getreg_b32 s6, hwreg(HW_REG_IB_STS2, 6, 4)
	s_mul_i32 s4, ttmp9, s4
	s_mov_b32 s15, 0
	s_add_co_i32 s5, s5, s4
	s_cmp_eq_u32 s6, 0
	s_clause 0x1
	s_load_b64 s[12:13], s[0:1], 0x28
	s_load_b64 s[6:7], s[0:1], 0x38
	s_cselect_b32 s4, ttmp9, s5
	s_mov_b32 s17, s15
	s_ashr_i32 s5, s4, 31
	v_or_b32_e32 v1, s4, v0
	s_lshl_b64 s[8:9], s[4:5], 3
	s_wait_kmcnt 0x0
	s_add_nc_u64 s[2:3], s[2:3], s[8:9]
	s_load_b128 s[8:11], s[2:3], 0x0
	s_wait_xcnt 0x0
	s_mov_b32 s2, exec_lo
	s_mov_b32 s16, s13
	v_cmpx_eq_u32_e32 0, v1
	s_cbranch_execz .LBB232_2
; %bb.1:
	v_mov_b64_e32 v[2:3], s[16:17]
	v_mov_b32_e32 v1, 0
	global_store_b64 v1, v[2:3], s[6:7]
.LBB232_2:
	s_wait_xcnt 0x0
	s_or_b32 exec_lo, exec_lo, s2
	s_load_b32 s14, s[0:1], 0xc
	v_lshrrev_b32_e32 v4, 5, v0
	s_mul_i32 s24, s12, s12
	s_mov_b32 s25, s15
	s_mov_b32 s13, s15
	s_delay_alu instid0(VALU_DEP_1)
	v_cmp_gt_i32_e64 s2, s12, v4
	s_wait_kmcnt 0x0
	s_sub_nc_u64 s[18:19], s[8:9], s[14:15]
	s_sub_nc_u64 s[20:21], s[10:11], s[14:15]
	s_mul_u64 s[26:27], s[18:19], s[24:25]
	s_sub_nc_u64 s[28:29], s[20:21], s[18:19]
	s_add_nc_u64 s[30:31], s[26:27], s[16:17]
	s_mul_u64 s[22:23], s[28:29], s[12:13]
	s_delay_alu instid0(SALU_CYCLE_1)
	s_add_nc_u64 s[34:35], s[30:31], s[22:23]
	s_mul_i32 s30, s12, s4
	s_and_saveexec_b32 s3, s2
	s_cbranch_execz .LBB232_4
; %bb.3:
	v_mad_nc_u64_u32 v[2:3], s22, v4, s[34:35]
	v_add_nc_u32_e32 v1, s30, v4
	s_delay_alu instid0(VALU_DEP_2)
	v_mad_u32 v3, s23, v4, v3
	global_store_b64 v1, v[2:3], s[6:7] offset:8 scale_offset
.LBB232_4:
	s_wait_xcnt 0x0
	s_or_b32 exec_lo, exec_lo, s3
	v_or_b32_e32 v2, 32, v4
	s_delay_alu instid0(VALU_DEP_1)
	v_cmp_gt_i32_e64 s3, s12, v2
	s_and_saveexec_b32 s4, s3
	s_cbranch_execz .LBB232_6
; %bb.5:
	v_mad_nc_u64_u32 v[6:7], s22, v2, s[34:35]
	v_mov_b32_e32 v5, 0
	s_ashr_i32 s31, s30, 31
	s_delay_alu instid0(VALU_DEP_1) | instid1(SALU_CYCLE_1)
	v_add_nc_u64_e32 v[8:9], s[30:31], v[4:5]
	s_delay_alu instid0(VALU_DEP_3) | instskip(NEXT) | instid1(VALU_DEP_2)
	v_mad_u32 v7, s23, v2, v7
	v_lshl_add_u64 v[8:9], v[8:9], 3, s[6:7]
	global_store_b64 v[8:9], v[6:7], off offset:264
.LBB232_6:
	s_wait_xcnt 0x0
	s_or_b32 exec_lo, exec_lo, s4
	v_or_b32_e32 v6, 64, v4
	s_delay_alu instid0(VALU_DEP_1)
	v_cmp_gt_i32_e64 s4, s12, v6
	s_and_saveexec_b32 s5, s4
	s_cbranch_execz .LBB232_8
; %bb.7:
	v_mad_nc_u64_u32 v[8:9], s22, v6, s[34:35]
	v_mov_b32_e32 v5, 0
	s_ashr_i32 s31, s30, 31
	s_delay_alu instid0(VALU_DEP_1) | instid1(SALU_CYCLE_1)
	v_add_nc_u64_e32 v[10:11], s[30:31], v[4:5]
	s_delay_alu instid0(VALU_DEP_3) | instskip(NEXT) | instid1(VALU_DEP_2)
	v_mad_u32 v9, s23, v6, v9
	v_lshl_add_u64 v[10:11], v[10:11], 3, s[6:7]
	global_store_b64 v[10:11], v[8:9], off offset:520
.LBB232_8:
	;; [unrolled: 18-line block ×3, first 2 shown]
	s_wait_xcnt 0x0
	s_or_b32 exec_lo, exec_lo, s17
	v_cmp_lt_i64_e64 s6, s[8:9], s[10:11]
	s_and_b32 vcc_lo, exec_lo, s6
	s_cbranch_vccz .LBB232_45
; %bb.11:
	v_dual_mov_b32 v5, 0 :: v_dual_bitop2_b32 v0, 31, v0 bitop3:0x40
	s_clause 0x1
	s_load_b64 s[30:31], s[0:1], 0x20
	s_load_b32 s6, s[0:1], 0x0
	v_mul_lo_u32 v8, v4, s12
	s_clause 0x2
	s_load_b64 s[34:35], s[0:1], 0x10
	s_load_b64 s[10:11], s[0:1], 0x30
	;; [unrolled: 1-line block ×3, first 2 shown]
	v_dual_mov_b32 v13, v5 :: v_dual_bitop2_b32 v49, 64, v0 bitop3:0x54
	v_dual_mov_b32 v3, v5 :: v_dual_mov_b32 v7, v5
	v_mul_u64_e32 v[14:15], s[28:29], v[4:5]
	v_mul_lo_u32 v10, v0, s12
	s_delay_alu instid0(VALU_DEP_4) | instskip(NEXT) | instid1(VALU_DEP_4)
	v_mul_u64_e32 v[12:13], s[28:29], v[12:13]
	v_mul_u64_e32 v[18:19], s[28:29], v[2:3]
	;; [unrolled: 1-line block ×3, first 2 shown]
	v_dual_mov_b32 v9, v5 :: v_dual_mov_b32 v1, v5
	v_dual_mov_b32 v31, v5 :: v_dual_lshlrev_b32 v30, 3, v0
	v_or_b32_e32 v50, 0x60, v0
	v_dual_mov_b32 v11, v5 :: v_dual_bitop2_b32 v48, 32, v0 bitop3:0x54
	v_dual_mov_b32 v41, v5 :: v_dual_lshlrev_b32 v40, 3, v4
	s_wait_kmcnt 0x0
	s_cmp_eq_u32 s6, 0
	v_mov_b32_e32 v23, v5
	s_cselect_b32 s0, -1, 0
	s_lshl_b32 s44, s12, 5
	s_delay_alu instid0(SALU_CYCLE_1) | instskip(SKIP_3) | instid1(VALU_DEP_3)
	v_dual_mov_b32 v17, v5 :: v_dual_add_nc_u32 v16, s44, v10
	v_dual_mov_b32 v25, v5 :: v_dual_add_nc_u32 v22, s44, v8
	v_mov_b32_e32 v21, v5
	v_lshl_add_u64 v[2:3], v[8:9], 3, v[30:31]
	v_dual_add_nc_u32 v20, s44, v16 :: v_dual_add_nc_u32 v24, s44, v22
	v_dual_mov_b32 v27, v5 :: v_dual_mov_b32 v33, v5
	v_lshl_add_u64 v[4:5], v[22:23], 3, v[30:31]
	s_delay_alu instid0(VALU_DEP_3) | instskip(NEXT) | instid1(VALU_DEP_4)
	v_add_nc_u32_e32 v32, s44, v20
	v_add_nc_u32_e32 v26, s44, v24
	v_cmp_gt_i32_e64 s6, s12, v49
	v_mad_nc_u64_u32 v[28:29], v14, s12, s[26:27]
	v_cmp_gt_i32_e64 s7, s12, v50
	v_mad_nc_u64_u32 v[34:35], v12, s12, s[26:27]
	v_mad_nc_u64_u32 v[36:37], v18, s12, s[26:27]
	;; [unrolled: 1-line block ×3, first 2 shown]
	v_lshl_add_u64 v[8:9], v[26:27], 3, v[30:31]
	v_cmp_gt_i32_e32 vcc_lo, s12, v0
	v_cmp_gt_i32_e64 s1, s12, v48
	s_and_b32 s28, s2, s6
	s_and_b32 s29, s2, s7
	;; [unrolled: 1-line block ×3, first 2 shown]
	v_mad_u32 v29, v15, s12, v29
	v_lshl_add_u64 v[14:15], v[20:21], 3, v[40:41]
	v_mad_u32 v35, v13, s12, v35
	v_mad_u32 v37, v19, s12, v37
	;; [unrolled: 1-line block ×3, first 2 shown]
	v_lshl_add_u64 v[6:7], v[24:25], 3, v[30:31]
	v_lshl_add_u64 v[12:13], v[16:17], 3, v[40:41]
	s_and_b32 s39, s3, s7
	s_and_b32 s42, s4, s6
	;; [unrolled: 1-line block ×4, first 2 shown]
	v_add_nc_u64_e32 v[18:19], v[28:29], v[0:1]
	s_and_b32 s46, s5, s7
	v_add_nc_u64_e32 v[22:23], v[34:35], v[0:1]
	v_add_nc_u64_e32 v[26:27], v[36:37], v[0:1]
	;; [unrolled: 1-line block ×3, first 2 shown]
	s_lshl_b64 s[6:7], s[8:9], 2
	s_lshl_b64 s[8:9], s[14:15], 2
	v_lshlrev_b64_e32 v[16:17], 2, v[18:19]
	v_lshlrev_b64_e32 v[18:19], 3, v[18:19]
	;; [unrolled: 1-line block ×8, first 2 shown]
	v_lshl_add_u64 v[10:11], v[10:11], 3, v[40:41]
	v_lshl_add_u64 v[32:33], v[32:33], 3, v[40:41]
	s_and_b32 s17, s2, vcc_lo
	s_and_b32 s33, s2, s1
	s_and_b32 s36, s3, vcc_lo
	s_and_b32 s37, s3, s1
	s_lshl_b64 s[2:3], s[26:27], 3
	s_sub_nc_u64 s[6:7], s[6:7], s[8:9]
	s_and_b32 s40, s4, vcc_lo
	s_and_b32 s41, s4, s1
	s_and_b32 s44, s5, vcc_lo
	s_and_b32 s1, s5, s1
	s_add_nc_u64 s[2:3], s[34:35], s[2:3]
	s_lshl_b64 s[4:5], s[24:25], 3
	s_add_nc_u64 s[6:7], s[30:31], s[6:7]
	s_lshl_b64 s[8:9], s[12:13], 2
	s_lshl_b64 s[24:25], s[12:13], 3
	s_branch .LBB232_13
.LBB232_12:                             ;   in Loop: Header=BB232_13 Depth=1
	s_wait_xcnt 0x0
	s_or_b32 exec_lo, exec_lo, s13
	s_add_nc_u64 s[18:19], s[18:19], 1
	s_add_nc_u64 s[2:3], s[2:3], s[4:5]
	v_cmp_ge_i64_e64 s13, s[18:19], s[20:21]
	s_add_nc_u64 s[6:7], s[6:7], 4
	s_add_nc_u64 s[22:23], s[22:23], s[8:9]
	;; [unrolled: 1-line block ×3, first 2 shown]
	s_and_b32 vcc_lo, exec_lo, s13
	s_cbranch_vccnz .LBB232_45
.LBB232_13:                             ; =>This Inner Loop Header: Depth=1
	s_load_b32 s13, s[6:7], 0x0
	v_add_nc_u64_e32 v[42:43], s[22:23], v[16:17]
	v_add_nc_u64_e32 v[44:45], s[10:11], v[18:19]
	;; [unrolled: 1-line block ×4, first 2 shown]
	s_wait_kmcnt 0x0
	s_sub_co_i32 s13, s13, s14
	s_delay_alu instid0(SALU_CYCLE_1) | instskip(NEXT) | instid1(SALU_CYCLE_1)
	s_mul_i32 s13, s13, s12
	s_add_co_i32 s13, s13, s16
	s_delay_alu instid0(SALU_CYCLE_1)
	v_add_nc_u32_e32 v1, s13, v0
	s_and_saveexec_b32 s15, s17
	s_cbranch_execz .LBB232_15
; %bb.14:                               ;   in Loop: Header=BB232_13 Depth=1
	v_dual_cndmask_b32 v37, v35, v47, s0 :: v_dual_cndmask_b32 v36, v34, v46, s0
	global_load_b64 v[36:37], v[36:37], off
	global_store_b32 v[42:43], v1, off
	s_wait_loadcnt 0x0
	global_store_b64 v[44:45], v[36:37], off
.LBB232_15:                             ;   in Loop: Header=BB232_13 Depth=1
	s_wait_xcnt 0x0
	s_or_b32 exec_lo, exec_lo, s15
	v_add_nc_u64_e32 v[36:37], s[2:3], v[12:13]
	v_add_nc_u32_e32 v51, s13, v48
	s_and_saveexec_b32 s15, s33
	s_cbranch_execz .LBB232_17
; %bb.16:                               ;   in Loop: Header=BB232_13 Depth=1
	v_add_nc_u64_e32 v[38:39], 0x100, v[46:47]
	s_delay_alu instid0(VALU_DEP_1)
	v_dual_cndmask_b32 v39, v37, v39, s0 :: v_dual_cndmask_b32 v38, v36, v38, s0
	global_load_b64 v[38:39], v[38:39], off
	global_store_b32 v[42:43], v51, off offset:128
	s_wait_loadcnt 0x0
	global_store_b64 v[44:45], v[38:39], off offset:256
.LBB232_17:                             ;   in Loop: Header=BB232_13 Depth=1
	s_wait_xcnt 0x0
	s_or_b32 exec_lo, exec_lo, s15
	v_add_nc_u64_e32 v[38:39], s[2:3], v[14:15]
	v_add_nc_u32_e32 v52, s13, v49
	s_and_saveexec_b32 s15, s28
	s_cbranch_execz .LBB232_19
; %bb.18:                               ;   in Loop: Header=BB232_13 Depth=1
	v_add_nc_u64_e32 v[40:41], 0x200, v[46:47]
	s_delay_alu instid0(VALU_DEP_1)
	v_dual_cndmask_b32 v41, v39, v41, s0 :: v_dual_cndmask_b32 v40, v38, v40, s0
	global_load_b64 v[40:41], v[40:41], off
	global_store_b32 v[42:43], v52, off offset:256
	s_wait_loadcnt 0x0
	global_store_b64 v[44:45], v[40:41], off offset:512
.LBB232_19:                             ;   in Loop: Header=BB232_13 Depth=1
	;; [unrolled: 15-line block ×3, first 2 shown]
	s_wait_xcnt 0x0
	s_or_b32 exec_lo, exec_lo, s13
	v_add_nc_u64_e32 v[42:43], s[22:23], v[24:25]
	v_add_nc_u64_e32 v[44:45], s[10:11], v[26:27]
	v_add_nc_u64_e32 v[46:47], s[2:3], v[4:5]
	s_and_saveexec_b32 s13, s36
	s_cbranch_execnz .LBB232_35
; %bb.22:                               ;   in Loop: Header=BB232_13 Depth=1
	s_or_b32 exec_lo, exec_lo, s13
	s_and_saveexec_b32 s13, s37
	s_cbranch_execnz .LBB232_36
.LBB232_23:                             ;   in Loop: Header=BB232_13 Depth=1
	s_or_b32 exec_lo, exec_lo, s13
	s_and_saveexec_b32 s13, s38
	s_cbranch_execnz .LBB232_37
.LBB232_24:                             ;   in Loop: Header=BB232_13 Depth=1
	s_or_b32 exec_lo, exec_lo, s13
	s_and_saveexec_b32 s13, s39
	s_cbranch_execz .LBB232_26
.LBB232_25:                             ;   in Loop: Header=BB232_13 Depth=1
	v_add_nc_u64_e32 v[46:47], 0x300, v[46:47]
	v_add_nc_u64_e32 v[54:55], 0x100, v[40:41]
	s_delay_alu instid0(VALU_DEP_1)
	v_dual_cndmask_b32 v47, v55, v47, s0 :: v_dual_cndmask_b32 v46, v54, v46, s0
	global_load_b64 v[46:47], v[46:47], off
	global_store_b32 v[42:43], v53, off offset:384
	s_wait_loadcnt 0x0
	global_store_b64 v[44:45], v[46:47], off offset:768
.LBB232_26:                             ;   in Loop: Header=BB232_13 Depth=1
	s_wait_xcnt 0x0
	s_or_b32 exec_lo, exec_lo, s13
	v_add_nc_u64_e32 v[42:43], s[22:23], v[30:31]
	v_add_nc_u64_e32 v[44:45], s[10:11], v[28:29]
	;; [unrolled: 1-line block ×3, first 2 shown]
	s_and_saveexec_b32 s13, s40
	s_cbranch_execnz .LBB232_38
; %bb.27:                               ;   in Loop: Header=BB232_13 Depth=1
	s_or_b32 exec_lo, exec_lo, s13
	s_and_saveexec_b32 s13, s41
	s_cbranch_execnz .LBB232_39
.LBB232_28:                             ;   in Loop: Header=BB232_13 Depth=1
	s_or_b32 exec_lo, exec_lo, s13
	s_and_saveexec_b32 s13, s42
	s_cbranch_execnz .LBB232_40
.LBB232_29:                             ;   in Loop: Header=BB232_13 Depth=1
	s_or_b32 exec_lo, exec_lo, s13
	s_and_saveexec_b32 s13, s43
	s_cbranch_execz .LBB232_31
.LBB232_30:                             ;   in Loop: Header=BB232_13 Depth=1
	v_add_nc_u64_e32 v[46:47], 0x300, v[46:47]
	v_add_nc_u64_e32 v[54:55], 0x200, v[40:41]
	s_delay_alu instid0(VALU_DEP_1)
	v_dual_cndmask_b32 v47, v55, v47, s0 :: v_dual_cndmask_b32 v46, v54, v46, s0
	global_load_b64 v[46:47], v[46:47], off
	global_store_b32 v[42:43], v53, off offset:384
	s_wait_loadcnt 0x0
	global_store_b64 v[44:45], v[46:47], off offset:768
.LBB232_31:                             ;   in Loop: Header=BB232_13 Depth=1
	s_wait_xcnt 0x0
	s_or_b32 exec_lo, exec_lo, s13
	v_add_nc_u64_e32 v[42:43], s[22:23], v[22:23]
	v_add_nc_u64_e32 v[44:45], s[10:11], v[20:21]
	;; [unrolled: 1-line block ×3, first 2 shown]
	s_and_saveexec_b32 s13, s44
	s_cbranch_execnz .LBB232_41
; %bb.32:                               ;   in Loop: Header=BB232_13 Depth=1
	s_or_b32 exec_lo, exec_lo, s13
	s_and_saveexec_b32 s13, s1
	s_cbranch_execnz .LBB232_42
.LBB232_33:                             ;   in Loop: Header=BB232_13 Depth=1
	s_or_b32 exec_lo, exec_lo, s13
	s_and_saveexec_b32 s13, s45
	s_cbranch_execnz .LBB232_43
.LBB232_34:                             ;   in Loop: Header=BB232_13 Depth=1
	s_or_b32 exec_lo, exec_lo, s13
	s_and_saveexec_b32 s13, s46
	s_cbranch_execz .LBB232_12
	s_branch .LBB232_44
.LBB232_35:                             ;   in Loop: Header=BB232_13 Depth=1
	v_add_nc_u64_e32 v[54:55], 0x100, v[34:35]
	s_delay_alu instid0(VALU_DEP_1)
	v_dual_cndmask_b32 v55, v55, v47, s0 :: v_dual_cndmask_b32 v54, v54, v46, s0
	global_load_b64 v[54:55], v[54:55], off
	global_store_b32 v[42:43], v1, off
	s_wait_loadcnt 0x0
	global_store_b64 v[44:45], v[54:55], off
	s_wait_xcnt 0x0
	s_or_b32 exec_lo, exec_lo, s13
	s_and_saveexec_b32 s13, s37
	s_cbranch_execz .LBB232_23
.LBB232_36:                             ;   in Loop: Header=BB232_13 Depth=1
	s_delay_alu instid0(VALU_DEP_1)
	v_dual_cndmask_b32 v55, v37, v47, s0 :: v_dual_cndmask_b32 v54, v36, v46, s0
	global_load_b64 v[54:55], v[54:55], off offset:256
	global_store_b32 v[42:43], v51, off offset:128
	s_wait_loadcnt 0x0
	global_store_b64 v[44:45], v[54:55], off offset:256
	s_wait_xcnt 0x0
	s_or_b32 exec_lo, exec_lo, s13
	s_and_saveexec_b32 s13, s38
	s_cbranch_execz .LBB232_24
.LBB232_37:                             ;   in Loop: Header=BB232_13 Depth=1
	v_add_nc_u64_e32 v[54:55], 0x200, v[46:47]
	v_add_nc_u64_e32 v[56:57], 0x100, v[38:39]
	s_delay_alu instid0(VALU_DEP_1)
	v_dual_cndmask_b32 v55, v57, v55, s0 :: v_dual_cndmask_b32 v54, v56, v54, s0
	global_load_b64 v[54:55], v[54:55], off
	global_store_b32 v[42:43], v52, off offset:256
	s_wait_loadcnt 0x0
	global_store_b64 v[44:45], v[54:55], off offset:512
	s_wait_xcnt 0x0
	s_or_b32 exec_lo, exec_lo, s13
	s_and_saveexec_b32 s13, s39
	s_cbranch_execnz .LBB232_25
	s_branch .LBB232_26
.LBB232_38:                             ;   in Loop: Header=BB232_13 Depth=1
	v_add_nc_u64_e32 v[54:55], 0x200, v[34:35]
	s_delay_alu instid0(VALU_DEP_1)
	v_dual_cndmask_b32 v55, v55, v47, s0 :: v_dual_cndmask_b32 v54, v54, v46, s0
	global_load_b64 v[54:55], v[54:55], off
	global_store_b32 v[42:43], v1, off
	s_wait_loadcnt 0x0
	global_store_b64 v[44:45], v[54:55], off
	s_wait_xcnt 0x0
	s_or_b32 exec_lo, exec_lo, s13
	s_and_saveexec_b32 s13, s41
	s_cbranch_execz .LBB232_28
.LBB232_39:                             ;   in Loop: Header=BB232_13 Depth=1
	s_delay_alu instid0(VALU_DEP_1) | instskip(SKIP_1) | instid1(VALU_DEP_1)
	v_add_nc_u64_e32 v[54:55], 0x100, v[46:47]
	v_add_nc_u64_e32 v[56:57], 0x200, v[36:37]
	v_dual_cndmask_b32 v55, v57, v55, s0 :: v_dual_cndmask_b32 v54, v56, v54, s0
	global_load_b64 v[54:55], v[54:55], off
	global_store_b32 v[42:43], v51, off offset:128
	s_wait_loadcnt 0x0
	global_store_b64 v[44:45], v[54:55], off offset:256
	s_wait_xcnt 0x0
	s_or_b32 exec_lo, exec_lo, s13
	s_and_saveexec_b32 s13, s42
	s_cbranch_execz .LBB232_29
.LBB232_40:                             ;   in Loop: Header=BB232_13 Depth=1
	v_dual_cndmask_b32 v55, v39, v47, s0 :: v_dual_cndmask_b32 v54, v38, v46, s0
	global_load_b64 v[54:55], v[54:55], off offset:512
	global_store_b32 v[42:43], v52, off offset:256
	s_wait_loadcnt 0x0
	global_store_b64 v[44:45], v[54:55], off offset:512
	s_wait_xcnt 0x0
	s_or_b32 exec_lo, exec_lo, s13
	s_and_saveexec_b32 s13, s43
	s_cbranch_execnz .LBB232_30
	s_branch .LBB232_31
.LBB232_41:                             ;   in Loop: Header=BB232_13 Depth=1
	v_add_nc_u64_e32 v[34:35], 0x300, v[34:35]
	s_delay_alu instid0(VALU_DEP_1)
	v_dual_cndmask_b32 v35, v35, v47, s0 :: v_dual_cndmask_b32 v34, v34, v46, s0
	global_load_b64 v[34:35], v[34:35], off
	global_store_b32 v[42:43], v1, off
	s_wait_loadcnt 0x0
	global_store_b64 v[44:45], v[34:35], off
	s_wait_xcnt 0x0
	s_or_b32 exec_lo, exec_lo, s13
	s_and_saveexec_b32 s13, s1
	s_cbranch_execz .LBB232_33
.LBB232_42:                             ;   in Loop: Header=BB232_13 Depth=1
	s_delay_alu instid0(VALU_DEP_1) | instskip(SKIP_1) | instid1(VALU_DEP_1)
	v_add_nc_u64_e32 v[34:35], 0x100, v[46:47]
	v_add_nc_u64_e32 v[36:37], 0x300, v[36:37]
	v_dual_cndmask_b32 v35, v37, v35, s0 :: v_dual_cndmask_b32 v34, v36, v34, s0
	global_load_b64 v[34:35], v[34:35], off
	global_store_b32 v[42:43], v51, off offset:128
	s_wait_loadcnt 0x0
	global_store_b64 v[44:45], v[34:35], off offset:256
	s_wait_xcnt 0x0
	s_or_b32 exec_lo, exec_lo, s13
	s_and_saveexec_b32 s13, s45
	s_cbranch_execz .LBB232_34
.LBB232_43:                             ;   in Loop: Header=BB232_13 Depth=1
	v_add_nc_u64_e32 v[34:35], 0x200, v[46:47]
	v_add_nc_u64_e32 v[36:37], 0x300, v[38:39]
	s_delay_alu instid0(VALU_DEP_1)
	v_dual_cndmask_b32 v35, v37, v35, s0 :: v_dual_cndmask_b32 v34, v36, v34, s0
	global_load_b64 v[34:35], v[34:35], off
	global_store_b32 v[42:43], v52, off offset:256
	s_wait_loadcnt 0x0
	global_store_b64 v[44:45], v[34:35], off offset:512
	s_wait_xcnt 0x0
	s_or_b32 exec_lo, exec_lo, s13
	s_and_saveexec_b32 s13, s46
	s_cbranch_execz .LBB232_12
.LBB232_44:                             ;   in Loop: Header=BB232_13 Depth=1
	v_dual_cndmask_b32 v35, v41, v47, s0 :: v_dual_cndmask_b32 v34, v40, v46, s0
	global_load_b64 v[34:35], v[34:35], off offset:768
	global_store_b32 v[42:43], v53, off offset:384
	s_wait_loadcnt 0x0
	global_store_b64 v[44:45], v[34:35], off offset:768
	s_branch .LBB232_12
.LBB232_45:
	s_endpgm
	.section	.rodata,"a",@progbits
	.p2align	6, 0x0
	.amdhsa_kernel _ZN9rocsparseL35bsr2csr_block_per_row_33_256_kernelILj1024ELj128ELj32EdliEEv20rocsparse_direction_T4_S2_21rocsparse_index_base_PKT2_PKT3_PKS2_S2_S3_PS4_PS7_PS2_
		.amdhsa_group_segment_fixed_size 0
		.amdhsa_private_segment_fixed_size 0
		.amdhsa_kernarg_size 72
		.amdhsa_user_sgpr_count 2
		.amdhsa_user_sgpr_dispatch_ptr 0
		.amdhsa_user_sgpr_queue_ptr 0
		.amdhsa_user_sgpr_kernarg_segment_ptr 1
		.amdhsa_user_sgpr_dispatch_id 0
		.amdhsa_user_sgpr_kernarg_preload_length 0
		.amdhsa_user_sgpr_kernarg_preload_offset 0
		.amdhsa_user_sgpr_private_segment_size 0
		.amdhsa_wavefront_size32 1
		.amdhsa_uses_dynamic_stack 0
		.amdhsa_enable_private_segment 0
		.amdhsa_system_sgpr_workgroup_id_x 1
		.amdhsa_system_sgpr_workgroup_id_y 0
		.amdhsa_system_sgpr_workgroup_id_z 0
		.amdhsa_system_sgpr_workgroup_info 0
		.amdhsa_system_vgpr_workitem_id 0
		.amdhsa_next_free_vgpr 58
		.amdhsa_next_free_sgpr 47
		.amdhsa_named_barrier_count 0
		.amdhsa_reserve_vcc 1
		.amdhsa_float_round_mode_32 0
		.amdhsa_float_round_mode_16_64 0
		.amdhsa_float_denorm_mode_32 3
		.amdhsa_float_denorm_mode_16_64 3
		.amdhsa_fp16_overflow 0
		.amdhsa_memory_ordered 1
		.amdhsa_forward_progress 1
		.amdhsa_inst_pref_size 21
		.amdhsa_round_robin_scheduling 0
		.amdhsa_exception_fp_ieee_invalid_op 0
		.amdhsa_exception_fp_denorm_src 0
		.amdhsa_exception_fp_ieee_div_zero 0
		.amdhsa_exception_fp_ieee_overflow 0
		.amdhsa_exception_fp_ieee_underflow 0
		.amdhsa_exception_fp_ieee_inexact 0
		.amdhsa_exception_int_div_zero 0
	.end_amdhsa_kernel
	.section	.text._ZN9rocsparseL35bsr2csr_block_per_row_33_256_kernelILj1024ELj128ELj32EdliEEv20rocsparse_direction_T4_S2_21rocsparse_index_base_PKT2_PKT3_PKS2_S2_S3_PS4_PS7_PS2_,"axG",@progbits,_ZN9rocsparseL35bsr2csr_block_per_row_33_256_kernelILj1024ELj128ELj32EdliEEv20rocsparse_direction_T4_S2_21rocsparse_index_base_PKT2_PKT3_PKS2_S2_S3_PS4_PS7_PS2_,comdat
.Lfunc_end232:
	.size	_ZN9rocsparseL35bsr2csr_block_per_row_33_256_kernelILj1024ELj128ELj32EdliEEv20rocsparse_direction_T4_S2_21rocsparse_index_base_PKT2_PKT3_PKS2_S2_S3_PS4_PS7_PS2_, .Lfunc_end232-_ZN9rocsparseL35bsr2csr_block_per_row_33_256_kernelILj1024ELj128ELj32EdliEEv20rocsparse_direction_T4_S2_21rocsparse_index_base_PKT2_PKT3_PKS2_S2_S3_PS4_PS7_PS2_
                                        ; -- End function
	.set _ZN9rocsparseL35bsr2csr_block_per_row_33_256_kernelILj1024ELj128ELj32EdliEEv20rocsparse_direction_T4_S2_21rocsparse_index_base_PKT2_PKT3_PKS2_S2_S3_PS4_PS7_PS2_.num_vgpr, 58
	.set _ZN9rocsparseL35bsr2csr_block_per_row_33_256_kernelILj1024ELj128ELj32EdliEEv20rocsparse_direction_T4_S2_21rocsparse_index_base_PKT2_PKT3_PKS2_S2_S3_PS4_PS7_PS2_.num_agpr, 0
	.set _ZN9rocsparseL35bsr2csr_block_per_row_33_256_kernelILj1024ELj128ELj32EdliEEv20rocsparse_direction_T4_S2_21rocsparse_index_base_PKT2_PKT3_PKS2_S2_S3_PS4_PS7_PS2_.numbered_sgpr, 47
	.set _ZN9rocsparseL35bsr2csr_block_per_row_33_256_kernelILj1024ELj128ELj32EdliEEv20rocsparse_direction_T4_S2_21rocsparse_index_base_PKT2_PKT3_PKS2_S2_S3_PS4_PS7_PS2_.num_named_barrier, 0
	.set _ZN9rocsparseL35bsr2csr_block_per_row_33_256_kernelILj1024ELj128ELj32EdliEEv20rocsparse_direction_T4_S2_21rocsparse_index_base_PKT2_PKT3_PKS2_S2_S3_PS4_PS7_PS2_.private_seg_size, 0
	.set _ZN9rocsparseL35bsr2csr_block_per_row_33_256_kernelILj1024ELj128ELj32EdliEEv20rocsparse_direction_T4_S2_21rocsparse_index_base_PKT2_PKT3_PKS2_S2_S3_PS4_PS7_PS2_.uses_vcc, 1
	.set _ZN9rocsparseL35bsr2csr_block_per_row_33_256_kernelILj1024ELj128ELj32EdliEEv20rocsparse_direction_T4_S2_21rocsparse_index_base_PKT2_PKT3_PKS2_S2_S3_PS4_PS7_PS2_.uses_flat_scratch, 0
	.set _ZN9rocsparseL35bsr2csr_block_per_row_33_256_kernelILj1024ELj128ELj32EdliEEv20rocsparse_direction_T4_S2_21rocsparse_index_base_PKT2_PKT3_PKS2_S2_S3_PS4_PS7_PS2_.has_dyn_sized_stack, 0
	.set _ZN9rocsparseL35bsr2csr_block_per_row_33_256_kernelILj1024ELj128ELj32EdliEEv20rocsparse_direction_T4_S2_21rocsparse_index_base_PKT2_PKT3_PKS2_S2_S3_PS4_PS7_PS2_.has_recursion, 0
	.set _ZN9rocsparseL35bsr2csr_block_per_row_33_256_kernelILj1024ELj128ELj32EdliEEv20rocsparse_direction_T4_S2_21rocsparse_index_base_PKT2_PKT3_PKS2_S2_S3_PS4_PS7_PS2_.has_indirect_call, 0
	.section	.AMDGPU.csdata,"",@progbits
; Kernel info:
; codeLenInByte = 2676
; TotalNumSgprs: 49
; NumVgprs: 58
; ScratchSize: 0
; MemoryBound: 0
; FloatMode: 240
; IeeeMode: 1
; LDSByteSize: 0 bytes/workgroup (compile time only)
; SGPRBlocks: 0
; VGPRBlocks: 3
; NumSGPRsForWavesPerEU: 49
; NumVGPRsForWavesPerEU: 58
; NamedBarCnt: 0
; Occupancy: 16
; WaveLimiterHint : 1
; COMPUTE_PGM_RSRC2:SCRATCH_EN: 0
; COMPUTE_PGM_RSRC2:USER_SGPR: 2
; COMPUTE_PGM_RSRC2:TRAP_HANDLER: 0
; COMPUTE_PGM_RSRC2:TGID_X_EN: 1
; COMPUTE_PGM_RSRC2:TGID_Y_EN: 0
; COMPUTE_PGM_RSRC2:TGID_Z_EN: 0
; COMPUTE_PGM_RSRC2:TIDIG_COMP_CNT: 0
	.section	.text._ZN9rocsparseL35bsr2csr_block_per_row_33_256_kernelILj1024ELj256ELj32EdliEEv20rocsparse_direction_T4_S2_21rocsparse_index_base_PKT2_PKT3_PKS2_S2_S3_PS4_PS7_PS2_,"axG",@progbits,_ZN9rocsparseL35bsr2csr_block_per_row_33_256_kernelILj1024ELj256ELj32EdliEEv20rocsparse_direction_T4_S2_21rocsparse_index_base_PKT2_PKT3_PKS2_S2_S3_PS4_PS7_PS2_,comdat
	.globl	_ZN9rocsparseL35bsr2csr_block_per_row_33_256_kernelILj1024ELj256ELj32EdliEEv20rocsparse_direction_T4_S2_21rocsparse_index_base_PKT2_PKT3_PKS2_S2_S3_PS4_PS7_PS2_ ; -- Begin function _ZN9rocsparseL35bsr2csr_block_per_row_33_256_kernelILj1024ELj256ELj32EdliEEv20rocsparse_direction_T4_S2_21rocsparse_index_base_PKT2_PKT3_PKS2_S2_S3_PS4_PS7_PS2_
	.p2align	8
	.type	_ZN9rocsparseL35bsr2csr_block_per_row_33_256_kernelILj1024ELj256ELj32EdliEEv20rocsparse_direction_T4_S2_21rocsparse_index_base_PKT2_PKT3_PKS2_S2_S3_PS4_PS7_PS2_,@function
_ZN9rocsparseL35bsr2csr_block_per_row_33_256_kernelILj1024ELj256ELj32EdliEEv20rocsparse_direction_T4_S2_21rocsparse_index_base_PKT2_PKT3_PKS2_S2_S3_PS4_PS7_PS2_: ; @_ZN9rocsparseL35bsr2csr_block_per_row_33_256_kernelILj1024ELj256ELj32EdliEEv20rocsparse_direction_T4_S2_21rocsparse_index_base_PKT2_PKT3_PKS2_S2_S3_PS4_PS7_PS2_
; %bb.0:
	s_load_b64 s[2:3], s[0:1], 0x18
	s_bfe_u32 s4, ttmp6, 0x4000c
	s_and_b32 s5, ttmp6, 15
	s_add_co_i32 s4, s4, 1
	s_getreg_b32 s6, hwreg(HW_REG_IB_STS2, 6, 4)
	s_mul_i32 s4, ttmp9, s4
	s_clause 0x1
	s_load_b64 s[16:17], s[0:1], 0x28
	s_load_b64 s[10:11], s[0:1], 0x38
	s_add_co_i32 s5, s5, s4
	s_cmp_eq_u32 s6, 0
	s_mov_b32 s19, 0
	s_cselect_b32 s4, ttmp9, s5
	s_mov_b32 s21, s19
	s_ashr_i32 s5, s4, 31
	v_or_b32_e32 v1, s4, v0
	s_lshl_b64 s[6:7], s[4:5], 3
	s_wait_kmcnt 0x0
	s_add_nc_u64 s[2:3], s[2:3], s[6:7]
	s_load_b128 s[12:15], s[2:3], 0x0
	s_wait_xcnt 0x0
	s_mov_b32 s2, exec_lo
	s_mov_b32 s20, s17
	v_cmpx_eq_u32_e32 0, v1
	s_cbranch_execz .LBB233_2
; %bb.1:
	v_mov_b64_e32 v[2:3], s[20:21]
	v_mov_b32_e32 v1, 0
	global_store_b64 v1, v[2:3], s[10:11]
.LBB233_2:
	s_wait_xcnt 0x0
	s_or_b32 exec_lo, exec_lo, s2
	s_load_b32 s22, s[0:1], 0xc
	s_mov_b32 s23, s19
	v_lshrrev_b32_e32 v2, 5, v0
	s_mul_i32 s18, s16, s16
	s_mov_b32 s17, s19
	s_mul_i32 s34, s16, s4
	s_delay_alu instid0(VALU_DEP_1)
	v_cmp_gt_i32_e64 s2, s16, v2
	s_wait_kmcnt 0x0
	s_sub_nc_u64 s[24:25], s[12:13], s[22:23]
	s_sub_nc_u64 s[26:27], s[14:15], s[22:23]
	s_mul_u64 s[28:29], s[24:25], s[18:19]
	s_sub_nc_u64 s[40:41], s[26:27], s[24:25]
	s_add_nc_u64 s[6:7], s[28:29], s[20:21]
	s_mul_u64 s[30:31], s[40:41], s[16:17]
	s_delay_alu instid0(SALU_CYCLE_1)
	s_add_nc_u64 s[36:37], s[6:7], s[30:31]
	s_and_saveexec_b32 s3, s2
	s_cbranch_execz .LBB233_4
; %bb.3:
	v_mad_nc_u64_u32 v[4:5], s30, v2, s[36:37]
	v_add_nc_u32_e32 v1, s34, v2
	s_delay_alu instid0(VALU_DEP_2)
	v_mad_u32 v5, s31, v2, v5
	global_store_b64 v1, v[4:5], s[10:11] offset:8 scale_offset
.LBB233_4:
	s_wait_xcnt 0x0
	s_or_b32 exec_lo, exec_lo, s3
	v_or_b32_e32 v24, 32, v2
	s_delay_alu instid0(VALU_DEP_1)
	v_cmp_gt_i32_e64 s3, s16, v24
	s_and_saveexec_b32 s4, s3
	s_cbranch_execz .LBB233_6
; %bb.5:
	v_mad_nc_u64_u32 v[4:5], s30, v24, s[36:37]
	v_mov_b32_e32 v3, 0
	s_ashr_i32 s35, s34, 31
	s_delay_alu instid0(VALU_DEP_1) | instid1(SALU_CYCLE_1)
	v_add_nc_u64_e32 v[6:7], s[34:35], v[2:3]
	s_delay_alu instid0(VALU_DEP_3) | instskip(NEXT) | instid1(VALU_DEP_2)
	v_mad_u32 v5, s31, v24, v5
	v_lshl_add_u64 v[6:7], v[6:7], 3, s[10:11]
	global_store_b64 v[6:7], v[4:5], off offset:264
.LBB233_6:
	s_wait_xcnt 0x0
	s_or_b32 exec_lo, exec_lo, s4
	v_or_b32_e32 v28, 64, v2
	s_delay_alu instid0(VALU_DEP_1)
	v_cmp_gt_i32_e64 s4, s16, v28
	s_and_saveexec_b32 s5, s4
	s_cbranch_execz .LBB233_8
; %bb.7:
	v_mad_nc_u64_u32 v[4:5], s30, v28, s[36:37]
	v_mov_b32_e32 v3, 0
	s_ashr_i32 s35, s34, 31
	s_delay_alu instid0(VALU_DEP_1) | instid1(SALU_CYCLE_1)
	v_add_nc_u64_e32 v[6:7], s[34:35], v[2:3]
	s_delay_alu instid0(VALU_DEP_3) | instskip(NEXT) | instid1(VALU_DEP_2)
	v_mad_u32 v5, s31, v28, v5
	v_lshl_add_u64 v[6:7], v[6:7], 3, s[10:11]
	global_store_b64 v[6:7], v[4:5], off offset:520
.LBB233_8:
	s_wait_xcnt 0x0
	s_or_b32 exec_lo, exec_lo, s5
	v_or_b32_e32 v32, 0x60, v2
	s_delay_alu instid0(VALU_DEP_1)
	v_cmp_gt_i32_e64 s6, s16, v32
	s_and_saveexec_b32 s5, s6
	s_cbranch_execz .LBB233_10
; %bb.9:
	v_mad_nc_u64_u32 v[4:5], s30, v32, s[36:37]
	v_mov_b32_e32 v3, 0
	s_ashr_i32 s35, s34, 31
	s_delay_alu instid0(VALU_DEP_1) | instid1(SALU_CYCLE_1)
	v_add_nc_u64_e32 v[6:7], s[34:35], v[2:3]
	s_delay_alu instid0(VALU_DEP_3) | instskip(NEXT) | instid1(VALU_DEP_2)
	v_mad_u32 v5, s31, v32, v5
	v_lshl_add_u64 v[6:7], v[6:7], 3, s[10:11]
	global_store_b64 v[6:7], v[4:5], off offset:776
.LBB233_10:
	s_wait_xcnt 0x0
	s_or_b32 exec_lo, exec_lo, s5
	v_or_b32_e32 v36, 0x80, v2
	s_delay_alu instid0(VALU_DEP_1)
	v_cmp_gt_i32_e64 s8, s16, v36
	s_and_saveexec_b32 s5, s8
	s_cbranch_execz .LBB233_12
; %bb.11:
	v_mad_nc_u64_u32 v[4:5], s30, v36, s[36:37]
	v_mov_b32_e32 v3, 0
	s_ashr_i32 s35, s34, 31
	s_delay_alu instid0(VALU_DEP_1) | instid1(SALU_CYCLE_1)
	v_add_nc_u64_e32 v[6:7], s[34:35], v[2:3]
	s_delay_alu instid0(VALU_DEP_3) | instskip(NEXT) | instid1(VALU_DEP_2)
	v_mad_u32 v5, s31, v36, v5
	v_lshl_add_u64 v[6:7], v[6:7], 3, s[10:11]
	global_store_b64 v[6:7], v[4:5], off offset:1032
.LBB233_12:
	s_wait_xcnt 0x0
	s_or_b32 exec_lo, exec_lo, s5
	v_or_b32_e32 v40, 0xa0, v2
	s_delay_alu instid0(VALU_DEP_1)
	v_cmp_gt_i32_e64 s5, s16, v40
	s_and_saveexec_b32 s7, s5
	s_cbranch_execz .LBB233_14
; %bb.13:
	v_mad_nc_u64_u32 v[4:5], s30, v40, s[36:37]
	v_mov_b32_e32 v3, 0
	s_ashr_i32 s35, s34, 31
	s_delay_alu instid0(VALU_DEP_1) | instid1(SALU_CYCLE_1)
	v_add_nc_u64_e32 v[6:7], s[34:35], v[2:3]
	s_delay_alu instid0(VALU_DEP_3) | instskip(NEXT) | instid1(VALU_DEP_2)
	v_mad_u32 v5, s31, v40, v5
	v_lshl_add_u64 v[6:7], v[6:7], 3, s[10:11]
	global_store_b64 v[6:7], v[4:5], off offset:1288
.LBB233_14:
	s_wait_xcnt 0x0
	s_or_b32 exec_lo, exec_lo, s7
	v_or_b32_e32 v44, 0xc0, v2
	s_delay_alu instid0(VALU_DEP_1)
	v_cmp_gt_i32_e64 s7, s16, v44
	s_and_saveexec_b32 s9, s7
	s_cbranch_execz .LBB233_16
; %bb.15:
	v_mad_nc_u64_u32 v[4:5], s30, v44, s[36:37]
	v_mov_b32_e32 v3, 0
	s_ashr_i32 s35, s34, 31
	s_delay_alu instid0(VALU_DEP_1) | instid1(SALU_CYCLE_1)
	v_add_nc_u64_e32 v[6:7], s[34:35], v[2:3]
	s_delay_alu instid0(VALU_DEP_3) | instskip(NEXT) | instid1(VALU_DEP_2)
	v_mad_u32 v5, s31, v44, v5
	v_lshl_add_u64 v[6:7], v[6:7], 3, s[10:11]
	global_store_b64 v[6:7], v[4:5], off offset:1544
.LBB233_16:
	s_wait_xcnt 0x0
	s_or_b32 exec_lo, exec_lo, s9
	v_or_b32_e32 v46, 0xe0, v2
	s_delay_alu instid0(VALU_DEP_1)
	v_cmp_gt_i32_e64 s9, s16, v46
	s_and_saveexec_b32 s17, s9
	s_cbranch_execz .LBB233_18
; %bb.17:
	v_mad_nc_u64_u32 v[4:5], s30, v46, s[36:37]
	v_mov_b32_e32 v3, 0
	s_ashr_i32 s35, s34, 31
	s_delay_alu instid0(VALU_DEP_1) | instid1(SALU_CYCLE_1)
	v_add_nc_u64_e32 v[6:7], s[34:35], v[2:3]
	s_delay_alu instid0(VALU_DEP_3) | instskip(NEXT) | instid1(VALU_DEP_2)
	v_mad_u32 v5, s31, v46, v5
	v_lshl_add_u64 v[6:7], v[6:7], 3, s[10:11]
	global_store_b64 v[6:7], v[4:5], off offset:1800
.LBB233_18:
	s_wait_xcnt 0x0
	s_or_b32 exec_lo, exec_lo, s17
	v_cmp_lt_i64_e64 s10, s[12:13], s[14:15]
	s_and_b32 vcc_lo, exec_lo, s10
	s_cbranch_vccz .LBB233_149
; %bb.19:
	s_clause 0x2
	s_load_b64 s[30:31], s[0:1], 0x20
	s_load_b64 s[34:35], s[0:1], 0x30
	s_load_b32 s10, s[0:1], 0x0
	v_dual_mov_b32 v3, 0 :: v_dual_bitop2_b32 v0, 31, v0 bitop3:0x40
	s_clause 0x1
	s_load_b64 s[36:37], s[0:1], 0x10
	s_load_b64 s[38:39], s[0:1], 0x40
	v_mul_lo_u32 v4, v2, s16
	v_mul_lo_u32 v6, v0, s16
	v_dual_mov_b32 v31, v3 :: v_dual_mov_b32 v33, v3
	v_dual_mov_b32 v39, v3 :: v_dual_mov_b32 v41, v3
	;; [unrolled: 1-line block ×3, first 2 shown]
	v_mul_u64_e32 v[22:23], s[40:41], v[2:3]
	s_delay_alu instid0(VALU_DEP_4) | instskip(NEXT) | instid1(VALU_DEP_4)
	v_mul_u64_e32 v[32:33], s[40:41], v[32:33]
	v_mul_u64_e32 v[40:41], s[40:41], v[40:41]
	s_delay_alu instid0(VALU_DEP_4)
	v_mul_u64_e32 v[44:45], s[40:41], v[44:45]
	v_mul_u64_e32 v[46:47], s[40:41], v[46:47]
	v_dual_mov_b32 v9, v3 :: v_dual_bitop2_b32 v76, 32, v0 bitop3:0x54
	s_wait_kmcnt 0x0
	s_cmp_eq_u32 s10, 0
	v_dual_mov_b32 v11, v3 :: v_dual_bitop2_b32 v77, 64, v0 bitop3:0x54
	s_cselect_b32 s0, -1, 0
	s_lshl_b32 s91, s16, 5
	s_delay_alu instid0(SALU_CYCLE_1)
	v_dual_mov_b32 v17, v3 :: v_dual_add_nc_u32 v8, s91, v6
	v_mov_b32_e32 v19, v3
	v_or_b32_e32 v78, 0x60, v0
	v_or_b32_e32 v79, 0x80, v0
	;; [unrolled: 1-line block ×3, first 2 shown]
	v_dual_mov_b32 v25, v3 :: v_dual_add_nc_u32 v10, s91, v8
	v_or_b32_e32 v81, 0xc0, v0
	v_or_b32_e32 v82, 0xe0, v0
	v_cmp_gt_i32_e32 vcc_lo, s16, v0
	s_delay_alu instid0(VALU_DEP_4)
	v_add_nc_u32_e32 v12, s91, v10
	v_mul_u64_e32 v[24:25], s[40:41], v[24:25]
	v_cmp_gt_i32_e64 s1, s16, v76
	v_cmp_gt_i32_e64 s10, s16, v77
	;; [unrolled: 1-line block ×3, first 2 shown]
	v_add_nc_u32_e32 v14, s91, v12
	v_cmp_gt_i32_e64 s12, s16, v79
	v_cmp_gt_i32_e64 s13, s16, v80
	v_dual_mov_b32 v29, v3 :: v_dual_add_nc_u32 v26, s91, v4
	s_delay_alu instid0(VALU_DEP_4) | instskip(SKIP_2) | instid1(VALU_DEP_4)
	v_add_nc_u32_e32 v16, s91, v14
	v_cmp_gt_i32_e64 s14, s16, v81
	v_cmp_gt_i32_e64 s15, s16, v82
	v_add_nc_u32_e32 v30, s91, v26
	v_mul_u64_e32 v[28:29], s[40:41], v[28:29]
	v_dual_mov_b32 v27, v3 :: v_dual_add_nc_u32 v18, s91, v16
	v_dual_mov_b32 v1, v3 :: v_dual_mov_b32 v7, v3
	s_delay_alu instid0(VALU_DEP_4) | instskip(SKIP_1) | instid1(VALU_DEP_2)
	v_dual_mov_b32 v35, v3 :: v_dual_add_nc_u32 v34, s91, v30
	v_dual_mov_b32 v37, v3 :: v_dual_mov_b32 v13, v3
	v_dual_mov_b32 v15, v3 :: v_dual_add_nc_u32 v38, s91, v34
	v_dual_mov_b32 v21, v3 :: v_dual_mov_b32 v5, v3
	s_delay_alu instid0(VALU_DEP_3) | instskip(NEXT) | instid1(VALU_DEP_3)
	v_mul_u64_e32 v[36:37], s[40:41], v[36:37]
	v_dual_mov_b32 v43, v3 :: v_dual_add_nc_u32 v42, s91, v38
	v_add_nc_u32_e32 v20, s91, v18
	v_lshlrev_b32_e32 v2, 3, v2
	s_and_b32 s17, s2, vcc_lo
	s_delay_alu instid0(VALU_DEP_3) | instskip(SKIP_3) | instid1(VALU_DEP_1)
	v_dual_mov_b32 v49, v3 :: v_dual_add_nc_u32 v48, s91, v42
	s_and_b32 s21, s2, s1
	s_and_b32 s23, s2, s10
	;; [unrolled: 1-line block ×3, first 2 shown]
	v_dual_mov_b32 v51, v3 :: v_dual_add_nc_u32 v50, s91, v48
	s_and_b32 s42, s2, s12
	s_and_b32 s43, s2, s13
	s_and_b32 s44, s2, s14
	s_and_b32 s45, s2, s15
	s_and_b32 s46, s3, vcc_lo
	s_and_b32 s47, s3, s1
	s_and_b32 s48, s3, s10
	s_and_b32 s49, s3, s11
	s_and_b32 s50, s3, s12
	s_and_b32 s51, s3, s13
	s_and_b32 s52, s3, s14
	s_and_b32 s53, s3, s15
	s_and_b32 s54, s4, vcc_lo
	s_and_b32 s55, s4, s1
	s_and_b32 s56, s4, s10
	s_and_b32 s57, s4, s11
	;; [unrolled: 8-line block ×7, first 2 shown]
	s_and_b32 s12, s9, s12
	s_and_b32 s13, s9, s13
	;; [unrolled: 1-line block ×4, first 2 shown]
	s_mov_b64 s[2:3], s[24:25]
	s_branch .LBB233_21
.LBB233_20:                             ;   in Loop: Header=BB233_21 Depth=1
	s_wait_xcnt 0x0
	s_or_b32 exec_lo, exec_lo, s4
	s_add_nc_u64 s[2:3], s[2:3], 1
	s_delay_alu instid0(SALU_CYCLE_1)
	v_cmp_ge_i64_e64 s4, s[2:3], s[26:27]
	s_and_b32 vcc_lo, exec_lo, s4
	s_cbranch_vccnz .LBB233_149
.LBB233_21:                             ; =>This Inner Loop Header: Depth=1
	s_sub_nc_u64 s[4:5], s[2:3], s[24:25]
	s_lshl_b64 s[6:7], s[2:3], 2
	v_add_nc_u64_e32 v[52:53], s[4:5], v[22:23]
	s_add_nc_u64 s[6:7], s[30:31], s[6:7]
	s_load_b32 s15, s[6:7], 0x0
	s_wait_xcnt 0x0
	s_mul_u64 s[6:7], s[2:3], s[18:19]
	s_delay_alu instid0(SALU_CYCLE_1) | instskip(NEXT) | instid1(VALU_DEP_1)
	s_lshl_b64 s[6:7], s[6:7], 3
	v_mad_nc_u64_u32 v[54:55], v52, s16, s[28:29]
	s_add_nc_u64 s[6:7], s[36:37], s[6:7]
	s_delay_alu instid0(SALU_CYCLE_1) | instskip(SKIP_1) | instid1(VALU_DEP_3)
	v_add_nc_u64_e32 v[56:57], s[6:7], v[2:3]
	v_lshl_add_u64 v[74:75], v[4:5], 3, s[6:7]
	v_mad_u32 v55, v53, s16, v55
	s_wait_kmcnt 0x0
	s_sub_co_i32 s15, s15, s22
	s_delay_alu instid0(SALU_CYCLE_1) | instskip(NEXT) | instid1(SALU_CYCLE_1)
	s_mul_i32 s15, s15, s16
	s_add_co_i32 s15, s15, s20
	s_delay_alu instid0(SALU_CYCLE_1) | instskip(NEXT) | instid1(VALU_DEP_2)
	v_add_nc_u32_e32 v83, s15, v0
	v_add_nc_u64_e32 v[52:53], v[54:55], v[0:1]
	v_lshl_add_u64 v[54:55], v[6:7], 3, v[56:57]
	s_delay_alu instid0(VALU_DEP_2)
	v_lshl_add_u64 v[70:71], v[52:53], 2, s[38:39]
	v_lshl_add_u64 v[72:73], v[52:53], 3, s[34:35]
	v_lshlrev_b32_e32 v52, 3, v0
	s_and_saveexec_b32 s92, s17
	s_cbranch_execz .LBB233_23
; %bb.22:                               ;   in Loop: Header=BB233_21 Depth=1
	v_mov_b32_e32 v53, v3
	s_delay_alu instid0(VALU_DEP_1) | instskip(NEXT) | instid1(VALU_DEP_1)
	v_add_nc_u64_e32 v[58:59], v[74:75], v[52:53]
	v_dual_cndmask_b32 v59, v55, v59, s0 :: v_dual_cndmask_b32 v58, v54, v58, s0
	global_load_b64 v[58:59], v[58:59], off
	global_store_b32 v[70:71], v83, off
	s_wait_loadcnt 0x0
	global_store_b64 v[72:73], v[58:59], off
.LBB233_23:                             ;   in Loop: Header=BB233_21 Depth=1
	s_wait_xcnt 0x0
	s_or_b32 exec_lo, exec_lo, s92
	v_add_nc_u32_e32 v84, s15, v76
	v_lshl_add_u64 v[68:69], v[8:9], 3, v[56:57]
	s_and_saveexec_b32 s92, s21
	s_cbranch_execz .LBB233_25
; %bb.24:                               ;   in Loop: Header=BB233_21 Depth=1
	v_mov_b32_e32 v53, v3
	s_delay_alu instid0(VALU_DEP_1) | instskip(NEXT) | instid1(VALU_DEP_1)
	v_add_nc_u64_e32 v[58:59], v[74:75], v[52:53]
	v_add_nc_u64_e32 v[58:59], 0x100, v[58:59]
	s_delay_alu instid0(VALU_DEP_1)
	v_dual_cndmask_b32 v59, v69, v59, s0 :: v_dual_cndmask_b32 v58, v68, v58, s0
	global_load_b64 v[58:59], v[58:59], off
	global_store_b32 v[70:71], v84, off offset:128
	s_wait_loadcnt 0x0
	global_store_b64 v[72:73], v[58:59], off offset:256
.LBB233_25:                             ;   in Loop: Header=BB233_21 Depth=1
	s_wait_xcnt 0x0
	s_or_b32 exec_lo, exec_lo, s92
	v_add_nc_u32_e32 v85, s15, v77
	v_lshl_add_u64 v[66:67], v[10:11], 3, v[56:57]
	s_and_saveexec_b32 s92, s23
	s_cbranch_execz .LBB233_27
; %bb.26:                               ;   in Loop: Header=BB233_21 Depth=1
	v_mov_b32_e32 v53, v3
	s_delay_alu instid0(VALU_DEP_1) | instskip(NEXT) | instid1(VALU_DEP_1)
	v_add_nc_u64_e32 v[58:59], v[74:75], v[52:53]
	v_add_nc_u64_e32 v[58:59], 0x200, v[58:59]
	s_delay_alu instid0(VALU_DEP_1)
	v_dual_cndmask_b32 v59, v67, v59, s0 :: v_dual_cndmask_b32 v58, v66, v58, s0
	global_load_b64 v[58:59], v[58:59], off
	global_store_b32 v[70:71], v85, off offset:256
	s_wait_loadcnt 0x0
	global_store_b64 v[72:73], v[58:59], off offset:512
.LBB233_27:                             ;   in Loop: Header=BB233_21 Depth=1
	;; [unrolled: 18-line block ×7, first 2 shown]
	s_wait_xcnt 0x0
	s_or_b32 exec_lo, exec_lo, s15
	v_add_nc_u64_e32 v[70:71], s[4:5], v[24:25]
	v_lshl_add_u64 v[74:75], v[26:27], 3, s[6:7]
	s_delay_alu instid0(VALU_DEP_2) | instskip(NEXT) | instid1(VALU_DEP_1)
	v_mad_nc_u64_u32 v[72:73], v70, s16, s[28:29]
	v_mad_u32 v73, v71, s16, v73
	s_delay_alu instid0(VALU_DEP_1) | instskip(NEXT) | instid1(VALU_DEP_1)
	v_add_nc_u64_e32 v[72:73], v[72:73], v[0:1]
	v_lshl_add_u64 v[70:71], v[72:73], 2, s[38:39]
	v_lshl_add_u64 v[72:73], v[72:73], 3, s[34:35]
	s_and_saveexec_b32 s15, s46
	s_cbranch_execnz .LBB233_99
; %bb.38:                               ;   in Loop: Header=BB233_21 Depth=1
	s_or_b32 exec_lo, exec_lo, s15
	s_and_saveexec_b32 s15, s47
	s_cbranch_execnz .LBB233_100
.LBB233_39:                             ;   in Loop: Header=BB233_21 Depth=1
	s_or_b32 exec_lo, exec_lo, s15
	s_and_saveexec_b32 s15, s48
	s_cbranch_execnz .LBB233_101
.LBB233_40:                             ;   in Loop: Header=BB233_21 Depth=1
	s_or_b32 exec_lo, exec_lo, s15
	s_and_saveexec_b32 s15, s49
	s_cbranch_execnz .LBB233_102
.LBB233_41:                             ;   in Loop: Header=BB233_21 Depth=1
	s_or_b32 exec_lo, exec_lo, s15
	s_and_saveexec_b32 s15, s50
	s_cbranch_execnz .LBB233_103
.LBB233_42:                             ;   in Loop: Header=BB233_21 Depth=1
	s_or_b32 exec_lo, exec_lo, s15
	s_and_saveexec_b32 s15, s51
	s_cbranch_execnz .LBB233_104
.LBB233_43:                             ;   in Loop: Header=BB233_21 Depth=1
	s_or_b32 exec_lo, exec_lo, s15
	s_and_saveexec_b32 s15, s52
	s_cbranch_execnz .LBB233_105
.LBB233_44:                             ;   in Loop: Header=BB233_21 Depth=1
	s_or_b32 exec_lo, exec_lo, s15
	s_and_saveexec_b32 s15, s53
	s_cbranch_execz .LBB233_46
.LBB233_45:                             ;   in Loop: Header=BB233_21 Depth=1
	v_add_nc_u64_e32 v[92:93], 0x100, v[56:57]
	v_mov_b32_e32 v53, v3
	s_delay_alu instid0(VALU_DEP_1) | instskip(NEXT) | instid1(VALU_DEP_1)
	v_add_nc_u64_e32 v[74:75], v[74:75], v[52:53]
	v_add_nc_u64_e32 v[74:75], 0x700, v[74:75]
	s_delay_alu instid0(VALU_DEP_1)
	v_dual_cndmask_b32 v75, v93, v75, s0 :: v_dual_cndmask_b32 v74, v92, v74, s0
	global_load_b64 v[74:75], v[74:75], off
	global_store_b32 v[70:71], v90, off offset:896
	s_wait_loadcnt 0x0
	global_store_b64 v[72:73], v[74:75], off offset:1792
.LBB233_46:                             ;   in Loop: Header=BB233_21 Depth=1
	s_wait_xcnt 0x0
	s_or_b32 exec_lo, exec_lo, s15
	v_add_nc_u64_e32 v[70:71], s[4:5], v[28:29]
	v_lshl_add_u64 v[74:75], v[30:31], 3, s[6:7]
	s_delay_alu instid0(VALU_DEP_2) | instskip(NEXT) | instid1(VALU_DEP_1)
	v_mad_nc_u64_u32 v[72:73], v70, s16, s[28:29]
	v_mad_u32 v73, v71, s16, v73
	s_delay_alu instid0(VALU_DEP_1) | instskip(NEXT) | instid1(VALU_DEP_1)
	v_add_nc_u64_e32 v[72:73], v[72:73], v[0:1]
	v_lshl_add_u64 v[70:71], v[72:73], 2, s[38:39]
	v_lshl_add_u64 v[72:73], v[72:73], 3, s[34:35]
	s_and_saveexec_b32 s15, s54
	s_cbranch_execnz .LBB233_106
; %bb.47:                               ;   in Loop: Header=BB233_21 Depth=1
	s_or_b32 exec_lo, exec_lo, s15
	s_and_saveexec_b32 s15, s55
	s_cbranch_execnz .LBB233_107
.LBB233_48:                             ;   in Loop: Header=BB233_21 Depth=1
	s_or_b32 exec_lo, exec_lo, s15
	s_and_saveexec_b32 s15, s56
	s_cbranch_execnz .LBB233_108
.LBB233_49:                             ;   in Loop: Header=BB233_21 Depth=1
	s_or_b32 exec_lo, exec_lo, s15
	s_and_saveexec_b32 s15, s57
	s_cbranch_execnz .LBB233_109
.LBB233_50:                             ;   in Loop: Header=BB233_21 Depth=1
	s_or_b32 exec_lo, exec_lo, s15
	s_and_saveexec_b32 s15, s58
	s_cbranch_execnz .LBB233_110
.LBB233_51:                             ;   in Loop: Header=BB233_21 Depth=1
	s_or_b32 exec_lo, exec_lo, s15
	s_and_saveexec_b32 s15, s59
	s_cbranch_execnz .LBB233_111
.LBB233_52:                             ;   in Loop: Header=BB233_21 Depth=1
	s_or_b32 exec_lo, exec_lo, s15
	s_and_saveexec_b32 s15, s60
	s_cbranch_execnz .LBB233_112
.LBB233_53:                             ;   in Loop: Header=BB233_21 Depth=1
	s_or_b32 exec_lo, exec_lo, s15
	s_and_saveexec_b32 s15, s61
	s_cbranch_execz .LBB233_55
.LBB233_54:                             ;   in Loop: Header=BB233_21 Depth=1
	v_add_nc_u64_e32 v[92:93], 0x200, v[56:57]
	v_mov_b32_e32 v53, v3
	s_delay_alu instid0(VALU_DEP_1) | instskip(NEXT) | instid1(VALU_DEP_1)
	v_add_nc_u64_e32 v[74:75], v[74:75], v[52:53]
	v_add_nc_u64_e32 v[74:75], 0x700, v[74:75]
	s_delay_alu instid0(VALU_DEP_1)
	v_dual_cndmask_b32 v75, v93, v75, s0 :: v_dual_cndmask_b32 v74, v92, v74, s0
	global_load_b64 v[74:75], v[74:75], off
	global_store_b32 v[70:71], v90, off offset:896
	s_wait_loadcnt 0x0
	global_store_b64 v[72:73], v[74:75], off offset:1792
.LBB233_55:                             ;   in Loop: Header=BB233_21 Depth=1
	s_wait_xcnt 0x0
	s_or_b32 exec_lo, exec_lo, s15
	v_add_nc_u64_e32 v[70:71], s[4:5], v[32:33]
	v_lshl_add_u64 v[74:75], v[34:35], 3, s[6:7]
	s_delay_alu instid0(VALU_DEP_2) | instskip(NEXT) | instid1(VALU_DEP_1)
	v_mad_nc_u64_u32 v[72:73], v70, s16, s[28:29]
	v_mad_u32 v73, v71, s16, v73
	s_delay_alu instid0(VALU_DEP_1) | instskip(NEXT) | instid1(VALU_DEP_1)
	v_add_nc_u64_e32 v[72:73], v[72:73], v[0:1]
	v_lshl_add_u64 v[70:71], v[72:73], 2, s[38:39]
	v_lshl_add_u64 v[72:73], v[72:73], 3, s[34:35]
	s_and_saveexec_b32 s15, s62
	s_cbranch_execnz .LBB233_113
; %bb.56:                               ;   in Loop: Header=BB233_21 Depth=1
	s_or_b32 exec_lo, exec_lo, s15
	s_and_saveexec_b32 s15, s63
	s_cbranch_execnz .LBB233_114
.LBB233_57:                             ;   in Loop: Header=BB233_21 Depth=1
	s_or_b32 exec_lo, exec_lo, s15
	s_and_saveexec_b32 s15, s64
	s_cbranch_execnz .LBB233_115
.LBB233_58:                             ;   in Loop: Header=BB233_21 Depth=1
	s_or_b32 exec_lo, exec_lo, s15
	s_and_saveexec_b32 s15, s65
	s_cbranch_execnz .LBB233_116
.LBB233_59:                             ;   in Loop: Header=BB233_21 Depth=1
	s_or_b32 exec_lo, exec_lo, s15
	s_and_saveexec_b32 s15, s66
	s_cbranch_execnz .LBB233_117
.LBB233_60:                             ;   in Loop: Header=BB233_21 Depth=1
	s_or_b32 exec_lo, exec_lo, s15
	s_and_saveexec_b32 s15, s67
	s_cbranch_execnz .LBB233_118
.LBB233_61:                             ;   in Loop: Header=BB233_21 Depth=1
	s_or_b32 exec_lo, exec_lo, s15
	s_and_saveexec_b32 s15, s68
	s_cbranch_execnz .LBB233_119
.LBB233_62:                             ;   in Loop: Header=BB233_21 Depth=1
	s_or_b32 exec_lo, exec_lo, s15
	s_and_saveexec_b32 s15, s69
	s_cbranch_execz .LBB233_64
.LBB233_63:                             ;   in Loop: Header=BB233_21 Depth=1
	v_add_nc_u64_e32 v[92:93], 0x300, v[56:57]
	v_mov_b32_e32 v53, v3
	s_delay_alu instid0(VALU_DEP_1) | instskip(NEXT) | instid1(VALU_DEP_1)
	v_add_nc_u64_e32 v[74:75], v[74:75], v[52:53]
	v_add_nc_u64_e32 v[74:75], 0x700, v[74:75]
	s_delay_alu instid0(VALU_DEP_1)
	v_dual_cndmask_b32 v75, v93, v75, s0 :: v_dual_cndmask_b32 v74, v92, v74, s0
	global_load_b64 v[74:75], v[74:75], off
	global_store_b32 v[70:71], v90, off offset:896
	s_wait_loadcnt 0x0
	global_store_b64 v[72:73], v[74:75], off offset:1792
.LBB233_64:                             ;   in Loop: Header=BB233_21 Depth=1
	s_wait_xcnt 0x0
	s_or_b32 exec_lo, exec_lo, s15
	v_add_nc_u64_e32 v[70:71], s[4:5], v[36:37]
	v_lshl_add_u64 v[74:75], v[38:39], 3, s[6:7]
	s_delay_alu instid0(VALU_DEP_2) | instskip(NEXT) | instid1(VALU_DEP_1)
	v_mad_nc_u64_u32 v[72:73], v70, s16, s[28:29]
	v_mad_u32 v73, v71, s16, v73
	s_delay_alu instid0(VALU_DEP_1) | instskip(NEXT) | instid1(VALU_DEP_1)
	v_add_nc_u64_e32 v[72:73], v[72:73], v[0:1]
	v_lshl_add_u64 v[70:71], v[72:73], 2, s[38:39]
	v_lshl_add_u64 v[72:73], v[72:73], 3, s[34:35]
	s_and_saveexec_b32 s15, s70
	s_cbranch_execnz .LBB233_120
; %bb.65:                               ;   in Loop: Header=BB233_21 Depth=1
	s_or_b32 exec_lo, exec_lo, s15
	s_and_saveexec_b32 s15, s71
	s_cbranch_execnz .LBB233_121
.LBB233_66:                             ;   in Loop: Header=BB233_21 Depth=1
	s_or_b32 exec_lo, exec_lo, s15
	s_and_saveexec_b32 s15, s72
	s_cbranch_execnz .LBB233_122
.LBB233_67:                             ;   in Loop: Header=BB233_21 Depth=1
	s_or_b32 exec_lo, exec_lo, s15
	s_and_saveexec_b32 s15, s73
	s_cbranch_execnz .LBB233_123
.LBB233_68:                             ;   in Loop: Header=BB233_21 Depth=1
	s_or_b32 exec_lo, exec_lo, s15
	s_and_saveexec_b32 s15, s74
	s_cbranch_execnz .LBB233_124
.LBB233_69:                             ;   in Loop: Header=BB233_21 Depth=1
	s_or_b32 exec_lo, exec_lo, s15
	s_and_saveexec_b32 s15, s75
	s_cbranch_execnz .LBB233_125
.LBB233_70:                             ;   in Loop: Header=BB233_21 Depth=1
	s_or_b32 exec_lo, exec_lo, s15
	s_and_saveexec_b32 s15, s76
	s_cbranch_execnz .LBB233_126
.LBB233_71:                             ;   in Loop: Header=BB233_21 Depth=1
	s_or_b32 exec_lo, exec_lo, s15
	s_and_saveexec_b32 s15, s8
	s_cbranch_execz .LBB233_73
.LBB233_72:                             ;   in Loop: Header=BB233_21 Depth=1
	v_add_nc_u64_e32 v[92:93], 0x400, v[56:57]
	v_mov_b32_e32 v53, v3
	s_delay_alu instid0(VALU_DEP_1) | instskip(NEXT) | instid1(VALU_DEP_1)
	v_add_nc_u64_e32 v[74:75], v[74:75], v[52:53]
	v_add_nc_u64_e32 v[74:75], 0x700, v[74:75]
	s_delay_alu instid0(VALU_DEP_1)
	v_dual_cndmask_b32 v75, v93, v75, s0 :: v_dual_cndmask_b32 v74, v92, v74, s0
	global_load_b64 v[74:75], v[74:75], off
	global_store_b32 v[70:71], v90, off offset:896
	s_wait_loadcnt 0x0
	global_store_b64 v[72:73], v[74:75], off offset:1792
.LBB233_73:                             ;   in Loop: Header=BB233_21 Depth=1
	s_wait_xcnt 0x0
	s_or_b32 exec_lo, exec_lo, s15
	v_add_nc_u64_e32 v[70:71], s[4:5], v[40:41]
	v_lshl_add_u64 v[74:75], v[42:43], 3, s[6:7]
	s_delay_alu instid0(VALU_DEP_2) | instskip(NEXT) | instid1(VALU_DEP_1)
	v_mad_nc_u64_u32 v[72:73], v70, s16, s[28:29]
	v_mad_u32 v73, v71, s16, v73
	s_delay_alu instid0(VALU_DEP_1) | instskip(NEXT) | instid1(VALU_DEP_1)
	v_add_nc_u64_e32 v[72:73], v[72:73], v[0:1]
	v_lshl_add_u64 v[70:71], v[72:73], 2, s[38:39]
	v_lshl_add_u64 v[72:73], v[72:73], 3, s[34:35]
	s_and_saveexec_b32 s15, s40
	s_cbranch_execnz .LBB233_127
; %bb.74:                               ;   in Loop: Header=BB233_21 Depth=1
	s_or_b32 exec_lo, exec_lo, s15
	s_and_saveexec_b32 s15, s41
	s_cbranch_execnz .LBB233_128
.LBB233_75:                             ;   in Loop: Header=BB233_21 Depth=1
	s_or_b32 exec_lo, exec_lo, s15
	s_and_saveexec_b32 s15, s77
	s_cbranch_execnz .LBB233_129
.LBB233_76:                             ;   in Loop: Header=BB233_21 Depth=1
	s_or_b32 exec_lo, exec_lo, s15
	s_and_saveexec_b32 s15, s78
	s_cbranch_execnz .LBB233_130
.LBB233_77:                             ;   in Loop: Header=BB233_21 Depth=1
	s_or_b32 exec_lo, exec_lo, s15
	s_and_saveexec_b32 s15, s79
	s_cbranch_execnz .LBB233_131
.LBB233_78:                             ;   in Loop: Header=BB233_21 Depth=1
	s_or_b32 exec_lo, exec_lo, s15
	s_and_saveexec_b32 s15, s80
	s_cbranch_execnz .LBB233_132
.LBB233_79:                             ;   in Loop: Header=BB233_21 Depth=1
	s_or_b32 exec_lo, exec_lo, s15
	s_and_saveexec_b32 s15, s81
	s_cbranch_execnz .LBB233_133
.LBB233_80:                             ;   in Loop: Header=BB233_21 Depth=1
	s_or_b32 exec_lo, exec_lo, s15
	s_and_saveexec_b32 s15, s82
	s_cbranch_execz .LBB233_82
.LBB233_81:                             ;   in Loop: Header=BB233_21 Depth=1
	v_add_nc_u64_e32 v[92:93], 0x500, v[56:57]
	v_mov_b32_e32 v53, v3
	s_delay_alu instid0(VALU_DEP_1) | instskip(NEXT) | instid1(VALU_DEP_1)
	v_add_nc_u64_e32 v[74:75], v[74:75], v[52:53]
	v_add_nc_u64_e32 v[74:75], 0x700, v[74:75]
	s_delay_alu instid0(VALU_DEP_1)
	v_dual_cndmask_b32 v75, v93, v75, s0 :: v_dual_cndmask_b32 v74, v92, v74, s0
	global_load_b64 v[74:75], v[74:75], off
	global_store_b32 v[70:71], v90, off offset:896
	s_wait_loadcnt 0x0
	global_store_b64 v[72:73], v[74:75], off offset:1792
.LBB233_82:                             ;   in Loop: Header=BB233_21 Depth=1
	s_wait_xcnt 0x0
	s_or_b32 exec_lo, exec_lo, s15
	v_add_nc_u64_e32 v[70:71], s[4:5], v[44:45]
	v_lshl_add_u64 v[74:75], v[48:49], 3, s[6:7]
	s_delay_alu instid0(VALU_DEP_2) | instskip(NEXT) | instid1(VALU_DEP_1)
	v_mad_nc_u64_u32 v[72:73], v70, s16, s[28:29]
	v_mad_u32 v73, v71, s16, v73
	s_delay_alu instid0(VALU_DEP_1) | instskip(NEXT) | instid1(VALU_DEP_1)
	v_add_nc_u64_e32 v[72:73], v[72:73], v[0:1]
	v_lshl_add_u64 v[70:71], v[72:73], 2, s[38:39]
	v_lshl_add_u64 v[72:73], v[72:73], 3, s[34:35]
	s_and_saveexec_b32 s15, s83
	s_cbranch_execnz .LBB233_134
; %bb.83:                               ;   in Loop: Header=BB233_21 Depth=1
	s_or_b32 exec_lo, exec_lo, s15
	s_and_saveexec_b32 s15, s84
	s_cbranch_execnz .LBB233_135
.LBB233_84:                             ;   in Loop: Header=BB233_21 Depth=1
	s_or_b32 exec_lo, exec_lo, s15
	s_and_saveexec_b32 s15, s85
	s_cbranch_execnz .LBB233_136
.LBB233_85:                             ;   in Loop: Header=BB233_21 Depth=1
	s_or_b32 exec_lo, exec_lo, s15
	s_and_saveexec_b32 s15, s86
	s_cbranch_execnz .LBB233_137
.LBB233_86:                             ;   in Loop: Header=BB233_21 Depth=1
	s_or_b32 exec_lo, exec_lo, s15
	s_and_saveexec_b32 s15, s87
	s_cbranch_execnz .LBB233_138
.LBB233_87:                             ;   in Loop: Header=BB233_21 Depth=1
	s_or_b32 exec_lo, exec_lo, s15
	s_and_saveexec_b32 s15, s88
	s_cbranch_execnz .LBB233_139
.LBB233_88:                             ;   in Loop: Header=BB233_21 Depth=1
	s_or_b32 exec_lo, exec_lo, s15
	s_and_saveexec_b32 s15, s89
	s_cbranch_execnz .LBB233_140
.LBB233_89:                             ;   in Loop: Header=BB233_21 Depth=1
	s_or_b32 exec_lo, exec_lo, s15
	s_and_saveexec_b32 s15, s90
	s_cbranch_execz .LBB233_91
.LBB233_90:                             ;   in Loop: Header=BB233_21 Depth=1
	v_add_nc_u64_e32 v[92:93], 0x600, v[56:57]
	v_mov_b32_e32 v53, v3
	s_delay_alu instid0(VALU_DEP_1) | instskip(NEXT) | instid1(VALU_DEP_1)
	v_add_nc_u64_e32 v[74:75], v[74:75], v[52:53]
	v_add_nc_u64_e32 v[74:75], 0x700, v[74:75]
	s_delay_alu instid0(VALU_DEP_1)
	v_dual_cndmask_b32 v75, v93, v75, s0 :: v_dual_cndmask_b32 v74, v92, v74, s0
	global_load_b64 v[74:75], v[74:75], off
	global_store_b32 v[70:71], v90, off offset:896
	s_wait_loadcnt 0x0
	global_store_b64 v[72:73], v[74:75], off offset:1792
.LBB233_91:                             ;   in Loop: Header=BB233_21 Depth=1
	s_wait_xcnt 0x0
	s_or_b32 exec_lo, exec_lo, s15
	v_add_nc_u64_e32 v[70:71], s[4:5], v[46:47]
	v_lshl_add_u64 v[74:75], v[50:51], 3, s[6:7]
	s_delay_alu instid0(VALU_DEP_2) | instskip(NEXT) | instid1(VALU_DEP_1)
	v_mad_nc_u64_u32 v[72:73], v70, s16, s[28:29]
	v_mad_u32 v73, v71, s16, v73
	s_delay_alu instid0(VALU_DEP_1) | instskip(NEXT) | instid1(VALU_DEP_1)
	v_add_nc_u64_e32 v[72:73], v[72:73], v[0:1]
	v_lshl_add_u64 v[70:71], v[72:73], 2, s[38:39]
	v_lshl_add_u64 v[72:73], v[72:73], 3, s[34:35]
	s_and_saveexec_b32 s4, s91
	s_cbranch_execnz .LBB233_141
; %bb.92:                               ;   in Loop: Header=BB233_21 Depth=1
	s_or_b32 exec_lo, exec_lo, s4
	s_and_saveexec_b32 s4, s1
	s_cbranch_execnz .LBB233_142
.LBB233_93:                             ;   in Loop: Header=BB233_21 Depth=1
	s_or_b32 exec_lo, exec_lo, s4
	s_and_saveexec_b32 s4, s10
	s_cbranch_execnz .LBB233_143
.LBB233_94:                             ;   in Loop: Header=BB233_21 Depth=1
	s_or_b32 exec_lo, exec_lo, s4
	s_and_saveexec_b32 s4, s11
	s_cbranch_execnz .LBB233_144
.LBB233_95:                             ;   in Loop: Header=BB233_21 Depth=1
	s_or_b32 exec_lo, exec_lo, s4
	s_and_saveexec_b32 s4, s12
	s_cbranch_execnz .LBB233_145
.LBB233_96:                             ;   in Loop: Header=BB233_21 Depth=1
	s_or_b32 exec_lo, exec_lo, s4
	s_and_saveexec_b32 s4, s13
	s_cbranch_execnz .LBB233_146
.LBB233_97:                             ;   in Loop: Header=BB233_21 Depth=1
	s_or_b32 exec_lo, exec_lo, s4
	s_and_saveexec_b32 s4, s14
	s_cbranch_execnz .LBB233_147
.LBB233_98:                             ;   in Loop: Header=BB233_21 Depth=1
	s_or_b32 exec_lo, exec_lo, s4
	s_and_saveexec_b32 s4, s9
	s_cbranch_execz .LBB233_20
	s_branch .LBB233_148
.LBB233_99:                             ;   in Loop: Header=BB233_21 Depth=1
	v_add_nc_u64_e32 v[92:93], 0x100, v[54:55]
	v_mov_b32_e32 v53, v3
	s_delay_alu instid0(VALU_DEP_1) | instskip(NEXT) | instid1(VALU_DEP_1)
	v_add_nc_u64_e32 v[94:95], v[74:75], v[52:53]
	v_dual_cndmask_b32 v93, v93, v95, s0 :: v_dual_cndmask_b32 v92, v92, v94, s0
	global_load_b64 v[92:93], v[92:93], off
	global_store_b32 v[70:71], v83, off
	s_wait_loadcnt 0x0
	global_store_b64 v[72:73], v[92:93], off
	s_wait_xcnt 0x0
	s_or_b32 exec_lo, exec_lo, s15
	s_and_saveexec_b32 s15, s47
	s_cbranch_execz .LBB233_39
.LBB233_100:                            ;   in Loop: Header=BB233_21 Depth=1
	v_mov_b32_e32 v53, v3
	s_delay_alu instid0(VALU_DEP_1) | instskip(NEXT) | instid1(VALU_DEP_1)
	v_add_nc_u64_e32 v[92:93], v[74:75], v[52:53]
	v_dual_cndmask_b32 v93, v69, v93, s0 :: v_dual_cndmask_b32 v92, v68, v92, s0
	global_load_b64 v[92:93], v[92:93], off offset:256
	global_store_b32 v[70:71], v84, off offset:128
	s_wait_loadcnt 0x0
	global_store_b64 v[72:73], v[92:93], off offset:256
	s_wait_xcnt 0x0
	s_or_b32 exec_lo, exec_lo, s15
	s_and_saveexec_b32 s15, s48
	s_cbranch_execz .LBB233_40
.LBB233_101:                            ;   in Loop: Header=BB233_21 Depth=1
	v_add_nc_u64_e32 v[94:95], 0x100, v[66:67]
	v_mov_b32_e32 v53, v3
	s_delay_alu instid0(VALU_DEP_1) | instskip(NEXT) | instid1(VALU_DEP_1)
	v_add_nc_u64_e32 v[92:93], v[74:75], v[52:53]
	v_add_nc_u64_e32 v[92:93], 0x200, v[92:93]
	s_delay_alu instid0(VALU_DEP_1)
	v_dual_cndmask_b32 v93, v95, v93, s0 :: v_dual_cndmask_b32 v92, v94, v92, s0
	global_load_b64 v[92:93], v[92:93], off
	global_store_b32 v[70:71], v85, off offset:256
	s_wait_loadcnt 0x0
	global_store_b64 v[72:73], v[92:93], off offset:512
	s_wait_xcnt 0x0
	s_or_b32 exec_lo, exec_lo, s15
	s_and_saveexec_b32 s15, s49
	s_cbranch_execz .LBB233_41
.LBB233_102:                            ;   in Loop: Header=BB233_21 Depth=1
	v_add_nc_u64_e32 v[94:95], 0x100, v[64:65]
	v_mov_b32_e32 v53, v3
	s_delay_alu instid0(VALU_DEP_1) | instskip(NEXT) | instid1(VALU_DEP_1)
	v_add_nc_u64_e32 v[92:93], v[74:75], v[52:53]
	v_add_nc_u64_e32 v[92:93], 0x300, v[92:93]
	s_delay_alu instid0(VALU_DEP_1)
	v_dual_cndmask_b32 v93, v95, v93, s0 :: v_dual_cndmask_b32 v92, v94, v92, s0
	global_load_b64 v[92:93], v[92:93], off
	global_store_b32 v[70:71], v86, off offset:384
	s_wait_loadcnt 0x0
	global_store_b64 v[72:73], v[92:93], off offset:768
	s_wait_xcnt 0x0
	s_or_b32 exec_lo, exec_lo, s15
	s_and_saveexec_b32 s15, s50
	s_cbranch_execz .LBB233_42
.LBB233_103:                            ;   in Loop: Header=BB233_21 Depth=1
	v_add_nc_u64_e32 v[94:95], 0x100, v[62:63]
	v_mov_b32_e32 v53, v3
	s_delay_alu instid0(VALU_DEP_1) | instskip(NEXT) | instid1(VALU_DEP_1)
	v_add_nc_u64_e32 v[92:93], v[74:75], v[52:53]
	v_add_nc_u64_e32 v[92:93], 0x400, v[92:93]
	s_delay_alu instid0(VALU_DEP_1)
	v_dual_cndmask_b32 v93, v95, v93, s0 :: v_dual_cndmask_b32 v92, v94, v92, s0
	global_load_b64 v[92:93], v[92:93], off
	global_store_b32 v[70:71], v87, off offset:512
	s_wait_loadcnt 0x0
	global_store_b64 v[72:73], v[92:93], off offset:1024
	s_wait_xcnt 0x0
	s_or_b32 exec_lo, exec_lo, s15
	s_and_saveexec_b32 s15, s51
	s_cbranch_execz .LBB233_43
.LBB233_104:                            ;   in Loop: Header=BB233_21 Depth=1
	v_add_nc_u64_e32 v[94:95], 0x100, v[60:61]
	v_mov_b32_e32 v53, v3
	s_delay_alu instid0(VALU_DEP_1) | instskip(NEXT) | instid1(VALU_DEP_1)
	v_add_nc_u64_e32 v[92:93], v[74:75], v[52:53]
	v_add_nc_u64_e32 v[92:93], 0x500, v[92:93]
	s_delay_alu instid0(VALU_DEP_1)
	v_dual_cndmask_b32 v93, v95, v93, s0 :: v_dual_cndmask_b32 v92, v94, v92, s0
	global_load_b64 v[92:93], v[92:93], off
	global_store_b32 v[70:71], v88, off offset:640
	s_wait_loadcnt 0x0
	global_store_b64 v[72:73], v[92:93], off offset:1280
	s_wait_xcnt 0x0
	s_or_b32 exec_lo, exec_lo, s15
	s_and_saveexec_b32 s15, s52
	s_cbranch_execz .LBB233_44
.LBB233_105:                            ;   in Loop: Header=BB233_21 Depth=1
	v_add_nc_u64_e32 v[94:95], 0x100, v[58:59]
	v_mov_b32_e32 v53, v3
	s_delay_alu instid0(VALU_DEP_1) | instskip(NEXT) | instid1(VALU_DEP_1)
	v_add_nc_u64_e32 v[92:93], v[74:75], v[52:53]
	v_add_nc_u64_e32 v[92:93], 0x600, v[92:93]
	s_delay_alu instid0(VALU_DEP_1)
	v_dual_cndmask_b32 v93, v95, v93, s0 :: v_dual_cndmask_b32 v92, v94, v92, s0
	global_load_b64 v[92:93], v[92:93], off
	global_store_b32 v[70:71], v89, off offset:768
	s_wait_loadcnt 0x0
	global_store_b64 v[72:73], v[92:93], off offset:1536
	s_wait_xcnt 0x0
	s_or_b32 exec_lo, exec_lo, s15
	s_and_saveexec_b32 s15, s53
	s_cbranch_execnz .LBB233_45
	s_branch .LBB233_46
.LBB233_106:                            ;   in Loop: Header=BB233_21 Depth=1
	v_add_nc_u64_e32 v[92:93], 0x200, v[54:55]
	v_mov_b32_e32 v53, v3
	s_delay_alu instid0(VALU_DEP_1) | instskip(NEXT) | instid1(VALU_DEP_1)
	v_add_nc_u64_e32 v[94:95], v[74:75], v[52:53]
	v_dual_cndmask_b32 v93, v93, v95, s0 :: v_dual_cndmask_b32 v92, v92, v94, s0
	global_load_b64 v[92:93], v[92:93], off
	global_store_b32 v[70:71], v83, off
	s_wait_loadcnt 0x0
	global_store_b64 v[72:73], v[92:93], off
	s_wait_xcnt 0x0
	s_or_b32 exec_lo, exec_lo, s15
	s_and_saveexec_b32 s15, s55
	s_cbranch_execz .LBB233_48
.LBB233_107:                            ;   in Loop: Header=BB233_21 Depth=1
	v_add_nc_u64_e32 v[94:95], 0x200, v[68:69]
	v_mov_b32_e32 v53, v3
	s_delay_alu instid0(VALU_DEP_1) | instskip(NEXT) | instid1(VALU_DEP_1)
	v_add_nc_u64_e32 v[92:93], v[74:75], v[52:53]
	v_add_nc_u64_e32 v[92:93], 0x100, v[92:93]
	s_delay_alu instid0(VALU_DEP_1)
	v_dual_cndmask_b32 v93, v95, v93, s0 :: v_dual_cndmask_b32 v92, v94, v92, s0
	global_load_b64 v[92:93], v[92:93], off
	global_store_b32 v[70:71], v84, off offset:128
	s_wait_loadcnt 0x0
	global_store_b64 v[72:73], v[92:93], off offset:256
	s_wait_xcnt 0x0
	s_or_b32 exec_lo, exec_lo, s15
	s_and_saveexec_b32 s15, s56
	s_cbranch_execz .LBB233_49
.LBB233_108:                            ;   in Loop: Header=BB233_21 Depth=1
	v_mov_b32_e32 v53, v3
	s_delay_alu instid0(VALU_DEP_1) | instskip(NEXT) | instid1(VALU_DEP_1)
	v_add_nc_u64_e32 v[92:93], v[74:75], v[52:53]
	v_dual_cndmask_b32 v93, v67, v93, s0 :: v_dual_cndmask_b32 v92, v66, v92, s0
	global_load_b64 v[92:93], v[92:93], off offset:512
	global_store_b32 v[70:71], v85, off offset:256
	s_wait_loadcnt 0x0
	global_store_b64 v[72:73], v[92:93], off offset:512
	s_wait_xcnt 0x0
	s_or_b32 exec_lo, exec_lo, s15
	s_and_saveexec_b32 s15, s57
	s_cbranch_execz .LBB233_50
.LBB233_109:                            ;   in Loop: Header=BB233_21 Depth=1
	v_add_nc_u64_e32 v[94:95], 0x200, v[64:65]
	v_mov_b32_e32 v53, v3
	s_delay_alu instid0(VALU_DEP_1) | instskip(NEXT) | instid1(VALU_DEP_1)
	v_add_nc_u64_e32 v[92:93], v[74:75], v[52:53]
	v_add_nc_u64_e32 v[92:93], 0x300, v[92:93]
	s_delay_alu instid0(VALU_DEP_1)
	v_dual_cndmask_b32 v93, v95, v93, s0 :: v_dual_cndmask_b32 v92, v94, v92, s0
	global_load_b64 v[92:93], v[92:93], off
	global_store_b32 v[70:71], v86, off offset:384
	s_wait_loadcnt 0x0
	global_store_b64 v[72:73], v[92:93], off offset:768
	s_wait_xcnt 0x0
	s_or_b32 exec_lo, exec_lo, s15
	s_and_saveexec_b32 s15, s58
	s_cbranch_execz .LBB233_51
.LBB233_110:                            ;   in Loop: Header=BB233_21 Depth=1
	v_add_nc_u64_e32 v[94:95], 0x200, v[62:63]
	v_mov_b32_e32 v53, v3
	s_delay_alu instid0(VALU_DEP_1) | instskip(NEXT) | instid1(VALU_DEP_1)
	v_add_nc_u64_e32 v[92:93], v[74:75], v[52:53]
	v_add_nc_u64_e32 v[92:93], 0x400, v[92:93]
	s_delay_alu instid0(VALU_DEP_1)
	v_dual_cndmask_b32 v93, v95, v93, s0 :: v_dual_cndmask_b32 v92, v94, v92, s0
	global_load_b64 v[92:93], v[92:93], off
	global_store_b32 v[70:71], v87, off offset:512
	s_wait_loadcnt 0x0
	global_store_b64 v[72:73], v[92:93], off offset:1024
	s_wait_xcnt 0x0
	s_or_b32 exec_lo, exec_lo, s15
	s_and_saveexec_b32 s15, s59
	s_cbranch_execz .LBB233_52
.LBB233_111:                            ;   in Loop: Header=BB233_21 Depth=1
	v_add_nc_u64_e32 v[94:95], 0x200, v[60:61]
	v_mov_b32_e32 v53, v3
	s_delay_alu instid0(VALU_DEP_1) | instskip(NEXT) | instid1(VALU_DEP_1)
	v_add_nc_u64_e32 v[92:93], v[74:75], v[52:53]
	v_add_nc_u64_e32 v[92:93], 0x500, v[92:93]
	s_delay_alu instid0(VALU_DEP_1)
	v_dual_cndmask_b32 v93, v95, v93, s0 :: v_dual_cndmask_b32 v92, v94, v92, s0
	global_load_b64 v[92:93], v[92:93], off
	global_store_b32 v[70:71], v88, off offset:640
	s_wait_loadcnt 0x0
	global_store_b64 v[72:73], v[92:93], off offset:1280
	s_wait_xcnt 0x0
	s_or_b32 exec_lo, exec_lo, s15
	s_and_saveexec_b32 s15, s60
	s_cbranch_execz .LBB233_53
.LBB233_112:                            ;   in Loop: Header=BB233_21 Depth=1
	v_add_nc_u64_e32 v[94:95], 0x200, v[58:59]
	v_mov_b32_e32 v53, v3
	s_delay_alu instid0(VALU_DEP_1) | instskip(NEXT) | instid1(VALU_DEP_1)
	v_add_nc_u64_e32 v[92:93], v[74:75], v[52:53]
	v_add_nc_u64_e32 v[92:93], 0x600, v[92:93]
	s_delay_alu instid0(VALU_DEP_1)
	v_dual_cndmask_b32 v93, v95, v93, s0 :: v_dual_cndmask_b32 v92, v94, v92, s0
	global_load_b64 v[92:93], v[92:93], off
	global_store_b32 v[70:71], v89, off offset:768
	s_wait_loadcnt 0x0
	global_store_b64 v[72:73], v[92:93], off offset:1536
	s_wait_xcnt 0x0
	s_or_b32 exec_lo, exec_lo, s15
	s_and_saveexec_b32 s15, s61
	s_cbranch_execnz .LBB233_54
	s_branch .LBB233_55
.LBB233_113:                            ;   in Loop: Header=BB233_21 Depth=1
	v_add_nc_u64_e32 v[92:93], 0x300, v[54:55]
	v_mov_b32_e32 v53, v3
	s_delay_alu instid0(VALU_DEP_1) | instskip(NEXT) | instid1(VALU_DEP_1)
	v_add_nc_u64_e32 v[94:95], v[74:75], v[52:53]
	v_dual_cndmask_b32 v93, v93, v95, s0 :: v_dual_cndmask_b32 v92, v92, v94, s0
	global_load_b64 v[92:93], v[92:93], off
	global_store_b32 v[70:71], v83, off
	s_wait_loadcnt 0x0
	global_store_b64 v[72:73], v[92:93], off
	s_wait_xcnt 0x0
	s_or_b32 exec_lo, exec_lo, s15
	s_and_saveexec_b32 s15, s63
	s_cbranch_execz .LBB233_57
.LBB233_114:                            ;   in Loop: Header=BB233_21 Depth=1
	v_add_nc_u64_e32 v[94:95], 0x300, v[68:69]
	v_mov_b32_e32 v53, v3
	s_delay_alu instid0(VALU_DEP_1) | instskip(NEXT) | instid1(VALU_DEP_1)
	v_add_nc_u64_e32 v[92:93], v[74:75], v[52:53]
	v_add_nc_u64_e32 v[92:93], 0x100, v[92:93]
	s_delay_alu instid0(VALU_DEP_1)
	v_dual_cndmask_b32 v93, v95, v93, s0 :: v_dual_cndmask_b32 v92, v94, v92, s0
	global_load_b64 v[92:93], v[92:93], off
	global_store_b32 v[70:71], v84, off offset:128
	s_wait_loadcnt 0x0
	global_store_b64 v[72:73], v[92:93], off offset:256
	s_wait_xcnt 0x0
	s_or_b32 exec_lo, exec_lo, s15
	s_and_saveexec_b32 s15, s64
	s_cbranch_execz .LBB233_58
.LBB233_115:                            ;   in Loop: Header=BB233_21 Depth=1
	v_add_nc_u64_e32 v[94:95], 0x300, v[66:67]
	v_mov_b32_e32 v53, v3
	s_delay_alu instid0(VALU_DEP_1) | instskip(NEXT) | instid1(VALU_DEP_1)
	v_add_nc_u64_e32 v[92:93], v[74:75], v[52:53]
	v_add_nc_u64_e32 v[92:93], 0x200, v[92:93]
	s_delay_alu instid0(VALU_DEP_1)
	v_dual_cndmask_b32 v93, v95, v93, s0 :: v_dual_cndmask_b32 v92, v94, v92, s0
	global_load_b64 v[92:93], v[92:93], off
	global_store_b32 v[70:71], v85, off offset:256
	s_wait_loadcnt 0x0
	global_store_b64 v[72:73], v[92:93], off offset:512
	s_wait_xcnt 0x0
	s_or_b32 exec_lo, exec_lo, s15
	s_and_saveexec_b32 s15, s65
	s_cbranch_execz .LBB233_59
.LBB233_116:                            ;   in Loop: Header=BB233_21 Depth=1
	v_mov_b32_e32 v53, v3
	s_delay_alu instid0(VALU_DEP_1) | instskip(NEXT) | instid1(VALU_DEP_1)
	v_add_nc_u64_e32 v[92:93], v[74:75], v[52:53]
	v_dual_cndmask_b32 v93, v65, v93, s0 :: v_dual_cndmask_b32 v92, v64, v92, s0
	global_load_b64 v[92:93], v[92:93], off offset:768
	global_store_b32 v[70:71], v86, off offset:384
	s_wait_loadcnt 0x0
	global_store_b64 v[72:73], v[92:93], off offset:768
	s_wait_xcnt 0x0
	s_or_b32 exec_lo, exec_lo, s15
	s_and_saveexec_b32 s15, s66
	s_cbranch_execz .LBB233_60
.LBB233_117:                            ;   in Loop: Header=BB233_21 Depth=1
	v_add_nc_u64_e32 v[94:95], 0x300, v[62:63]
	v_mov_b32_e32 v53, v3
	s_delay_alu instid0(VALU_DEP_1) | instskip(NEXT) | instid1(VALU_DEP_1)
	v_add_nc_u64_e32 v[92:93], v[74:75], v[52:53]
	v_add_nc_u64_e32 v[92:93], 0x400, v[92:93]
	s_delay_alu instid0(VALU_DEP_1)
	v_dual_cndmask_b32 v93, v95, v93, s0 :: v_dual_cndmask_b32 v92, v94, v92, s0
	global_load_b64 v[92:93], v[92:93], off
	global_store_b32 v[70:71], v87, off offset:512
	s_wait_loadcnt 0x0
	global_store_b64 v[72:73], v[92:93], off offset:1024
	s_wait_xcnt 0x0
	s_or_b32 exec_lo, exec_lo, s15
	s_and_saveexec_b32 s15, s67
	s_cbranch_execz .LBB233_61
.LBB233_118:                            ;   in Loop: Header=BB233_21 Depth=1
	v_add_nc_u64_e32 v[94:95], 0x300, v[60:61]
	v_mov_b32_e32 v53, v3
	s_delay_alu instid0(VALU_DEP_1) | instskip(NEXT) | instid1(VALU_DEP_1)
	v_add_nc_u64_e32 v[92:93], v[74:75], v[52:53]
	v_add_nc_u64_e32 v[92:93], 0x500, v[92:93]
	s_delay_alu instid0(VALU_DEP_1)
	v_dual_cndmask_b32 v93, v95, v93, s0 :: v_dual_cndmask_b32 v92, v94, v92, s0
	global_load_b64 v[92:93], v[92:93], off
	global_store_b32 v[70:71], v88, off offset:640
	s_wait_loadcnt 0x0
	global_store_b64 v[72:73], v[92:93], off offset:1280
	s_wait_xcnt 0x0
	s_or_b32 exec_lo, exec_lo, s15
	s_and_saveexec_b32 s15, s68
	s_cbranch_execz .LBB233_62
.LBB233_119:                            ;   in Loop: Header=BB233_21 Depth=1
	v_add_nc_u64_e32 v[94:95], 0x300, v[58:59]
	v_mov_b32_e32 v53, v3
	s_delay_alu instid0(VALU_DEP_1) | instskip(NEXT) | instid1(VALU_DEP_1)
	v_add_nc_u64_e32 v[92:93], v[74:75], v[52:53]
	v_add_nc_u64_e32 v[92:93], 0x600, v[92:93]
	s_delay_alu instid0(VALU_DEP_1)
	v_dual_cndmask_b32 v93, v95, v93, s0 :: v_dual_cndmask_b32 v92, v94, v92, s0
	global_load_b64 v[92:93], v[92:93], off
	global_store_b32 v[70:71], v89, off offset:768
	s_wait_loadcnt 0x0
	global_store_b64 v[72:73], v[92:93], off offset:1536
	s_wait_xcnt 0x0
	s_or_b32 exec_lo, exec_lo, s15
	s_and_saveexec_b32 s15, s69
	s_cbranch_execnz .LBB233_63
	s_branch .LBB233_64
.LBB233_120:                            ;   in Loop: Header=BB233_21 Depth=1
	v_add_nc_u64_e32 v[92:93], 0x400, v[54:55]
	v_mov_b32_e32 v53, v3
	s_delay_alu instid0(VALU_DEP_1) | instskip(NEXT) | instid1(VALU_DEP_1)
	v_add_nc_u64_e32 v[94:95], v[74:75], v[52:53]
	v_dual_cndmask_b32 v93, v93, v95, s0 :: v_dual_cndmask_b32 v92, v92, v94, s0
	global_load_b64 v[92:93], v[92:93], off
	global_store_b32 v[70:71], v83, off
	s_wait_loadcnt 0x0
	global_store_b64 v[72:73], v[92:93], off
	s_wait_xcnt 0x0
	s_or_b32 exec_lo, exec_lo, s15
	s_and_saveexec_b32 s15, s71
	s_cbranch_execz .LBB233_66
.LBB233_121:                            ;   in Loop: Header=BB233_21 Depth=1
	v_add_nc_u64_e32 v[94:95], 0x400, v[68:69]
	v_mov_b32_e32 v53, v3
	s_delay_alu instid0(VALU_DEP_1) | instskip(NEXT) | instid1(VALU_DEP_1)
	v_add_nc_u64_e32 v[92:93], v[74:75], v[52:53]
	v_add_nc_u64_e32 v[92:93], 0x100, v[92:93]
	s_delay_alu instid0(VALU_DEP_1)
	v_dual_cndmask_b32 v93, v95, v93, s0 :: v_dual_cndmask_b32 v92, v94, v92, s0
	global_load_b64 v[92:93], v[92:93], off
	global_store_b32 v[70:71], v84, off offset:128
	s_wait_loadcnt 0x0
	global_store_b64 v[72:73], v[92:93], off offset:256
	s_wait_xcnt 0x0
	s_or_b32 exec_lo, exec_lo, s15
	s_and_saveexec_b32 s15, s72
	s_cbranch_execz .LBB233_67
.LBB233_122:                            ;   in Loop: Header=BB233_21 Depth=1
	v_add_nc_u64_e32 v[94:95], 0x400, v[66:67]
	v_mov_b32_e32 v53, v3
	s_delay_alu instid0(VALU_DEP_1) | instskip(NEXT) | instid1(VALU_DEP_1)
	v_add_nc_u64_e32 v[92:93], v[74:75], v[52:53]
	v_add_nc_u64_e32 v[92:93], 0x200, v[92:93]
	s_delay_alu instid0(VALU_DEP_1)
	v_dual_cndmask_b32 v93, v95, v93, s0 :: v_dual_cndmask_b32 v92, v94, v92, s0
	global_load_b64 v[92:93], v[92:93], off
	global_store_b32 v[70:71], v85, off offset:256
	s_wait_loadcnt 0x0
	global_store_b64 v[72:73], v[92:93], off offset:512
	s_wait_xcnt 0x0
	s_or_b32 exec_lo, exec_lo, s15
	s_and_saveexec_b32 s15, s73
	s_cbranch_execz .LBB233_68
.LBB233_123:                            ;   in Loop: Header=BB233_21 Depth=1
	v_add_nc_u64_e32 v[94:95], 0x400, v[64:65]
	v_mov_b32_e32 v53, v3
	s_delay_alu instid0(VALU_DEP_1) | instskip(NEXT) | instid1(VALU_DEP_1)
	v_add_nc_u64_e32 v[92:93], v[74:75], v[52:53]
	v_add_nc_u64_e32 v[92:93], 0x300, v[92:93]
	s_delay_alu instid0(VALU_DEP_1)
	v_dual_cndmask_b32 v93, v95, v93, s0 :: v_dual_cndmask_b32 v92, v94, v92, s0
	global_load_b64 v[92:93], v[92:93], off
	global_store_b32 v[70:71], v86, off offset:384
	s_wait_loadcnt 0x0
	global_store_b64 v[72:73], v[92:93], off offset:768
	s_wait_xcnt 0x0
	s_or_b32 exec_lo, exec_lo, s15
	s_and_saveexec_b32 s15, s74
	s_cbranch_execz .LBB233_69
.LBB233_124:                            ;   in Loop: Header=BB233_21 Depth=1
	v_mov_b32_e32 v53, v3
	s_delay_alu instid0(VALU_DEP_1) | instskip(NEXT) | instid1(VALU_DEP_1)
	v_add_nc_u64_e32 v[92:93], v[74:75], v[52:53]
	v_dual_cndmask_b32 v93, v63, v93, s0 :: v_dual_cndmask_b32 v92, v62, v92, s0
	global_load_b64 v[92:93], v[92:93], off offset:1024
	global_store_b32 v[70:71], v87, off offset:512
	s_wait_loadcnt 0x0
	global_store_b64 v[72:73], v[92:93], off offset:1024
	s_wait_xcnt 0x0
	s_or_b32 exec_lo, exec_lo, s15
	s_and_saveexec_b32 s15, s75
	s_cbranch_execz .LBB233_70
.LBB233_125:                            ;   in Loop: Header=BB233_21 Depth=1
	v_add_nc_u64_e32 v[94:95], 0x400, v[60:61]
	v_mov_b32_e32 v53, v3
	s_delay_alu instid0(VALU_DEP_1) | instskip(NEXT) | instid1(VALU_DEP_1)
	v_add_nc_u64_e32 v[92:93], v[74:75], v[52:53]
	v_add_nc_u64_e32 v[92:93], 0x500, v[92:93]
	s_delay_alu instid0(VALU_DEP_1)
	v_dual_cndmask_b32 v93, v95, v93, s0 :: v_dual_cndmask_b32 v92, v94, v92, s0
	global_load_b64 v[92:93], v[92:93], off
	global_store_b32 v[70:71], v88, off offset:640
	s_wait_loadcnt 0x0
	global_store_b64 v[72:73], v[92:93], off offset:1280
	s_wait_xcnt 0x0
	s_or_b32 exec_lo, exec_lo, s15
	s_and_saveexec_b32 s15, s76
	s_cbranch_execz .LBB233_71
.LBB233_126:                            ;   in Loop: Header=BB233_21 Depth=1
	v_add_nc_u64_e32 v[94:95], 0x400, v[58:59]
	v_mov_b32_e32 v53, v3
	s_delay_alu instid0(VALU_DEP_1) | instskip(NEXT) | instid1(VALU_DEP_1)
	v_add_nc_u64_e32 v[92:93], v[74:75], v[52:53]
	v_add_nc_u64_e32 v[92:93], 0x600, v[92:93]
	s_delay_alu instid0(VALU_DEP_1)
	v_dual_cndmask_b32 v93, v95, v93, s0 :: v_dual_cndmask_b32 v92, v94, v92, s0
	global_load_b64 v[92:93], v[92:93], off
	global_store_b32 v[70:71], v89, off offset:768
	s_wait_loadcnt 0x0
	global_store_b64 v[72:73], v[92:93], off offset:1536
	s_wait_xcnt 0x0
	s_or_b32 exec_lo, exec_lo, s15
	s_and_saveexec_b32 s15, s8
	s_cbranch_execnz .LBB233_72
	s_branch .LBB233_73
.LBB233_127:                            ;   in Loop: Header=BB233_21 Depth=1
	v_add_nc_u64_e32 v[92:93], 0x500, v[54:55]
	v_mov_b32_e32 v53, v3
	s_delay_alu instid0(VALU_DEP_1) | instskip(NEXT) | instid1(VALU_DEP_1)
	v_add_nc_u64_e32 v[94:95], v[74:75], v[52:53]
	v_dual_cndmask_b32 v93, v93, v95, s0 :: v_dual_cndmask_b32 v92, v92, v94, s0
	global_load_b64 v[92:93], v[92:93], off
	global_store_b32 v[70:71], v83, off
	s_wait_loadcnt 0x0
	global_store_b64 v[72:73], v[92:93], off
	s_wait_xcnt 0x0
	s_or_b32 exec_lo, exec_lo, s15
	s_and_saveexec_b32 s15, s41
	s_cbranch_execz .LBB233_75
.LBB233_128:                            ;   in Loop: Header=BB233_21 Depth=1
	v_add_nc_u64_e32 v[94:95], 0x500, v[68:69]
	v_mov_b32_e32 v53, v3
	s_delay_alu instid0(VALU_DEP_1) | instskip(NEXT) | instid1(VALU_DEP_1)
	v_add_nc_u64_e32 v[92:93], v[74:75], v[52:53]
	v_add_nc_u64_e32 v[92:93], 0x100, v[92:93]
	s_delay_alu instid0(VALU_DEP_1)
	v_dual_cndmask_b32 v93, v95, v93, s0 :: v_dual_cndmask_b32 v92, v94, v92, s0
	global_load_b64 v[92:93], v[92:93], off
	global_store_b32 v[70:71], v84, off offset:128
	s_wait_loadcnt 0x0
	global_store_b64 v[72:73], v[92:93], off offset:256
	s_wait_xcnt 0x0
	s_or_b32 exec_lo, exec_lo, s15
	s_and_saveexec_b32 s15, s77
	s_cbranch_execz .LBB233_76
.LBB233_129:                            ;   in Loop: Header=BB233_21 Depth=1
	v_add_nc_u64_e32 v[94:95], 0x500, v[66:67]
	v_mov_b32_e32 v53, v3
	s_delay_alu instid0(VALU_DEP_1) | instskip(NEXT) | instid1(VALU_DEP_1)
	v_add_nc_u64_e32 v[92:93], v[74:75], v[52:53]
	v_add_nc_u64_e32 v[92:93], 0x200, v[92:93]
	s_delay_alu instid0(VALU_DEP_1)
	v_dual_cndmask_b32 v93, v95, v93, s0 :: v_dual_cndmask_b32 v92, v94, v92, s0
	global_load_b64 v[92:93], v[92:93], off
	global_store_b32 v[70:71], v85, off offset:256
	s_wait_loadcnt 0x0
	global_store_b64 v[72:73], v[92:93], off offset:512
	s_wait_xcnt 0x0
	s_or_b32 exec_lo, exec_lo, s15
	s_and_saveexec_b32 s15, s78
	s_cbranch_execz .LBB233_77
.LBB233_130:                            ;   in Loop: Header=BB233_21 Depth=1
	v_add_nc_u64_e32 v[94:95], 0x500, v[64:65]
	v_mov_b32_e32 v53, v3
	s_delay_alu instid0(VALU_DEP_1) | instskip(NEXT) | instid1(VALU_DEP_1)
	v_add_nc_u64_e32 v[92:93], v[74:75], v[52:53]
	v_add_nc_u64_e32 v[92:93], 0x300, v[92:93]
	s_delay_alu instid0(VALU_DEP_1)
	v_dual_cndmask_b32 v93, v95, v93, s0 :: v_dual_cndmask_b32 v92, v94, v92, s0
	global_load_b64 v[92:93], v[92:93], off
	global_store_b32 v[70:71], v86, off offset:384
	s_wait_loadcnt 0x0
	global_store_b64 v[72:73], v[92:93], off offset:768
	s_wait_xcnt 0x0
	s_or_b32 exec_lo, exec_lo, s15
	s_and_saveexec_b32 s15, s79
	s_cbranch_execz .LBB233_78
.LBB233_131:                            ;   in Loop: Header=BB233_21 Depth=1
	v_add_nc_u64_e32 v[94:95], 0x500, v[62:63]
	v_mov_b32_e32 v53, v3
	s_delay_alu instid0(VALU_DEP_1) | instskip(NEXT) | instid1(VALU_DEP_1)
	v_add_nc_u64_e32 v[92:93], v[74:75], v[52:53]
	v_add_nc_u64_e32 v[92:93], 0x400, v[92:93]
	s_delay_alu instid0(VALU_DEP_1)
	v_dual_cndmask_b32 v93, v95, v93, s0 :: v_dual_cndmask_b32 v92, v94, v92, s0
	global_load_b64 v[92:93], v[92:93], off
	global_store_b32 v[70:71], v87, off offset:512
	s_wait_loadcnt 0x0
	global_store_b64 v[72:73], v[92:93], off offset:1024
	s_wait_xcnt 0x0
	s_or_b32 exec_lo, exec_lo, s15
	s_and_saveexec_b32 s15, s80
	s_cbranch_execz .LBB233_79
.LBB233_132:                            ;   in Loop: Header=BB233_21 Depth=1
	v_mov_b32_e32 v53, v3
	s_delay_alu instid0(VALU_DEP_1) | instskip(NEXT) | instid1(VALU_DEP_1)
	v_add_nc_u64_e32 v[92:93], v[74:75], v[52:53]
	v_dual_cndmask_b32 v93, v61, v93, s0 :: v_dual_cndmask_b32 v92, v60, v92, s0
	global_load_b64 v[92:93], v[92:93], off offset:1280
	global_store_b32 v[70:71], v88, off offset:640
	s_wait_loadcnt 0x0
	global_store_b64 v[72:73], v[92:93], off offset:1280
	s_wait_xcnt 0x0
	s_or_b32 exec_lo, exec_lo, s15
	s_and_saveexec_b32 s15, s81
	s_cbranch_execz .LBB233_80
.LBB233_133:                            ;   in Loop: Header=BB233_21 Depth=1
	v_add_nc_u64_e32 v[94:95], 0x500, v[58:59]
	v_mov_b32_e32 v53, v3
	s_delay_alu instid0(VALU_DEP_1) | instskip(NEXT) | instid1(VALU_DEP_1)
	v_add_nc_u64_e32 v[92:93], v[74:75], v[52:53]
	v_add_nc_u64_e32 v[92:93], 0x600, v[92:93]
	s_delay_alu instid0(VALU_DEP_1)
	v_dual_cndmask_b32 v93, v95, v93, s0 :: v_dual_cndmask_b32 v92, v94, v92, s0
	global_load_b64 v[92:93], v[92:93], off
	global_store_b32 v[70:71], v89, off offset:768
	s_wait_loadcnt 0x0
	global_store_b64 v[72:73], v[92:93], off offset:1536
	s_wait_xcnt 0x0
	s_or_b32 exec_lo, exec_lo, s15
	s_and_saveexec_b32 s15, s82
	s_cbranch_execnz .LBB233_81
	s_branch .LBB233_82
.LBB233_134:                            ;   in Loop: Header=BB233_21 Depth=1
	v_add_nc_u64_e32 v[92:93], 0x600, v[54:55]
	v_mov_b32_e32 v53, v3
	s_delay_alu instid0(VALU_DEP_1) | instskip(NEXT) | instid1(VALU_DEP_1)
	v_add_nc_u64_e32 v[94:95], v[74:75], v[52:53]
	v_dual_cndmask_b32 v93, v93, v95, s0 :: v_dual_cndmask_b32 v92, v92, v94, s0
	global_load_b64 v[92:93], v[92:93], off
	global_store_b32 v[70:71], v83, off
	s_wait_loadcnt 0x0
	global_store_b64 v[72:73], v[92:93], off
	s_wait_xcnt 0x0
	s_or_b32 exec_lo, exec_lo, s15
	s_and_saveexec_b32 s15, s84
	s_cbranch_execz .LBB233_84
.LBB233_135:                            ;   in Loop: Header=BB233_21 Depth=1
	v_add_nc_u64_e32 v[94:95], 0x600, v[68:69]
	v_mov_b32_e32 v53, v3
	s_delay_alu instid0(VALU_DEP_1) | instskip(NEXT) | instid1(VALU_DEP_1)
	v_add_nc_u64_e32 v[92:93], v[74:75], v[52:53]
	v_add_nc_u64_e32 v[92:93], 0x100, v[92:93]
	s_delay_alu instid0(VALU_DEP_1)
	v_dual_cndmask_b32 v93, v95, v93, s0 :: v_dual_cndmask_b32 v92, v94, v92, s0
	global_load_b64 v[92:93], v[92:93], off
	global_store_b32 v[70:71], v84, off offset:128
	s_wait_loadcnt 0x0
	global_store_b64 v[72:73], v[92:93], off offset:256
	s_wait_xcnt 0x0
	s_or_b32 exec_lo, exec_lo, s15
	s_and_saveexec_b32 s15, s85
	s_cbranch_execz .LBB233_85
.LBB233_136:                            ;   in Loop: Header=BB233_21 Depth=1
	v_add_nc_u64_e32 v[94:95], 0x600, v[66:67]
	v_mov_b32_e32 v53, v3
	s_delay_alu instid0(VALU_DEP_1) | instskip(NEXT) | instid1(VALU_DEP_1)
	v_add_nc_u64_e32 v[92:93], v[74:75], v[52:53]
	v_add_nc_u64_e32 v[92:93], 0x200, v[92:93]
	s_delay_alu instid0(VALU_DEP_1)
	v_dual_cndmask_b32 v93, v95, v93, s0 :: v_dual_cndmask_b32 v92, v94, v92, s0
	global_load_b64 v[92:93], v[92:93], off
	global_store_b32 v[70:71], v85, off offset:256
	s_wait_loadcnt 0x0
	global_store_b64 v[72:73], v[92:93], off offset:512
	s_wait_xcnt 0x0
	s_or_b32 exec_lo, exec_lo, s15
	s_and_saveexec_b32 s15, s86
	s_cbranch_execz .LBB233_86
.LBB233_137:                            ;   in Loop: Header=BB233_21 Depth=1
	v_add_nc_u64_e32 v[94:95], 0x600, v[64:65]
	v_mov_b32_e32 v53, v3
	s_delay_alu instid0(VALU_DEP_1) | instskip(NEXT) | instid1(VALU_DEP_1)
	v_add_nc_u64_e32 v[92:93], v[74:75], v[52:53]
	v_add_nc_u64_e32 v[92:93], 0x300, v[92:93]
	s_delay_alu instid0(VALU_DEP_1)
	v_dual_cndmask_b32 v93, v95, v93, s0 :: v_dual_cndmask_b32 v92, v94, v92, s0
	global_load_b64 v[92:93], v[92:93], off
	global_store_b32 v[70:71], v86, off offset:384
	s_wait_loadcnt 0x0
	global_store_b64 v[72:73], v[92:93], off offset:768
	s_wait_xcnt 0x0
	s_or_b32 exec_lo, exec_lo, s15
	s_and_saveexec_b32 s15, s87
	s_cbranch_execz .LBB233_87
.LBB233_138:                            ;   in Loop: Header=BB233_21 Depth=1
	v_add_nc_u64_e32 v[94:95], 0x600, v[62:63]
	v_mov_b32_e32 v53, v3
	s_delay_alu instid0(VALU_DEP_1) | instskip(NEXT) | instid1(VALU_DEP_1)
	v_add_nc_u64_e32 v[92:93], v[74:75], v[52:53]
	v_add_nc_u64_e32 v[92:93], 0x400, v[92:93]
	s_delay_alu instid0(VALU_DEP_1)
	v_dual_cndmask_b32 v93, v95, v93, s0 :: v_dual_cndmask_b32 v92, v94, v92, s0
	global_load_b64 v[92:93], v[92:93], off
	global_store_b32 v[70:71], v87, off offset:512
	s_wait_loadcnt 0x0
	global_store_b64 v[72:73], v[92:93], off offset:1024
	s_wait_xcnt 0x0
	s_or_b32 exec_lo, exec_lo, s15
	s_and_saveexec_b32 s15, s88
	s_cbranch_execz .LBB233_88
.LBB233_139:                            ;   in Loop: Header=BB233_21 Depth=1
	v_add_nc_u64_e32 v[94:95], 0x600, v[60:61]
	v_mov_b32_e32 v53, v3
	s_delay_alu instid0(VALU_DEP_1) | instskip(NEXT) | instid1(VALU_DEP_1)
	v_add_nc_u64_e32 v[92:93], v[74:75], v[52:53]
	v_add_nc_u64_e32 v[92:93], 0x500, v[92:93]
	s_delay_alu instid0(VALU_DEP_1)
	v_dual_cndmask_b32 v93, v95, v93, s0 :: v_dual_cndmask_b32 v92, v94, v92, s0
	global_load_b64 v[92:93], v[92:93], off
	global_store_b32 v[70:71], v88, off offset:640
	s_wait_loadcnt 0x0
	global_store_b64 v[72:73], v[92:93], off offset:1280
	s_wait_xcnt 0x0
	s_or_b32 exec_lo, exec_lo, s15
	s_and_saveexec_b32 s15, s89
	s_cbranch_execz .LBB233_89
.LBB233_140:                            ;   in Loop: Header=BB233_21 Depth=1
	v_mov_b32_e32 v53, v3
	s_delay_alu instid0(VALU_DEP_1) | instskip(NEXT) | instid1(VALU_DEP_1)
	v_add_nc_u64_e32 v[92:93], v[74:75], v[52:53]
	v_dual_cndmask_b32 v93, v59, v93, s0 :: v_dual_cndmask_b32 v92, v58, v92, s0
	global_load_b64 v[92:93], v[92:93], off offset:1536
	global_store_b32 v[70:71], v89, off offset:768
	s_wait_loadcnt 0x0
	global_store_b64 v[72:73], v[92:93], off offset:1536
	s_wait_xcnt 0x0
	s_or_b32 exec_lo, exec_lo, s15
	s_and_saveexec_b32 s15, s90
	s_cbranch_execnz .LBB233_90
	s_branch .LBB233_91
.LBB233_141:                            ;   in Loop: Header=BB233_21 Depth=1
	v_add_nc_u64_e32 v[54:55], 0x700, v[54:55]
	v_mov_b32_e32 v53, v3
	s_delay_alu instid0(VALU_DEP_1) | instskip(NEXT) | instid1(VALU_DEP_1)
	v_add_nc_u64_e32 v[92:93], v[74:75], v[52:53]
	v_dual_cndmask_b32 v55, v55, v93, s0 :: v_dual_cndmask_b32 v54, v54, v92, s0
	global_load_b64 v[54:55], v[54:55], off
	global_store_b32 v[70:71], v83, off
	s_wait_loadcnt 0x0
	global_store_b64 v[72:73], v[54:55], off
	s_wait_xcnt 0x0
	s_or_b32 exec_lo, exec_lo, s4
	s_and_saveexec_b32 s4, s1
	s_cbranch_execz .LBB233_93
.LBB233_142:                            ;   in Loop: Header=BB233_21 Depth=1
	v_add_nc_u64_e32 v[68:69], 0x700, v[68:69]
	v_mov_b32_e32 v53, v3
	s_delay_alu instid0(VALU_DEP_1) | instskip(NEXT) | instid1(VALU_DEP_1)
	v_add_nc_u64_e32 v[54:55], v[74:75], v[52:53]
	v_add_nc_u64_e32 v[54:55], 0x100, v[54:55]
	s_delay_alu instid0(VALU_DEP_1)
	v_dual_cndmask_b32 v55, v69, v55, s0 :: v_dual_cndmask_b32 v54, v68, v54, s0
	global_load_b64 v[54:55], v[54:55], off
	global_store_b32 v[70:71], v84, off offset:128
	s_wait_loadcnt 0x0
	global_store_b64 v[72:73], v[54:55], off offset:256
	s_wait_xcnt 0x0
	s_or_b32 exec_lo, exec_lo, s4
	s_and_saveexec_b32 s4, s10
	s_cbranch_execz .LBB233_94
.LBB233_143:                            ;   in Loop: Header=BB233_21 Depth=1
	v_add_nc_u64_e32 v[66:67], 0x700, v[66:67]
	v_mov_b32_e32 v53, v3
	s_delay_alu instid0(VALU_DEP_1) | instskip(NEXT) | instid1(VALU_DEP_1)
	v_add_nc_u64_e32 v[54:55], v[74:75], v[52:53]
	v_add_nc_u64_e32 v[54:55], 0x200, v[54:55]
	s_delay_alu instid0(VALU_DEP_1)
	v_dual_cndmask_b32 v55, v67, v55, s0 :: v_dual_cndmask_b32 v54, v66, v54, s0
	global_load_b64 v[54:55], v[54:55], off
	global_store_b32 v[70:71], v85, off offset:256
	s_wait_loadcnt 0x0
	global_store_b64 v[72:73], v[54:55], off offset:512
	s_wait_xcnt 0x0
	s_or_b32 exec_lo, exec_lo, s4
	s_and_saveexec_b32 s4, s11
	s_cbranch_execz .LBB233_95
.LBB233_144:                            ;   in Loop: Header=BB233_21 Depth=1
	v_add_nc_u64_e32 v[64:65], 0x700, v[64:65]
	v_mov_b32_e32 v53, v3
	s_delay_alu instid0(VALU_DEP_1) | instskip(NEXT) | instid1(VALU_DEP_1)
	v_add_nc_u64_e32 v[54:55], v[74:75], v[52:53]
	v_add_nc_u64_e32 v[54:55], 0x300, v[54:55]
	s_delay_alu instid0(VALU_DEP_1)
	v_dual_cndmask_b32 v55, v65, v55, s0 :: v_dual_cndmask_b32 v54, v64, v54, s0
	global_load_b64 v[54:55], v[54:55], off
	global_store_b32 v[70:71], v86, off offset:384
	s_wait_loadcnt 0x0
	global_store_b64 v[72:73], v[54:55], off offset:768
	s_wait_xcnt 0x0
	s_or_b32 exec_lo, exec_lo, s4
	s_and_saveexec_b32 s4, s12
	s_cbranch_execz .LBB233_96
.LBB233_145:                            ;   in Loop: Header=BB233_21 Depth=1
	v_add_nc_u64_e32 v[62:63], 0x700, v[62:63]
	v_mov_b32_e32 v53, v3
	s_delay_alu instid0(VALU_DEP_1) | instskip(NEXT) | instid1(VALU_DEP_1)
	v_add_nc_u64_e32 v[54:55], v[74:75], v[52:53]
	v_add_nc_u64_e32 v[54:55], 0x400, v[54:55]
	s_delay_alu instid0(VALU_DEP_1)
	v_dual_cndmask_b32 v55, v63, v55, s0 :: v_dual_cndmask_b32 v54, v62, v54, s0
	global_load_b64 v[54:55], v[54:55], off
	global_store_b32 v[70:71], v87, off offset:512
	s_wait_loadcnt 0x0
	global_store_b64 v[72:73], v[54:55], off offset:1024
	s_wait_xcnt 0x0
	s_or_b32 exec_lo, exec_lo, s4
	s_and_saveexec_b32 s4, s13
	s_cbranch_execz .LBB233_97
.LBB233_146:                            ;   in Loop: Header=BB233_21 Depth=1
	v_add_nc_u64_e32 v[60:61], 0x700, v[60:61]
	v_mov_b32_e32 v53, v3
	s_delay_alu instid0(VALU_DEP_1) | instskip(NEXT) | instid1(VALU_DEP_1)
	v_add_nc_u64_e32 v[54:55], v[74:75], v[52:53]
	v_add_nc_u64_e32 v[54:55], 0x500, v[54:55]
	s_delay_alu instid0(VALU_DEP_1)
	v_dual_cndmask_b32 v55, v61, v55, s0 :: v_dual_cndmask_b32 v54, v60, v54, s0
	global_load_b64 v[54:55], v[54:55], off
	global_store_b32 v[70:71], v88, off offset:640
	s_wait_loadcnt 0x0
	global_store_b64 v[72:73], v[54:55], off offset:1280
	s_wait_xcnt 0x0
	s_or_b32 exec_lo, exec_lo, s4
	s_and_saveexec_b32 s4, s14
	s_cbranch_execz .LBB233_98
.LBB233_147:                            ;   in Loop: Header=BB233_21 Depth=1
	v_add_nc_u64_e32 v[58:59], 0x700, v[58:59]
	v_mov_b32_e32 v53, v3
	s_delay_alu instid0(VALU_DEP_1) | instskip(NEXT) | instid1(VALU_DEP_1)
	v_add_nc_u64_e32 v[54:55], v[74:75], v[52:53]
	v_add_nc_u64_e32 v[54:55], 0x600, v[54:55]
	s_delay_alu instid0(VALU_DEP_1)
	v_dual_cndmask_b32 v55, v59, v55, s0 :: v_dual_cndmask_b32 v54, v58, v54, s0
	global_load_b64 v[54:55], v[54:55], off
	global_store_b32 v[70:71], v89, off offset:768
	s_wait_loadcnt 0x0
	global_store_b64 v[72:73], v[54:55], off offset:1536
	s_wait_xcnt 0x0
	s_or_b32 exec_lo, exec_lo, s4
	s_and_saveexec_b32 s4, s9
	s_cbranch_execz .LBB233_20
.LBB233_148:                            ;   in Loop: Header=BB233_21 Depth=1
	v_mov_b32_e32 v53, v3
	s_delay_alu instid0(VALU_DEP_1) | instskip(NEXT) | instid1(VALU_DEP_1)
	v_add_nc_u64_e32 v[52:53], v[74:75], v[52:53]
	v_dual_cndmask_b32 v53, v57, v53, s0 :: v_dual_cndmask_b32 v52, v56, v52, s0
	global_load_b64 v[52:53], v[52:53], off offset:1792
	global_store_b32 v[70:71], v90, off offset:896
	s_wait_loadcnt 0x0
	global_store_b64 v[72:73], v[52:53], off offset:1792
	s_branch .LBB233_20
.LBB233_149:
	s_sendmsg sendmsg(MSG_DEALLOC_VGPRS)
	s_endpgm
	.section	.rodata,"a",@progbits
	.p2align	6, 0x0
	.amdhsa_kernel _ZN9rocsparseL35bsr2csr_block_per_row_33_256_kernelILj1024ELj256ELj32EdliEEv20rocsparse_direction_T4_S2_21rocsparse_index_base_PKT2_PKT3_PKS2_S2_S3_PS4_PS7_PS2_
		.amdhsa_group_segment_fixed_size 0
		.amdhsa_private_segment_fixed_size 0
		.amdhsa_kernarg_size 72
		.amdhsa_user_sgpr_count 2
		.amdhsa_user_sgpr_dispatch_ptr 0
		.amdhsa_user_sgpr_queue_ptr 0
		.amdhsa_user_sgpr_kernarg_segment_ptr 1
		.amdhsa_user_sgpr_dispatch_id 0
		.amdhsa_user_sgpr_kernarg_preload_length 0
		.amdhsa_user_sgpr_kernarg_preload_offset 0
		.amdhsa_user_sgpr_private_segment_size 0
		.amdhsa_wavefront_size32 1
		.amdhsa_uses_dynamic_stack 0
		.amdhsa_enable_private_segment 0
		.amdhsa_system_sgpr_workgroup_id_x 1
		.amdhsa_system_sgpr_workgroup_id_y 0
		.amdhsa_system_sgpr_workgroup_id_z 0
		.amdhsa_system_sgpr_workgroup_info 0
		.amdhsa_system_vgpr_workitem_id 0
		.amdhsa_next_free_vgpr 96
		.amdhsa_next_free_sgpr 93
		.amdhsa_named_barrier_count 0
		.amdhsa_reserve_vcc 1
		.amdhsa_float_round_mode_32 0
		.amdhsa_float_round_mode_16_64 0
		.amdhsa_float_denorm_mode_32 3
		.amdhsa_float_denorm_mode_16_64 3
		.amdhsa_fp16_overflow 0
		.amdhsa_memory_ordered 1
		.amdhsa_forward_progress 1
		.amdhsa_inst_pref_size 71
		.amdhsa_round_robin_scheduling 0
		.amdhsa_exception_fp_ieee_invalid_op 0
		.amdhsa_exception_fp_denorm_src 0
		.amdhsa_exception_fp_ieee_div_zero 0
		.amdhsa_exception_fp_ieee_overflow 0
		.amdhsa_exception_fp_ieee_underflow 0
		.amdhsa_exception_fp_ieee_inexact 0
		.amdhsa_exception_int_div_zero 0
	.end_amdhsa_kernel
	.section	.text._ZN9rocsparseL35bsr2csr_block_per_row_33_256_kernelILj1024ELj256ELj32EdliEEv20rocsparse_direction_T4_S2_21rocsparse_index_base_PKT2_PKT3_PKS2_S2_S3_PS4_PS7_PS2_,"axG",@progbits,_ZN9rocsparseL35bsr2csr_block_per_row_33_256_kernelILj1024ELj256ELj32EdliEEv20rocsparse_direction_T4_S2_21rocsparse_index_base_PKT2_PKT3_PKS2_S2_S3_PS4_PS7_PS2_,comdat
.Lfunc_end233:
	.size	_ZN9rocsparseL35bsr2csr_block_per_row_33_256_kernelILj1024ELj256ELj32EdliEEv20rocsparse_direction_T4_S2_21rocsparse_index_base_PKT2_PKT3_PKS2_S2_S3_PS4_PS7_PS2_, .Lfunc_end233-_ZN9rocsparseL35bsr2csr_block_per_row_33_256_kernelILj1024ELj256ELj32EdliEEv20rocsparse_direction_T4_S2_21rocsparse_index_base_PKT2_PKT3_PKS2_S2_S3_PS4_PS7_PS2_
                                        ; -- End function
	.set _ZN9rocsparseL35bsr2csr_block_per_row_33_256_kernelILj1024ELj256ELj32EdliEEv20rocsparse_direction_T4_S2_21rocsparse_index_base_PKT2_PKT3_PKS2_S2_S3_PS4_PS7_PS2_.num_vgpr, 96
	.set _ZN9rocsparseL35bsr2csr_block_per_row_33_256_kernelILj1024ELj256ELj32EdliEEv20rocsparse_direction_T4_S2_21rocsparse_index_base_PKT2_PKT3_PKS2_S2_S3_PS4_PS7_PS2_.num_agpr, 0
	.set _ZN9rocsparseL35bsr2csr_block_per_row_33_256_kernelILj1024ELj256ELj32EdliEEv20rocsparse_direction_T4_S2_21rocsparse_index_base_PKT2_PKT3_PKS2_S2_S3_PS4_PS7_PS2_.numbered_sgpr, 93
	.set _ZN9rocsparseL35bsr2csr_block_per_row_33_256_kernelILj1024ELj256ELj32EdliEEv20rocsparse_direction_T4_S2_21rocsparse_index_base_PKT2_PKT3_PKS2_S2_S3_PS4_PS7_PS2_.num_named_barrier, 0
	.set _ZN9rocsparseL35bsr2csr_block_per_row_33_256_kernelILj1024ELj256ELj32EdliEEv20rocsparse_direction_T4_S2_21rocsparse_index_base_PKT2_PKT3_PKS2_S2_S3_PS4_PS7_PS2_.private_seg_size, 0
	.set _ZN9rocsparseL35bsr2csr_block_per_row_33_256_kernelILj1024ELj256ELj32EdliEEv20rocsparse_direction_T4_S2_21rocsparse_index_base_PKT2_PKT3_PKS2_S2_S3_PS4_PS7_PS2_.uses_vcc, 1
	.set _ZN9rocsparseL35bsr2csr_block_per_row_33_256_kernelILj1024ELj256ELj32EdliEEv20rocsparse_direction_T4_S2_21rocsparse_index_base_PKT2_PKT3_PKS2_S2_S3_PS4_PS7_PS2_.uses_flat_scratch, 0
	.set _ZN9rocsparseL35bsr2csr_block_per_row_33_256_kernelILj1024ELj256ELj32EdliEEv20rocsparse_direction_T4_S2_21rocsparse_index_base_PKT2_PKT3_PKS2_S2_S3_PS4_PS7_PS2_.has_dyn_sized_stack, 0
	.set _ZN9rocsparseL35bsr2csr_block_per_row_33_256_kernelILj1024ELj256ELj32EdliEEv20rocsparse_direction_T4_S2_21rocsparse_index_base_PKT2_PKT3_PKS2_S2_S3_PS4_PS7_PS2_.has_recursion, 0
	.set _ZN9rocsparseL35bsr2csr_block_per_row_33_256_kernelILj1024ELj256ELj32EdliEEv20rocsparse_direction_T4_S2_21rocsparse_index_base_PKT2_PKT3_PKS2_S2_S3_PS4_PS7_PS2_.has_indirect_call, 0
	.section	.AMDGPU.csdata,"",@progbits
; Kernel info:
; codeLenInByte = 9012
; TotalNumSgprs: 95
; NumVgprs: 96
; ScratchSize: 0
; MemoryBound: 0
; FloatMode: 240
; IeeeMode: 1
; LDSByteSize: 0 bytes/workgroup (compile time only)
; SGPRBlocks: 0
; VGPRBlocks: 5
; NumSGPRsForWavesPerEU: 95
; NumVGPRsForWavesPerEU: 96
; NamedBarCnt: 0
; Occupancy: 10
; WaveLimiterHint : 1
; COMPUTE_PGM_RSRC2:SCRATCH_EN: 0
; COMPUTE_PGM_RSRC2:USER_SGPR: 2
; COMPUTE_PGM_RSRC2:TRAP_HANDLER: 0
; COMPUTE_PGM_RSRC2:TGID_X_EN: 1
; COMPUTE_PGM_RSRC2:TGID_Y_EN: 0
; COMPUTE_PGM_RSRC2:TGID_Z_EN: 0
; COMPUTE_PGM_RSRC2:TIDIG_COMP_CNT: 0
	.section	.text._ZN9rocsparseL35bsr2csr_block_dim_equals_one_kernelILj1024EdilEEvT2_S1_21rocsparse_index_base_PKT0_PKT1_PKS1_S2_PS3_PS6_PS1_,"axG",@progbits,_ZN9rocsparseL35bsr2csr_block_dim_equals_one_kernelILj1024EdilEEvT2_S1_21rocsparse_index_base_PKT0_PKT1_PKS1_S2_PS3_PS6_PS1_,comdat
	.globl	_ZN9rocsparseL35bsr2csr_block_dim_equals_one_kernelILj1024EdilEEvT2_S1_21rocsparse_index_base_PKT0_PKT1_PKS1_S2_PS3_PS6_PS1_ ; -- Begin function _ZN9rocsparseL35bsr2csr_block_dim_equals_one_kernelILj1024EdilEEvT2_S1_21rocsparse_index_base_PKT0_PKT1_PKS1_S2_PS3_PS6_PS1_
	.p2align	8
	.type	_ZN9rocsparseL35bsr2csr_block_dim_equals_one_kernelILj1024EdilEEvT2_S1_21rocsparse_index_base_PKT0_PKT1_PKS1_S2_PS3_PS6_PS1_,@function
_ZN9rocsparseL35bsr2csr_block_dim_equals_one_kernelILj1024EdilEEvT2_S1_21rocsparse_index_base_PKT0_PKT1_PKS1_S2_PS3_PS6_PS1_: ; @_ZN9rocsparseL35bsr2csr_block_dim_equals_one_kernelILj1024EdilEEvT2_S1_21rocsparse_index_base_PKT0_PKT1_PKS1_S2_PS3_PS6_PS1_
; %bb.0:
	s_clause 0x3
	s_load_b32 s2, s[0:1], 0x10
	s_load_b64 s[8:9], s[0:1], 0x20
	s_load_b32 s4, s[0:1], 0x30
	s_load_b64 s[6:7], s[0:1], 0x0
	s_bfe_u32 s3, ttmp6, 0x4000c
	s_and_b32 s5, ttmp6, 15
	s_add_co_i32 s3, s3, 1
	s_getreg_b32 s10, hwreg(HW_REG_IB_STS2, 6, 4)
	s_mul_i32 s3, ttmp9, s3
	v_mov_b32_e32 v1, 0
	s_add_co_i32 s5, s5, s3
	s_cmp_eq_u32 s10, 0
	s_cselect_b32 s3, ttmp9, s5
	s_delay_alu instid0(SALU_CYCLE_1) | instskip(SKIP_2) | instid1(VALU_DEP_1)
	v_lshl_or_b32 v0, s3, 10, v0
	s_mov_b32 s3, exec_lo
	s_wait_kmcnt 0x0
	v_cmpx_gt_i64_e64 s[6:7], v[0:1]
	s_cbranch_execz .LBB234_6
; %bb.1:
	s_mov_b32 s5, exec_lo
                                        ; implicit-def: $sgpr12
	v_cmpx_ne_u32_e32 0, v0
	s_xor_b32 s5, exec_lo, s5
; %bb.2:
	s_sub_co_i32 s12, s4, s2
; %bb.3:
	s_or_saveexec_b32 s5, s5
	s_load_b64 s[10:11], s[0:1], 0x40
	v_mov_b32_e32 v2, s12
	s_xor_b32 exec_lo, exec_lo, s5
	s_cbranch_execz .LBB234_5
; %bb.4:
	s_load_b32 s12, s[8:9], 0x0
	s_sub_co_i32 s13, s4, s2
	s_delay_alu instid0(SALU_CYCLE_1) | instskip(SKIP_2) | instid1(SALU_CYCLE_1)
	v_mov_b32_e32 v2, s13
	s_wait_kmcnt 0x0
	s_add_co_i32 s12, s13, s12
	v_dual_mov_b32 v3, 0 :: v_dual_mov_b32 v4, s12
	global_store_b32 v3, v4, s[10:11]
.LBB234_5:
	s_wait_xcnt 0x0
	s_or_b32 exec_lo, exec_lo, s5
	v_lshlrev_b64_e32 v[4:5], 2, v[0:1]
	s_delay_alu instid0(VALU_DEP_1)
	v_add_nc_u64_e32 v[6:7], s[8:9], v[4:5]
	s_wait_kmcnt 0x0
	v_add_nc_u64_e32 v[4:5], s[10:11], v[4:5]
	global_load_b32 v3, v[6:7], off offset:4
	s_wait_loadcnt 0x0
	v_add_nc_u32_e32 v2, v2, v3
	global_store_b32 v[4:5], v2, off offset:4
.LBB234_6:
	s_wait_xcnt 0x0
	s_or_b32 exec_lo, exec_lo, s3
	s_lshl_b64 s[6:7], s[6:7], 2
	s_clause 0x3
	s_load_b64 s[10:11], s[0:1], 0x48
	s_load_b64 s[12:13], s[0:1], 0x18
	;; [unrolled: 1-line block ×4, first 2 shown]
	s_add_nc_u64 s[6:7], s[8:9], s[6:7]
	s_clause 0x1
	s_load_b32 s3, s[6:7], 0x0
	s_load_b32 s5, s[8:9], 0x0
	s_wait_kmcnt 0x0
	s_sub_co_i32 s6, s3, s5
	s_mov_b32 s3, exec_lo
	s_ashr_i32 s7, s6, 31
	s_delay_alu instid0(SALU_CYCLE_1)
	v_cmpx_gt_i64_e64 s[6:7], v[0:1]
	s_cbranch_execz .LBB234_9
; %bb.7:
	s_load_b32 s8, s[0:1], 0x50
	s_mov_b32 s3, 0
	v_lshlrev_b64_e32 v[2:3], 3, v[0:1]
	s_mov_b32 s5, s3
	s_wait_xcnt 0x0
	s_sub_nc_u64 s[0:1], s[4:5], s[2:3]
	s_wait_kmcnt 0x0
	s_lshl_b32 s2, s8, 10
	s_mov_b32 s8, s3
	s_lshl_b64 s[4:5], s[2:3], 3
.LBB234_8:                              ; =>This Inner Loop Header: Depth=1
	v_add_nc_u64_e32 v[4:5], s[14:15], v[2:3]
	v_add_nc_u64_e32 v[6:7], s[12:13], v[2:3]
	;; [unrolled: 1-line block ×3, first 2 shown]
	global_load_b64 v[8:9], v[4:5], off
	global_load_b64 v[10:11], v[6:7], off
	s_wait_xcnt 0x1
	v_add_nc_u64_e32 v[4:5], s[10:11], v[2:3]
	v_cmp_le_i64_e32 vcc_lo, s[6:7], v[0:1]
	s_wait_xcnt 0x0
	v_add_nc_u64_e32 v[6:7], s[16:17], v[2:3]
	v_add_nc_u64_e32 v[2:3], s[4:5], v[2:3]
	s_or_b32 s8, vcc_lo, s8
	s_wait_loadcnt 0x1
	v_add_nc_u64_e32 v[8:9], s[0:1], v[8:9]
	s_wait_loadcnt 0x0
	global_store_b64 v[6:7], v[10:11], off
	global_store_b64 v[4:5], v[8:9], off
	s_wait_xcnt 0x0
	s_and_not1_b32 exec_lo, exec_lo, s8
	s_cbranch_execnz .LBB234_8
.LBB234_9:
	s_endpgm
	.section	.rodata,"a",@progbits
	.p2align	6, 0x0
	.amdhsa_kernel _ZN9rocsparseL35bsr2csr_block_dim_equals_one_kernelILj1024EdilEEvT2_S1_21rocsparse_index_base_PKT0_PKT1_PKS1_S2_PS3_PS6_PS1_
		.amdhsa_group_segment_fixed_size 0
		.amdhsa_private_segment_fixed_size 0
		.amdhsa_kernarg_size 336
		.amdhsa_user_sgpr_count 2
		.amdhsa_user_sgpr_dispatch_ptr 0
		.amdhsa_user_sgpr_queue_ptr 0
		.amdhsa_user_sgpr_kernarg_segment_ptr 1
		.amdhsa_user_sgpr_dispatch_id 0
		.amdhsa_user_sgpr_kernarg_preload_length 0
		.amdhsa_user_sgpr_kernarg_preload_offset 0
		.amdhsa_user_sgpr_private_segment_size 0
		.amdhsa_wavefront_size32 1
		.amdhsa_uses_dynamic_stack 0
		.amdhsa_enable_private_segment 0
		.amdhsa_system_sgpr_workgroup_id_x 1
		.amdhsa_system_sgpr_workgroup_id_y 0
		.amdhsa_system_sgpr_workgroup_id_z 0
		.amdhsa_system_sgpr_workgroup_info 0
		.amdhsa_system_vgpr_workitem_id 0
		.amdhsa_next_free_vgpr 12
		.amdhsa_next_free_sgpr 18
		.amdhsa_named_barrier_count 0
		.amdhsa_reserve_vcc 1
		.amdhsa_float_round_mode_32 0
		.amdhsa_float_round_mode_16_64 0
		.amdhsa_float_denorm_mode_32 3
		.amdhsa_float_denorm_mode_16_64 3
		.amdhsa_fp16_overflow 0
		.amdhsa_memory_ordered 1
		.amdhsa_forward_progress 1
		.amdhsa_inst_pref_size 5
		.amdhsa_round_robin_scheduling 0
		.amdhsa_exception_fp_ieee_invalid_op 0
		.amdhsa_exception_fp_denorm_src 0
		.amdhsa_exception_fp_ieee_div_zero 0
		.amdhsa_exception_fp_ieee_overflow 0
		.amdhsa_exception_fp_ieee_underflow 0
		.amdhsa_exception_fp_ieee_inexact 0
		.amdhsa_exception_int_div_zero 0
	.end_amdhsa_kernel
	.section	.text._ZN9rocsparseL35bsr2csr_block_dim_equals_one_kernelILj1024EdilEEvT2_S1_21rocsparse_index_base_PKT0_PKT1_PKS1_S2_PS3_PS6_PS1_,"axG",@progbits,_ZN9rocsparseL35bsr2csr_block_dim_equals_one_kernelILj1024EdilEEvT2_S1_21rocsparse_index_base_PKT0_PKT1_PKS1_S2_PS3_PS6_PS1_,comdat
.Lfunc_end234:
	.size	_ZN9rocsparseL35bsr2csr_block_dim_equals_one_kernelILj1024EdilEEvT2_S1_21rocsparse_index_base_PKT0_PKT1_PKS1_S2_PS3_PS6_PS1_, .Lfunc_end234-_ZN9rocsparseL35bsr2csr_block_dim_equals_one_kernelILj1024EdilEEvT2_S1_21rocsparse_index_base_PKT0_PKT1_PKS1_S2_PS3_PS6_PS1_
                                        ; -- End function
	.set _ZN9rocsparseL35bsr2csr_block_dim_equals_one_kernelILj1024EdilEEvT2_S1_21rocsparse_index_base_PKT0_PKT1_PKS1_S2_PS3_PS6_PS1_.num_vgpr, 12
	.set _ZN9rocsparseL35bsr2csr_block_dim_equals_one_kernelILj1024EdilEEvT2_S1_21rocsparse_index_base_PKT0_PKT1_PKS1_S2_PS3_PS6_PS1_.num_agpr, 0
	.set _ZN9rocsparseL35bsr2csr_block_dim_equals_one_kernelILj1024EdilEEvT2_S1_21rocsparse_index_base_PKT0_PKT1_PKS1_S2_PS3_PS6_PS1_.numbered_sgpr, 18
	.set _ZN9rocsparseL35bsr2csr_block_dim_equals_one_kernelILj1024EdilEEvT2_S1_21rocsparse_index_base_PKT0_PKT1_PKS1_S2_PS3_PS6_PS1_.num_named_barrier, 0
	.set _ZN9rocsparseL35bsr2csr_block_dim_equals_one_kernelILj1024EdilEEvT2_S1_21rocsparse_index_base_PKT0_PKT1_PKS1_S2_PS3_PS6_PS1_.private_seg_size, 0
	.set _ZN9rocsparseL35bsr2csr_block_dim_equals_one_kernelILj1024EdilEEvT2_S1_21rocsparse_index_base_PKT0_PKT1_PKS1_S2_PS3_PS6_PS1_.uses_vcc, 1
	.set _ZN9rocsparseL35bsr2csr_block_dim_equals_one_kernelILj1024EdilEEvT2_S1_21rocsparse_index_base_PKT0_PKT1_PKS1_S2_PS3_PS6_PS1_.uses_flat_scratch, 0
	.set _ZN9rocsparseL35bsr2csr_block_dim_equals_one_kernelILj1024EdilEEvT2_S1_21rocsparse_index_base_PKT0_PKT1_PKS1_S2_PS3_PS6_PS1_.has_dyn_sized_stack, 0
	.set _ZN9rocsparseL35bsr2csr_block_dim_equals_one_kernelILj1024EdilEEvT2_S1_21rocsparse_index_base_PKT0_PKT1_PKS1_S2_PS3_PS6_PS1_.has_recursion, 0
	.set _ZN9rocsparseL35bsr2csr_block_dim_equals_one_kernelILj1024EdilEEvT2_S1_21rocsparse_index_base_PKT0_PKT1_PKS1_S2_PS3_PS6_PS1_.has_indirect_call, 0
	.section	.AMDGPU.csdata,"",@progbits
; Kernel info:
; codeLenInByte = 520
; TotalNumSgprs: 20
; NumVgprs: 12
; ScratchSize: 0
; MemoryBound: 0
; FloatMode: 240
; IeeeMode: 1
; LDSByteSize: 0 bytes/workgroup (compile time only)
; SGPRBlocks: 0
; VGPRBlocks: 0
; NumSGPRsForWavesPerEU: 20
; NumVGPRsForWavesPerEU: 12
; NamedBarCnt: 0
; Occupancy: 16
; WaveLimiterHint : 0
; COMPUTE_PGM_RSRC2:SCRATCH_EN: 0
; COMPUTE_PGM_RSRC2:USER_SGPR: 2
; COMPUTE_PGM_RSRC2:TRAP_HANDLER: 0
; COMPUTE_PGM_RSRC2:TGID_X_EN: 1
; COMPUTE_PGM_RSRC2:TGID_Y_EN: 0
; COMPUTE_PGM_RSRC2:TGID_Z_EN: 0
; COMPUTE_PGM_RSRC2:TIDIG_COMP_CNT: 0
	.section	.text._ZN9rocsparseL32bsr2csr_block_per_row_2_7_kernelILj256ELj2EdilEEv20rocsparse_direction_T3_S2_21rocsparse_index_base_PKT1_PKT2_PKS2_S2_S3_PS4_PS7_PS2_,"axG",@progbits,_ZN9rocsparseL32bsr2csr_block_per_row_2_7_kernelILj256ELj2EdilEEv20rocsparse_direction_T3_S2_21rocsparse_index_base_PKT1_PKT2_PKS2_S2_S3_PS4_PS7_PS2_,comdat
	.globl	_ZN9rocsparseL32bsr2csr_block_per_row_2_7_kernelILj256ELj2EdilEEv20rocsparse_direction_T3_S2_21rocsparse_index_base_PKT1_PKT2_PKS2_S2_S3_PS4_PS7_PS2_ ; -- Begin function _ZN9rocsparseL32bsr2csr_block_per_row_2_7_kernelILj256ELj2EdilEEv20rocsparse_direction_T3_S2_21rocsparse_index_base_PKT1_PKT2_PKS2_S2_S3_PS4_PS7_PS2_
	.p2align	8
	.type	_ZN9rocsparseL32bsr2csr_block_per_row_2_7_kernelILj256ELj2EdilEEv20rocsparse_direction_T3_S2_21rocsparse_index_base_PKT1_PKT2_PKS2_S2_S3_PS4_PS7_PS2_,@function
_ZN9rocsparseL32bsr2csr_block_per_row_2_7_kernelILj256ELj2EdilEEv20rocsparse_direction_T3_S2_21rocsparse_index_base_PKT1_PKT2_PKS2_S2_S3_PS4_PS7_PS2_: ; @_ZN9rocsparseL32bsr2csr_block_per_row_2_7_kernelILj256ELj2EdilEEv20rocsparse_direction_T3_S2_21rocsparse_index_base_PKT1_PKT2_PKS2_S2_S3_PS4_PS7_PS2_
; %bb.0:
	s_load_b64 s[4:5], s[0:1], 0x28
	s_bfe_u32 s2, ttmp6, 0x4000c
	s_and_b32 s3, ttmp6, 15
	s_add_co_i32 s2, s2, 1
	s_getreg_b32 s6, hwreg(HW_REG_IB_STS2, 6, 4)
	s_mul_i32 s2, ttmp9, s2
	s_mov_b32 s7, 0
	s_add_co_i32 s3, s3, s2
	s_cmp_eq_u32 s6, 0
	s_clause 0x1
	s_load_b32 s2, s[0:1], 0x40
	s_load_b64 s[8:9], s[0:1], 0x50
	s_cselect_b32 s6, ttmp9, s3
	s_mov_b32 s3, exec_lo
	s_lshl_b64 s[10:11], s[6:7], 2
	v_or_b32_e32 v1, s6, v0
	s_wait_kmcnt 0x0
	s_add_nc_u64 s[4:5], s[4:5], s[10:11]
	s_load_b64 s[14:15], s[4:5], 0x0
	s_delay_alu instid0(VALU_DEP_1)
	v_cmpx_eq_u32_e32 0, v1
	s_cbranch_execz .LBB235_2
; %bb.1:
	v_dual_mov_b32 v1, 0 :: v_dual_mov_b32 v2, s2
	global_store_b32 v1, v2, s[8:9]
.LBB235_2:
	s_wait_xcnt 0x0
	s_or_b32 exec_lo, exec_lo, s3
	s_load_b32 s4, s[0:1], 0x18
	v_dual_lshrrev_b32 v0, 1, v0 :: v_dual_bitop2_b32 v8, 1, v0 bitop3:0x40
	s_lshl_b64 s[6:7], s[6:7], 3
	s_delay_alu instid0(SALU_CYCLE_1)
	s_add_nc_u64 s[6:7], s[8:9], s[6:7]
	s_wait_kmcnt 0x0
	s_sub_co_i32 s3, s14, s4
	s_sub_co_i32 s15, s15, s4
	s_lshl_b32 s10, s3, 2
	s_sub_co_i32 s5, s15, s3
	v_add_nc_u32_e32 v9, s3, v0
	s_lshl_b32 s5, s5, 1
	s_mov_b32 s3, exec_lo
	v_mul_lo_u32 v2, s5, v8
	s_add_co_i32 s5, s5, s2
	s_delay_alu instid0(VALU_DEP_1) | instid1(SALU_CYCLE_1)
	v_add3_u32 v1, s5, s10, v2
	global_store_b32 v8, v1, s[6:7] offset:4 scale_offset
	s_wait_xcnt 0x0
	v_cmpx_gt_i32_e64 s15, v9
	s_cbranch_execz .LBB235_5
; %bb.3:
	s_clause 0x4
	s_load_b64 s[6:7], s[0:1], 0x30
	s_load_b64 s[8:9], s[0:1], 0x48
	s_load_b32 s3, s[0:1], 0x0
	s_load_b64 s[10:11], s[0:1], 0x20
	s_load_b64 s[12:13], s[0:1], 0x58
	v_dual_lshlrev_b32 v3, 1, v0 :: v_dual_mov_b32 v1, 0
	v_dual_lshlrev_b32 v0, 4, v8 :: v_dual_lshlrev_b32 v6, 2, v9
	s_mov_b32 s5, 0
	s_wait_xcnt 0x0
	s_mov_b32 s1, s5
	s_wait_kmcnt 0x0
	s_cmp_eq_u32 s3, 0
	s_mov_b32 s3, s5
	s_cselect_b32 vcc_lo, -1, 0
	s_lshl_b32 s0, s14, 2
	s_delay_alu instid0(SALU_CYCLE_1) | instskip(SKIP_2) | instid1(VALU_DEP_2)
	v_add3_u32 v4, v2, s0, v3
	s_lshl_b32 s0, s4, 2
	v_add_nc_u64_e32 v[2:3], s[10:11], v[0:1]
	v_subrev_nc_u32_e32 v4, s0, v4
.LBB235_4:                              ; =>This Inner Loop Header: Depth=1
	v_dual_mov_b32 v7, v1 :: v_dual_add_nc_u32 v0, v8, v6
	global_load_b64 v[14:15], v9, s[6:7] scale_offset
	v_ashrrev_i32_e32 v5, 31, v4
	s_wait_xcnt 0x0
	v_add_nc_u32_e32 v9, 0x80, v9
	v_lshl_add_u64 v[10:11], v[6:7], 3, v[2:3]
	v_lshl_add_u64 v[12:13], v[0:1], 3, s[10:11]
	v_add_nc_u32_e32 v6, 0x200, v6
	s_delay_alu instid0(VALU_DEP_4) | instskip(NEXT) | instid1(VALU_DEP_4)
	v_cmp_le_i32_e64 s0, s15, v9
	v_add_nc_u64_e32 v[16:17], 8, v[10:11]
	s_delay_alu instid0(VALU_DEP_4) | instskip(SKIP_2) | instid1(VALU_DEP_2)
	v_add_nc_u64_e32 v[18:19], 16, v[12:13]
	v_dual_cndmask_b32 v21, v13, v11 :: v_dual_cndmask_b32 v20, v12, v10
	s_or_b32 s1, s0, s1
	v_dual_cndmask_b32 v17, v19, v17 :: v_dual_cndmask_b32 v16, v18, v16
	global_load_b64 v[10:11], v[20:21], off
	global_load_b64 v[12:13], v[16:17], off
	s_wait_xcnt 0x0
	v_lshlrev_b64_e32 v[16:17], 3, v[4:5]
	v_add_nc_u32_e32 v4, 0x100, v4
	s_delay_alu instid0(VALU_DEP_2) | instskip(SKIP_3) | instid1(VALU_DEP_1)
	v_add_nc_u64_e32 v[18:19], s[12:13], v[16:17]
	v_add_nc_u64_e32 v[20:21], s[8:9], v[16:17]
	s_wait_loadcnt 0x2
	v_sub_nc_u64_e64 v[14:15], v[14:15], s[4:5]
	v_lshl_add_u64 v[14:15], v[14:15], 1, s[2:3]
	s_delay_alu instid0(VALU_DEP_1)
	v_add_nc_u64_e32 v[16:17], 1, v[14:15]
	global_store_b128 v[18:19], v[14:17], off
	s_wait_loadcnt 0x0
	global_store_b128 v[20:21], v[10:13], off
	s_wait_xcnt 0x0
	s_and_not1_b32 exec_lo, exec_lo, s1
	s_cbranch_execnz .LBB235_4
.LBB235_5:
	s_endpgm
	.section	.rodata,"a",@progbits
	.p2align	6, 0x0
	.amdhsa_kernel _ZN9rocsparseL32bsr2csr_block_per_row_2_7_kernelILj256ELj2EdilEEv20rocsparse_direction_T3_S2_21rocsparse_index_base_PKT1_PKT2_PKS2_S2_S3_PS4_PS7_PS2_
		.amdhsa_group_segment_fixed_size 0
		.amdhsa_private_segment_fixed_size 0
		.amdhsa_kernarg_size 96
		.amdhsa_user_sgpr_count 2
		.amdhsa_user_sgpr_dispatch_ptr 0
		.amdhsa_user_sgpr_queue_ptr 0
		.amdhsa_user_sgpr_kernarg_segment_ptr 1
		.amdhsa_user_sgpr_dispatch_id 0
		.amdhsa_user_sgpr_kernarg_preload_length 0
		.amdhsa_user_sgpr_kernarg_preload_offset 0
		.amdhsa_user_sgpr_private_segment_size 0
		.amdhsa_wavefront_size32 1
		.amdhsa_uses_dynamic_stack 0
		.amdhsa_enable_private_segment 0
		.amdhsa_system_sgpr_workgroup_id_x 1
		.amdhsa_system_sgpr_workgroup_id_y 0
		.amdhsa_system_sgpr_workgroup_id_z 0
		.amdhsa_system_sgpr_workgroup_info 0
		.amdhsa_system_vgpr_workitem_id 0
		.amdhsa_next_free_vgpr 22
		.amdhsa_next_free_sgpr 16
		.amdhsa_named_barrier_count 0
		.amdhsa_reserve_vcc 1
		.amdhsa_float_round_mode_32 0
		.amdhsa_float_round_mode_16_64 0
		.amdhsa_float_denorm_mode_32 3
		.amdhsa_float_denorm_mode_16_64 3
		.amdhsa_fp16_overflow 0
		.amdhsa_memory_ordered 1
		.amdhsa_forward_progress 1
		.amdhsa_inst_pref_size 5
		.amdhsa_round_robin_scheduling 0
		.amdhsa_exception_fp_ieee_invalid_op 0
		.amdhsa_exception_fp_denorm_src 0
		.amdhsa_exception_fp_ieee_div_zero 0
		.amdhsa_exception_fp_ieee_overflow 0
		.amdhsa_exception_fp_ieee_underflow 0
		.amdhsa_exception_fp_ieee_inexact 0
		.amdhsa_exception_int_div_zero 0
	.end_amdhsa_kernel
	.section	.text._ZN9rocsparseL32bsr2csr_block_per_row_2_7_kernelILj256ELj2EdilEEv20rocsparse_direction_T3_S2_21rocsparse_index_base_PKT1_PKT2_PKS2_S2_S3_PS4_PS7_PS2_,"axG",@progbits,_ZN9rocsparseL32bsr2csr_block_per_row_2_7_kernelILj256ELj2EdilEEv20rocsparse_direction_T3_S2_21rocsparse_index_base_PKT1_PKT2_PKS2_S2_S3_PS4_PS7_PS2_,comdat
.Lfunc_end235:
	.size	_ZN9rocsparseL32bsr2csr_block_per_row_2_7_kernelILj256ELj2EdilEEv20rocsparse_direction_T3_S2_21rocsparse_index_base_PKT1_PKT2_PKS2_S2_S3_PS4_PS7_PS2_, .Lfunc_end235-_ZN9rocsparseL32bsr2csr_block_per_row_2_7_kernelILj256ELj2EdilEEv20rocsparse_direction_T3_S2_21rocsparse_index_base_PKT1_PKT2_PKS2_S2_S3_PS4_PS7_PS2_
                                        ; -- End function
	.set _ZN9rocsparseL32bsr2csr_block_per_row_2_7_kernelILj256ELj2EdilEEv20rocsparse_direction_T3_S2_21rocsparse_index_base_PKT1_PKT2_PKS2_S2_S3_PS4_PS7_PS2_.num_vgpr, 22
	.set _ZN9rocsparseL32bsr2csr_block_per_row_2_7_kernelILj256ELj2EdilEEv20rocsparse_direction_T3_S2_21rocsparse_index_base_PKT1_PKT2_PKS2_S2_S3_PS4_PS7_PS2_.num_agpr, 0
	.set _ZN9rocsparseL32bsr2csr_block_per_row_2_7_kernelILj256ELj2EdilEEv20rocsparse_direction_T3_S2_21rocsparse_index_base_PKT1_PKT2_PKS2_S2_S3_PS4_PS7_PS2_.numbered_sgpr, 16
	.set _ZN9rocsparseL32bsr2csr_block_per_row_2_7_kernelILj256ELj2EdilEEv20rocsparse_direction_T3_S2_21rocsparse_index_base_PKT1_PKT2_PKS2_S2_S3_PS4_PS7_PS2_.num_named_barrier, 0
	.set _ZN9rocsparseL32bsr2csr_block_per_row_2_7_kernelILj256ELj2EdilEEv20rocsparse_direction_T3_S2_21rocsparse_index_base_PKT1_PKT2_PKS2_S2_S3_PS4_PS7_PS2_.private_seg_size, 0
	.set _ZN9rocsparseL32bsr2csr_block_per_row_2_7_kernelILj256ELj2EdilEEv20rocsparse_direction_T3_S2_21rocsparse_index_base_PKT1_PKT2_PKS2_S2_S3_PS4_PS7_PS2_.uses_vcc, 1
	.set _ZN9rocsparseL32bsr2csr_block_per_row_2_7_kernelILj256ELj2EdilEEv20rocsparse_direction_T3_S2_21rocsparse_index_base_PKT1_PKT2_PKS2_S2_S3_PS4_PS7_PS2_.uses_flat_scratch, 0
	.set _ZN9rocsparseL32bsr2csr_block_per_row_2_7_kernelILj256ELj2EdilEEv20rocsparse_direction_T3_S2_21rocsparse_index_base_PKT1_PKT2_PKS2_S2_S3_PS4_PS7_PS2_.has_dyn_sized_stack, 0
	.set _ZN9rocsparseL32bsr2csr_block_per_row_2_7_kernelILj256ELj2EdilEEv20rocsparse_direction_T3_S2_21rocsparse_index_base_PKT1_PKT2_PKS2_S2_S3_PS4_PS7_PS2_.has_recursion, 0
	.set _ZN9rocsparseL32bsr2csr_block_per_row_2_7_kernelILj256ELj2EdilEEv20rocsparse_direction_T3_S2_21rocsparse_index_base_PKT1_PKT2_PKS2_S2_S3_PS4_PS7_PS2_.has_indirect_call, 0
	.section	.AMDGPU.csdata,"",@progbits
; Kernel info:
; codeLenInByte = 604
; TotalNumSgprs: 18
; NumVgprs: 22
; ScratchSize: 0
; MemoryBound: 0
; FloatMode: 240
; IeeeMode: 1
; LDSByteSize: 0 bytes/workgroup (compile time only)
; SGPRBlocks: 0
; VGPRBlocks: 1
; NumSGPRsForWavesPerEU: 18
; NumVGPRsForWavesPerEU: 22
; NamedBarCnt: 0
; Occupancy: 16
; WaveLimiterHint : 0
; COMPUTE_PGM_RSRC2:SCRATCH_EN: 0
; COMPUTE_PGM_RSRC2:USER_SGPR: 2
; COMPUTE_PGM_RSRC2:TRAP_HANDLER: 0
; COMPUTE_PGM_RSRC2:TGID_X_EN: 1
; COMPUTE_PGM_RSRC2:TGID_Y_EN: 0
; COMPUTE_PGM_RSRC2:TGID_Z_EN: 0
; COMPUTE_PGM_RSRC2:TIDIG_COMP_CNT: 0
	.section	.text._ZN9rocsparseL32bsr2csr_block_per_row_2_7_kernelILj256ELj3EdilEEv20rocsparse_direction_T3_S2_21rocsparse_index_base_PKT1_PKT2_PKS2_S2_S3_PS4_PS7_PS2_,"axG",@progbits,_ZN9rocsparseL32bsr2csr_block_per_row_2_7_kernelILj256ELj3EdilEEv20rocsparse_direction_T3_S2_21rocsparse_index_base_PKT1_PKT2_PKS2_S2_S3_PS4_PS7_PS2_,comdat
	.globl	_ZN9rocsparseL32bsr2csr_block_per_row_2_7_kernelILj256ELj3EdilEEv20rocsparse_direction_T3_S2_21rocsparse_index_base_PKT1_PKT2_PKS2_S2_S3_PS4_PS7_PS2_ ; -- Begin function _ZN9rocsparseL32bsr2csr_block_per_row_2_7_kernelILj256ELj3EdilEEv20rocsparse_direction_T3_S2_21rocsparse_index_base_PKT1_PKT2_PKS2_S2_S3_PS4_PS7_PS2_
	.p2align	8
	.type	_ZN9rocsparseL32bsr2csr_block_per_row_2_7_kernelILj256ELj3EdilEEv20rocsparse_direction_T3_S2_21rocsparse_index_base_PKT1_PKT2_PKS2_S2_S3_PS4_PS7_PS2_,@function
_ZN9rocsparseL32bsr2csr_block_per_row_2_7_kernelILj256ELj3EdilEEv20rocsparse_direction_T3_S2_21rocsparse_index_base_PKT1_PKT2_PKS2_S2_S3_PS4_PS7_PS2_: ; @_ZN9rocsparseL32bsr2csr_block_per_row_2_7_kernelILj256ELj3EdilEEv20rocsparse_direction_T3_S2_21rocsparse_index_base_PKT1_PKT2_PKS2_S2_S3_PS4_PS7_PS2_
; %bb.0:
	s_clause 0x1
	s_load_b32 s2, s[0:1], 0x40
	s_load_b64 s[6:7], s[0:1], 0x50
	s_bfe_u32 s3, ttmp6, 0x4000c
	s_and_b32 s4, ttmp6, 15
	s_add_co_i32 s3, s3, 1
	s_getreg_b32 s5, hwreg(HW_REG_IB_STS2, 6, 4)
	s_mul_i32 s3, ttmp9, s3
	s_mov_b32 s9, 0
	s_add_co_i32 s4, s4, s3
	s_cmp_eq_u32 s5, 0
	s_mov_b32 s3, exec_lo
	s_cselect_b32 s8, ttmp9, s4
	s_delay_alu instid0(SALU_CYCLE_1) | instskip(NEXT) | instid1(VALU_DEP_1)
	v_or_b32_e32 v1, s8, v0
	v_cmpx_eq_u32_e32 0, v1
	s_cbranch_execz .LBB236_2
; %bb.1:
	s_wait_kmcnt 0x0
	v_dual_mov_b32 v1, 0 :: v_dual_mov_b32 v2, s2
	global_store_b32 v1, v2, s[6:7]
.LBB236_2:
	s_wait_xcnt 0x0
	s_or_b32 exec_lo, exec_lo, s3
	v_and_b32_e32 v4, 3, v0
	s_mov_b32 s3, exec_lo
	s_delay_alu instid0(VALU_DEP_1)
	v_cmpx_ne_u32_e32 3, v4
	s_cbranch_execz .LBB236_6
; %bb.3:
	s_clause 0x1
	s_load_b64 s[10:11], s[0:1], 0x28
	s_load_b32 s4, s[0:1], 0x18
	s_lshl_b64 s[12:13], s[8:9], 2
	v_lshrrev_b32_e32 v2, 2, v0
	s_mul_u64 s[8:9], s[8:9], 12
	s_wait_kmcnt 0x0
	s_add_nc_u64 s[6:7], s[6:7], s[8:9]
	s_add_nc_u64 s[10:11], s[10:11], s[12:13]
	s_load_b64 s[12:13], s[10:11], 0x0
	s_wait_kmcnt 0x0
	s_sub_co_i32 s3, s12, s4
	s_sub_co_i32 s13, s13, s4
	v_add_nc_u32_e32 v8, s3, v2
	s_sub_co_i32 s5, s13, s3
	s_mul_i32 s10, s3, 9
	s_mul_i32 s5, s5, 3
	s_delay_alu instid0(SALU_CYCLE_1) | instskip(SKIP_2) | instid1(VALU_DEP_2)
	v_mul_lo_u32 v5, s5, v4
	s_add_co_i32 s5, s5, s2
	v_cmp_gt_i32_e32 vcc_lo, s13, v8
	v_add3_u32 v0, s5, s10, v5
	global_store_b32 v4, v0, s[6:7] offset:4 scale_offset
	s_wait_xcnt 0x0
	s_and_b32 exec_lo, exec_lo, vcc_lo
	s_cbranch_execz .LBB236_6
; %bb.4:
	s_clause 0x4
	s_load_b64 s[6:7], s[0:1], 0x48
	s_load_b64 s[14:15], s[0:1], 0x20
	s_load_b32 s3, s[0:1], 0x0
	s_load_b64 s[8:9], s[0:1], 0x30
	s_load_b64 s[10:11], s[0:1], 0x58
	v_dual_mov_b32 v1, 0 :: v_dual_lshlrev_b32 v0, 3, v4
	v_mul_u32_u24_e32 v6, 3, v2
	s_wait_xcnt 0x0
	s_mul_i32 s0, s12, 9
	s_mov_b32 s5, 0
	s_delay_alu instid0(SALU_CYCLE_1)
	s_mov_b32 s1, s5
	v_add3_u32 v6, v5, s0, v6
	s_mul_i32 s0, s4, 9
	s_delay_alu instid0(VALU_DEP_1) | instid1(SALU_CYCLE_1)
	v_subrev_nc_u32_e32 v6, s0, v6
	s_wait_kmcnt 0x0
	v_add_nc_u64_e32 v[2:3], s[14:15], v[0:1]
	v_lshlrev_b32_e32 v0, 4, v4
	s_cmp_eq_u32 s3, 0
	s_mov_b32 s3, s5
	s_cselect_b32 vcc_lo, -1, 0
	s_delay_alu instid0(VALU_DEP_1)
	v_add_nc_u64_e32 v[4:5], v[2:3], v[0:1]
	v_lshl_add_u32 v0, v8, 3, v8
.LBB236_5:                              ; =>This Inner Loop Header: Depth=1
	global_load_b64 v[14:15], v8, s[8:9] scale_offset
	v_lshlrev_b64_e32 v[10:11], 3, v[0:1]
	s_wait_xcnt 0x0
	v_dual_ashrrev_i32 v7, 31, v6 :: v_dual_add_nc_u32 v8, 64, v8
	v_add_nc_u32_e32 v0, 0x240, v0
	s_delay_alu instid0(VALU_DEP_2) | instskip(NEXT) | instid1(VALU_DEP_4)
	v_cmp_le_i32_e64 s0, s13, v8
	v_add_nc_u64_e32 v[12:13], v[4:5], v[10:11]
	v_add_nc_u64_e32 v[10:11], v[2:3], v[10:11]
	s_or_b32 s1, s0, s1
	s_delay_alu instid0(VALU_DEP_2) | instskip(NEXT) | instid1(VALU_DEP_2)
	v_add_nc_u64_e32 v[16:17], 16, v[12:13]
	v_add_nc_u64_e32 v[18:19], 48, v[10:11]
	;; [unrolled: 1-line block ×4, first 2 shown]
	v_dual_cndmask_b32 v25, v11, v13 :: v_dual_cndmask_b32 v24, v10, v12
	s_delay_alu instid0(VALU_DEP_4) | instskip(NEXT) | instid1(VALU_DEP_3)
	v_dual_cndmask_b32 v17, v19, v17 :: v_dual_cndmask_b32 v16, v18, v16
	v_dual_cndmask_b32 v19, v23, v21 :: v_dual_cndmask_b32 v18, v22, v20
	global_load_b64 v[20:21], v[16:17], off
	global_load_b64 v[10:11], v[24:25], off
	;; [unrolled: 1-line block ×3, first 2 shown]
	s_wait_loadcnt 0x3
	s_wait_xcnt 0x2
	v_sub_nc_u64_e64 v[16:17], v[14:15], s[4:5]
	s_delay_alu instid0(VALU_DEP_1) | instskip(NEXT) | instid1(VALU_DEP_1)
	v_mad_nc_u64_u32 v[14:15], v16, 3, s[2:3]
	v_mad_u32 v15, v17, 3, v15
	v_lshlrev_b64_e32 v[16:17], 3, v[6:7]
	s_wait_xcnt 0x1
	s_delay_alu instid0(VALU_DEP_1) | instskip(SKIP_2) | instid1(VALU_DEP_4)
	v_add_nc_u64_e32 v[24:25], s[6:7], v[16:17]
	v_add_nc_u64_e32 v[22:23], s[10:11], v[16:17]
	s_wait_xcnt 0x0
	v_add_nc_u64_e32 v[18:19], 2, v[14:15]
	v_add_nc_u64_e32 v[16:17], 1, v[14:15]
	global_store_b64 v6, v[18:19], s[10:11] offset:16 scale_offset
	s_wait_loadcnt 0x2
	global_store_b64 v6, v[20:21], s[6:7] offset:16 scale_offset
	s_wait_xcnt 0x0
	v_add_nc_u32_e32 v6, 0xc0, v6
	s_wait_loadcnt 0x0
	global_store_b128 v[24:25], v[10:13], off
	global_store_b128 v[22:23], v[14:17], off
	s_wait_xcnt 0x0
	s_and_not1_b32 exec_lo, exec_lo, s1
	s_cbranch_execnz .LBB236_5
.LBB236_6:
	s_endpgm
	.section	.rodata,"a",@progbits
	.p2align	6, 0x0
	.amdhsa_kernel _ZN9rocsparseL32bsr2csr_block_per_row_2_7_kernelILj256ELj3EdilEEv20rocsparse_direction_T3_S2_21rocsparse_index_base_PKT1_PKT2_PKS2_S2_S3_PS4_PS7_PS2_
		.amdhsa_group_segment_fixed_size 0
		.amdhsa_private_segment_fixed_size 0
		.amdhsa_kernarg_size 96
		.amdhsa_user_sgpr_count 2
		.amdhsa_user_sgpr_dispatch_ptr 0
		.amdhsa_user_sgpr_queue_ptr 0
		.amdhsa_user_sgpr_kernarg_segment_ptr 1
		.amdhsa_user_sgpr_dispatch_id 0
		.amdhsa_user_sgpr_kernarg_preload_length 0
		.amdhsa_user_sgpr_kernarg_preload_offset 0
		.amdhsa_user_sgpr_private_segment_size 0
		.amdhsa_wavefront_size32 1
		.amdhsa_uses_dynamic_stack 0
		.amdhsa_enable_private_segment 0
		.amdhsa_system_sgpr_workgroup_id_x 1
		.amdhsa_system_sgpr_workgroup_id_y 0
		.amdhsa_system_sgpr_workgroup_id_z 0
		.amdhsa_system_sgpr_workgroup_info 0
		.amdhsa_system_vgpr_workitem_id 0
		.amdhsa_next_free_vgpr 26
		.amdhsa_next_free_sgpr 16
		.amdhsa_named_barrier_count 0
		.amdhsa_reserve_vcc 1
		.amdhsa_float_round_mode_32 0
		.amdhsa_float_round_mode_16_64 0
		.amdhsa_float_denorm_mode_32 3
		.amdhsa_float_denorm_mode_16_64 3
		.amdhsa_fp16_overflow 0
		.amdhsa_memory_ordered 1
		.amdhsa_forward_progress 1
		.amdhsa_inst_pref_size 6
		.amdhsa_round_robin_scheduling 0
		.amdhsa_exception_fp_ieee_invalid_op 0
		.amdhsa_exception_fp_denorm_src 0
		.amdhsa_exception_fp_ieee_div_zero 0
		.amdhsa_exception_fp_ieee_overflow 0
		.amdhsa_exception_fp_ieee_underflow 0
		.amdhsa_exception_fp_ieee_inexact 0
		.amdhsa_exception_int_div_zero 0
	.end_amdhsa_kernel
	.section	.text._ZN9rocsparseL32bsr2csr_block_per_row_2_7_kernelILj256ELj3EdilEEv20rocsparse_direction_T3_S2_21rocsparse_index_base_PKT1_PKT2_PKS2_S2_S3_PS4_PS7_PS2_,"axG",@progbits,_ZN9rocsparseL32bsr2csr_block_per_row_2_7_kernelILj256ELj3EdilEEv20rocsparse_direction_T3_S2_21rocsparse_index_base_PKT1_PKT2_PKS2_S2_S3_PS4_PS7_PS2_,comdat
.Lfunc_end236:
	.size	_ZN9rocsparseL32bsr2csr_block_per_row_2_7_kernelILj256ELj3EdilEEv20rocsparse_direction_T3_S2_21rocsparse_index_base_PKT1_PKT2_PKS2_S2_S3_PS4_PS7_PS2_, .Lfunc_end236-_ZN9rocsparseL32bsr2csr_block_per_row_2_7_kernelILj256ELj3EdilEEv20rocsparse_direction_T3_S2_21rocsparse_index_base_PKT1_PKT2_PKS2_S2_S3_PS4_PS7_PS2_
                                        ; -- End function
	.set _ZN9rocsparseL32bsr2csr_block_per_row_2_7_kernelILj256ELj3EdilEEv20rocsparse_direction_T3_S2_21rocsparse_index_base_PKT1_PKT2_PKS2_S2_S3_PS4_PS7_PS2_.num_vgpr, 26
	.set _ZN9rocsparseL32bsr2csr_block_per_row_2_7_kernelILj256ELj3EdilEEv20rocsparse_direction_T3_S2_21rocsparse_index_base_PKT1_PKT2_PKS2_S2_S3_PS4_PS7_PS2_.num_agpr, 0
	.set _ZN9rocsparseL32bsr2csr_block_per_row_2_7_kernelILj256ELj3EdilEEv20rocsparse_direction_T3_S2_21rocsparse_index_base_PKT1_PKT2_PKS2_S2_S3_PS4_PS7_PS2_.numbered_sgpr, 16
	.set _ZN9rocsparseL32bsr2csr_block_per_row_2_7_kernelILj256ELj3EdilEEv20rocsparse_direction_T3_S2_21rocsparse_index_base_PKT1_PKT2_PKS2_S2_S3_PS4_PS7_PS2_.num_named_barrier, 0
	.set _ZN9rocsparseL32bsr2csr_block_per_row_2_7_kernelILj256ELj3EdilEEv20rocsparse_direction_T3_S2_21rocsparse_index_base_PKT1_PKT2_PKS2_S2_S3_PS4_PS7_PS2_.private_seg_size, 0
	.set _ZN9rocsparseL32bsr2csr_block_per_row_2_7_kernelILj256ELj3EdilEEv20rocsparse_direction_T3_S2_21rocsparse_index_base_PKT1_PKT2_PKS2_S2_S3_PS4_PS7_PS2_.uses_vcc, 1
	.set _ZN9rocsparseL32bsr2csr_block_per_row_2_7_kernelILj256ELj3EdilEEv20rocsparse_direction_T3_S2_21rocsparse_index_base_PKT1_PKT2_PKS2_S2_S3_PS4_PS7_PS2_.uses_flat_scratch, 0
	.set _ZN9rocsparseL32bsr2csr_block_per_row_2_7_kernelILj256ELj3EdilEEv20rocsparse_direction_T3_S2_21rocsparse_index_base_PKT1_PKT2_PKS2_S2_S3_PS4_PS7_PS2_.has_dyn_sized_stack, 0
	.set _ZN9rocsparseL32bsr2csr_block_per_row_2_7_kernelILj256ELj3EdilEEv20rocsparse_direction_T3_S2_21rocsparse_index_base_PKT1_PKT2_PKS2_S2_S3_PS4_PS7_PS2_.has_recursion, 0
	.set _ZN9rocsparseL32bsr2csr_block_per_row_2_7_kernelILj256ELj3EdilEEv20rocsparse_direction_T3_S2_21rocsparse_index_base_PKT1_PKT2_PKS2_S2_S3_PS4_PS7_PS2_.has_indirect_call, 0
	.section	.AMDGPU.csdata,"",@progbits
; Kernel info:
; codeLenInByte = 700
; TotalNumSgprs: 18
; NumVgprs: 26
; ScratchSize: 0
; MemoryBound: 0
; FloatMode: 240
; IeeeMode: 1
; LDSByteSize: 0 bytes/workgroup (compile time only)
; SGPRBlocks: 0
; VGPRBlocks: 1
; NumSGPRsForWavesPerEU: 18
; NumVGPRsForWavesPerEU: 26
; NamedBarCnt: 0
; Occupancy: 16
; WaveLimiterHint : 0
; COMPUTE_PGM_RSRC2:SCRATCH_EN: 0
; COMPUTE_PGM_RSRC2:USER_SGPR: 2
; COMPUTE_PGM_RSRC2:TRAP_HANDLER: 0
; COMPUTE_PGM_RSRC2:TGID_X_EN: 1
; COMPUTE_PGM_RSRC2:TGID_Y_EN: 0
; COMPUTE_PGM_RSRC2:TGID_Z_EN: 0
; COMPUTE_PGM_RSRC2:TIDIG_COMP_CNT: 0
	.section	.text._ZN9rocsparseL32bsr2csr_block_per_row_2_7_kernelILj256ELj4EdilEEv20rocsparse_direction_T3_S2_21rocsparse_index_base_PKT1_PKT2_PKS2_S2_S3_PS4_PS7_PS2_,"axG",@progbits,_ZN9rocsparseL32bsr2csr_block_per_row_2_7_kernelILj256ELj4EdilEEv20rocsparse_direction_T3_S2_21rocsparse_index_base_PKT1_PKT2_PKS2_S2_S3_PS4_PS7_PS2_,comdat
	.globl	_ZN9rocsparseL32bsr2csr_block_per_row_2_7_kernelILj256ELj4EdilEEv20rocsparse_direction_T3_S2_21rocsparse_index_base_PKT1_PKT2_PKS2_S2_S3_PS4_PS7_PS2_ ; -- Begin function _ZN9rocsparseL32bsr2csr_block_per_row_2_7_kernelILj256ELj4EdilEEv20rocsparse_direction_T3_S2_21rocsparse_index_base_PKT1_PKT2_PKS2_S2_S3_PS4_PS7_PS2_
	.p2align	8
	.type	_ZN9rocsparseL32bsr2csr_block_per_row_2_7_kernelILj256ELj4EdilEEv20rocsparse_direction_T3_S2_21rocsparse_index_base_PKT1_PKT2_PKS2_S2_S3_PS4_PS7_PS2_,@function
_ZN9rocsparseL32bsr2csr_block_per_row_2_7_kernelILj256ELj4EdilEEv20rocsparse_direction_T3_S2_21rocsparse_index_base_PKT1_PKT2_PKS2_S2_S3_PS4_PS7_PS2_: ; @_ZN9rocsparseL32bsr2csr_block_per_row_2_7_kernelILj256ELj4EdilEEv20rocsparse_direction_T3_S2_21rocsparse_index_base_PKT1_PKT2_PKS2_S2_S3_PS4_PS7_PS2_
; %bb.0:
	s_load_b64 s[4:5], s[0:1], 0x28
	s_bfe_u32 s2, ttmp6, 0x4000c
	s_and_b32 s3, ttmp6, 15
	s_add_co_i32 s2, s2, 1
	s_getreg_b32 s6, hwreg(HW_REG_IB_STS2, 6, 4)
	s_mul_i32 s2, ttmp9, s2
	s_mov_b32 s7, 0
	s_add_co_i32 s3, s3, s2
	s_cmp_eq_u32 s6, 0
	s_clause 0x1
	s_load_b32 s2, s[0:1], 0x40
	s_load_b64 s[8:9], s[0:1], 0x50
	s_cselect_b32 s6, ttmp9, s3
	s_mov_b32 s3, exec_lo
	s_lshl_b64 s[10:11], s[6:7], 2
	v_or_b32_e32 v1, s6, v0
	s_wait_kmcnt 0x0
	s_add_nc_u64 s[4:5], s[4:5], s[10:11]
	s_load_b64 s[14:15], s[4:5], 0x0
	s_delay_alu instid0(VALU_DEP_1)
	v_cmpx_eq_u32_e32 0, v1
	s_cbranch_execz .LBB237_2
; %bb.1:
	v_dual_mov_b32 v1, 0 :: v_dual_mov_b32 v2, s2
	global_store_b32 v1, v2, s[8:9]
.LBB237_2:
	s_wait_xcnt 0x0
	s_or_b32 exec_lo, exec_lo, s3
	s_load_b32 s4, s[0:1], 0x18
	v_dual_lshrrev_b32 v0, 2, v0 :: v_dual_bitop2_b32 v8, 3, v0 bitop3:0x40
	s_lshl_b64 s[6:7], s[6:7], 4
	s_delay_alu instid0(SALU_CYCLE_1)
	s_add_nc_u64 s[6:7], s[8:9], s[6:7]
	s_wait_kmcnt 0x0
	s_sub_co_i32 s3, s14, s4
	s_sub_co_i32 s15, s15, s4
	s_lshl_b32 s10, s3, 4
	s_sub_co_i32 s5, s15, s3
	v_add_nc_u32_e32 v9, s3, v0
	s_lshl_b32 s5, s5, 2
	s_mov_b32 s3, exec_lo
	v_mul_lo_u32 v2, s5, v8
	s_add_co_i32 s5, s5, s2
	s_delay_alu instid0(VALU_DEP_1) | instid1(SALU_CYCLE_1)
	v_add3_u32 v1, s5, s10, v2
	global_store_b32 v8, v1, s[6:7] offset:4 scale_offset
	s_wait_xcnt 0x0
	v_cmpx_gt_i32_e64 s15, v9
	s_cbranch_execz .LBB237_5
; %bb.3:
	s_clause 0x4
	s_load_b64 s[6:7], s[0:1], 0x30
	s_load_b64 s[8:9], s[0:1], 0x48
	s_load_b32 s3, s[0:1], 0x0
	s_load_b64 s[10:11], s[0:1], 0x20
	s_load_b64 s[12:13], s[0:1], 0x58
	v_dual_lshlrev_b32 v3, 2, v0 :: v_dual_mov_b32 v1, 0
	v_dual_lshlrev_b32 v0, 5, v8 :: v_dual_lshlrev_b32 v6, 4, v9
	s_mov_b32 s5, 0
	s_wait_xcnt 0x0
	s_mov_b32 s1, s5
	s_wait_kmcnt 0x0
	s_cmp_eq_u32 s3, 0
	s_mov_b32 s3, s5
	s_cselect_b32 vcc_lo, -1, 0
	s_lshl_b32 s0, s14, 4
	s_delay_alu instid0(SALU_CYCLE_1) | instskip(SKIP_2) | instid1(VALU_DEP_2)
	v_add3_u32 v4, v2, s0, v3
	s_lshl_b32 s0, s4, 4
	v_add_nc_u64_e32 v[2:3], s[10:11], v[0:1]
	v_subrev_nc_u32_e32 v4, s0, v4
.LBB237_4:                              ; =>This Inner Loop Header: Depth=1
	v_dual_mov_b32 v7, v1 :: v_dual_add_nc_u32 v0, v8, v6
	global_load_b64 v[18:19], v9, s[6:7] scale_offset
	s_wait_xcnt 0x0
	v_dual_ashrrev_i32 v5, 31, v4 :: v_dual_add_nc_u32 v9, 64, v9
	v_lshl_add_u64 v[10:11], v[6:7], 3, v[2:3]
	v_lshl_add_u64 v[12:13], v[0:1], 3, s[10:11]
	v_add_nc_u32_e32 v6, 0x400, v6
	s_delay_alu instid0(VALU_DEP_4) | instskip(NEXT) | instid1(VALU_DEP_4)
	v_cmp_le_i32_e64 s0, s15, v9
	v_add_nc_u64_e32 v[14:15], 8, v[10:11]
	s_delay_alu instid0(VALU_DEP_4)
	v_add_nc_u64_e32 v[16:17], 32, v[12:13]
	v_add_nc_u64_e32 v[20:21], 16, v[10:11]
	;; [unrolled: 1-line block ×5, first 2 shown]
	v_dual_cndmask_b32 v29, v13, v11 :: v_dual_cndmask_b32 v28, v12, v10
	v_dual_cndmask_b32 v31, v17, v15 :: v_dual_cndmask_b32 v30, v16, v14
	;; [unrolled: 1-line block ×3, first 2 shown]
	s_delay_alu instid0(VALU_DEP_4)
	v_dual_cndmask_b32 v23, v27, v25 :: v_dual_cndmask_b32 v22, v26, v24
	global_load_b64 v[10:11], v[28:29], off
	global_load_b64 v[12:13], v[30:31], off
	;; [unrolled: 1-line block ×4, first 2 shown]
	s_wait_xcnt 0x1
	v_lshlrev_b64_e32 v[20:21], 3, v[4:5]
	v_add_nc_u32_e32 v4, 0x100, v4
	s_or_b32 s1, s0, s1
	s_delay_alu instid0(VALU_DEP_2) | instskip(SKIP_3) | instid1(VALU_DEP_1)
	v_add_nc_u64_e32 v[26:27], s[12:13], v[20:21]
	v_add_nc_u64_e32 v[28:29], s[8:9], v[20:21]
	s_wait_loadcnt 0x4
	v_sub_nc_u64_e64 v[18:19], v[18:19], s[4:5]
	v_lshl_add_u64 v[18:19], v[18:19], 2, s[2:3]
	s_delay_alu instid0(VALU_DEP_1)
	v_add_nc_u64_e32 v[20:21], 1, v[18:19]
	s_wait_xcnt 0x0
	v_add_nc_u64_e32 v[22:23], 2, v[18:19]
	v_add_nc_u64_e32 v[24:25], 3, v[18:19]
	s_clause 0x1
	global_store_b128 v[26:27], v[18:21], off
	global_store_b128 v[26:27], v[22:25], off offset:16
	s_wait_loadcnt 0x2
	global_store_b128 v[28:29], v[10:13], off
	s_wait_loadcnt 0x0
	global_store_b128 v[28:29], v[14:17], off offset:16
	s_wait_xcnt 0x0
	s_and_not1_b32 exec_lo, exec_lo, s1
	s_cbranch_execnz .LBB237_4
.LBB237_5:
	s_endpgm
	.section	.rodata,"a",@progbits
	.p2align	6, 0x0
	.amdhsa_kernel _ZN9rocsparseL32bsr2csr_block_per_row_2_7_kernelILj256ELj4EdilEEv20rocsparse_direction_T3_S2_21rocsparse_index_base_PKT1_PKT2_PKS2_S2_S3_PS4_PS7_PS2_
		.amdhsa_group_segment_fixed_size 0
		.amdhsa_private_segment_fixed_size 0
		.amdhsa_kernarg_size 96
		.amdhsa_user_sgpr_count 2
		.amdhsa_user_sgpr_dispatch_ptr 0
		.amdhsa_user_sgpr_queue_ptr 0
		.amdhsa_user_sgpr_kernarg_segment_ptr 1
		.amdhsa_user_sgpr_dispatch_id 0
		.amdhsa_user_sgpr_kernarg_preload_length 0
		.amdhsa_user_sgpr_kernarg_preload_offset 0
		.amdhsa_user_sgpr_private_segment_size 0
		.amdhsa_wavefront_size32 1
		.amdhsa_uses_dynamic_stack 0
		.amdhsa_enable_private_segment 0
		.amdhsa_system_sgpr_workgroup_id_x 1
		.amdhsa_system_sgpr_workgroup_id_y 0
		.amdhsa_system_sgpr_workgroup_id_z 0
		.amdhsa_system_sgpr_workgroup_info 0
		.amdhsa_system_vgpr_workitem_id 0
		.amdhsa_next_free_vgpr 32
		.amdhsa_next_free_sgpr 16
		.amdhsa_named_barrier_count 0
		.amdhsa_reserve_vcc 1
		.amdhsa_float_round_mode_32 0
		.amdhsa_float_round_mode_16_64 0
		.amdhsa_float_denorm_mode_32 3
		.amdhsa_float_denorm_mode_16_64 3
		.amdhsa_fp16_overflow 0
		.amdhsa_memory_ordered 1
		.amdhsa_forward_progress 1
		.amdhsa_inst_pref_size 6
		.amdhsa_round_robin_scheduling 0
		.amdhsa_exception_fp_ieee_invalid_op 0
		.amdhsa_exception_fp_denorm_src 0
		.amdhsa_exception_fp_ieee_div_zero 0
		.amdhsa_exception_fp_ieee_overflow 0
		.amdhsa_exception_fp_ieee_underflow 0
		.amdhsa_exception_fp_ieee_inexact 0
		.amdhsa_exception_int_div_zero 0
	.end_amdhsa_kernel
	.section	.text._ZN9rocsparseL32bsr2csr_block_per_row_2_7_kernelILj256ELj4EdilEEv20rocsparse_direction_T3_S2_21rocsparse_index_base_PKT1_PKT2_PKS2_S2_S3_PS4_PS7_PS2_,"axG",@progbits,_ZN9rocsparseL32bsr2csr_block_per_row_2_7_kernelILj256ELj4EdilEEv20rocsparse_direction_T3_S2_21rocsparse_index_base_PKT1_PKT2_PKS2_S2_S3_PS4_PS7_PS2_,comdat
.Lfunc_end237:
	.size	_ZN9rocsparseL32bsr2csr_block_per_row_2_7_kernelILj256ELj4EdilEEv20rocsparse_direction_T3_S2_21rocsparse_index_base_PKT1_PKT2_PKS2_S2_S3_PS4_PS7_PS2_, .Lfunc_end237-_ZN9rocsparseL32bsr2csr_block_per_row_2_7_kernelILj256ELj4EdilEEv20rocsparse_direction_T3_S2_21rocsparse_index_base_PKT1_PKT2_PKS2_S2_S3_PS4_PS7_PS2_
                                        ; -- End function
	.set _ZN9rocsparseL32bsr2csr_block_per_row_2_7_kernelILj256ELj4EdilEEv20rocsparse_direction_T3_S2_21rocsparse_index_base_PKT1_PKT2_PKS2_S2_S3_PS4_PS7_PS2_.num_vgpr, 32
	.set _ZN9rocsparseL32bsr2csr_block_per_row_2_7_kernelILj256ELj4EdilEEv20rocsparse_direction_T3_S2_21rocsparse_index_base_PKT1_PKT2_PKS2_S2_S3_PS4_PS7_PS2_.num_agpr, 0
	.set _ZN9rocsparseL32bsr2csr_block_per_row_2_7_kernelILj256ELj4EdilEEv20rocsparse_direction_T3_S2_21rocsparse_index_base_PKT1_PKT2_PKS2_S2_S3_PS4_PS7_PS2_.numbered_sgpr, 16
	.set _ZN9rocsparseL32bsr2csr_block_per_row_2_7_kernelILj256ELj4EdilEEv20rocsparse_direction_T3_S2_21rocsparse_index_base_PKT1_PKT2_PKS2_S2_S3_PS4_PS7_PS2_.num_named_barrier, 0
	.set _ZN9rocsparseL32bsr2csr_block_per_row_2_7_kernelILj256ELj4EdilEEv20rocsparse_direction_T3_S2_21rocsparse_index_base_PKT1_PKT2_PKS2_S2_S3_PS4_PS7_PS2_.private_seg_size, 0
	.set _ZN9rocsparseL32bsr2csr_block_per_row_2_7_kernelILj256ELj4EdilEEv20rocsparse_direction_T3_S2_21rocsparse_index_base_PKT1_PKT2_PKS2_S2_S3_PS4_PS7_PS2_.uses_vcc, 1
	.set _ZN9rocsparseL32bsr2csr_block_per_row_2_7_kernelILj256ELj4EdilEEv20rocsparse_direction_T3_S2_21rocsparse_index_base_PKT1_PKT2_PKS2_S2_S3_PS4_PS7_PS2_.uses_flat_scratch, 0
	.set _ZN9rocsparseL32bsr2csr_block_per_row_2_7_kernelILj256ELj4EdilEEv20rocsparse_direction_T3_S2_21rocsparse_index_base_PKT1_PKT2_PKS2_S2_S3_PS4_PS7_PS2_.has_dyn_sized_stack, 0
	.set _ZN9rocsparseL32bsr2csr_block_per_row_2_7_kernelILj256ELj4EdilEEv20rocsparse_direction_T3_S2_21rocsparse_index_base_PKT1_PKT2_PKS2_S2_S3_PS4_PS7_PS2_.has_recursion, 0
	.set _ZN9rocsparseL32bsr2csr_block_per_row_2_7_kernelILj256ELj4EdilEEv20rocsparse_direction_T3_S2_21rocsparse_index_base_PKT1_PKT2_PKS2_S2_S3_PS4_PS7_PS2_.has_indirect_call, 0
	.section	.AMDGPU.csdata,"",@progbits
; Kernel info:
; codeLenInByte = 712
; TotalNumSgprs: 18
; NumVgprs: 32
; ScratchSize: 0
; MemoryBound: 0
; FloatMode: 240
; IeeeMode: 1
; LDSByteSize: 0 bytes/workgroup (compile time only)
; SGPRBlocks: 0
; VGPRBlocks: 1
; NumSGPRsForWavesPerEU: 18
; NumVGPRsForWavesPerEU: 32
; NamedBarCnt: 0
; Occupancy: 16
; WaveLimiterHint : 0
; COMPUTE_PGM_RSRC2:SCRATCH_EN: 0
; COMPUTE_PGM_RSRC2:USER_SGPR: 2
; COMPUTE_PGM_RSRC2:TRAP_HANDLER: 0
; COMPUTE_PGM_RSRC2:TGID_X_EN: 1
; COMPUTE_PGM_RSRC2:TGID_Y_EN: 0
; COMPUTE_PGM_RSRC2:TGID_Z_EN: 0
; COMPUTE_PGM_RSRC2:TIDIG_COMP_CNT: 0
	.section	.text._ZN9rocsparseL32bsr2csr_block_per_row_2_7_kernelILj256ELj5EdilEEv20rocsparse_direction_T3_S2_21rocsparse_index_base_PKT1_PKT2_PKS2_S2_S3_PS4_PS7_PS2_,"axG",@progbits,_ZN9rocsparseL32bsr2csr_block_per_row_2_7_kernelILj256ELj5EdilEEv20rocsparse_direction_T3_S2_21rocsparse_index_base_PKT1_PKT2_PKS2_S2_S3_PS4_PS7_PS2_,comdat
	.globl	_ZN9rocsparseL32bsr2csr_block_per_row_2_7_kernelILj256ELj5EdilEEv20rocsparse_direction_T3_S2_21rocsparse_index_base_PKT1_PKT2_PKS2_S2_S3_PS4_PS7_PS2_ ; -- Begin function _ZN9rocsparseL32bsr2csr_block_per_row_2_7_kernelILj256ELj5EdilEEv20rocsparse_direction_T3_S2_21rocsparse_index_base_PKT1_PKT2_PKS2_S2_S3_PS4_PS7_PS2_
	.p2align	8
	.type	_ZN9rocsparseL32bsr2csr_block_per_row_2_7_kernelILj256ELj5EdilEEv20rocsparse_direction_T3_S2_21rocsparse_index_base_PKT1_PKT2_PKS2_S2_S3_PS4_PS7_PS2_,@function
_ZN9rocsparseL32bsr2csr_block_per_row_2_7_kernelILj256ELj5EdilEEv20rocsparse_direction_T3_S2_21rocsparse_index_base_PKT1_PKT2_PKS2_S2_S3_PS4_PS7_PS2_: ; @_ZN9rocsparseL32bsr2csr_block_per_row_2_7_kernelILj256ELj5EdilEEv20rocsparse_direction_T3_S2_21rocsparse_index_base_PKT1_PKT2_PKS2_S2_S3_PS4_PS7_PS2_
; %bb.0:
	s_clause 0x1
	s_load_b32 s2, s[0:1], 0x40
	s_load_b64 s[6:7], s[0:1], 0x50
	s_bfe_u32 s3, ttmp6, 0x4000c
	s_and_b32 s4, ttmp6, 15
	s_add_co_i32 s3, s3, 1
	s_getreg_b32 s5, hwreg(HW_REG_IB_STS2, 6, 4)
	s_mul_i32 s3, ttmp9, s3
	s_mov_b32 s9, 0
	s_add_co_i32 s4, s4, s3
	s_cmp_eq_u32 s5, 0
	s_mov_b32 s3, exec_lo
	s_cselect_b32 s8, ttmp9, s4
	s_delay_alu instid0(SALU_CYCLE_1) | instskip(NEXT) | instid1(VALU_DEP_1)
	v_or_b32_e32 v1, s8, v0
	v_cmpx_eq_u32_e32 0, v1
	s_cbranch_execz .LBB238_2
; %bb.1:
	s_wait_kmcnt 0x0
	v_dual_mov_b32 v1, 0 :: v_dual_mov_b32 v2, s2
	global_store_b32 v1, v2, s[6:7]
.LBB238_2:
	s_wait_xcnt 0x0
	s_or_b32 exec_lo, exec_lo, s3
	v_and_b32_e32 v4, 7, v0
	s_mov_b32 s3, exec_lo
	s_delay_alu instid0(VALU_DEP_1)
	v_cmpx_gt_u32_e32 5, v4
	s_cbranch_execz .LBB238_6
; %bb.3:
	s_clause 0x1
	s_load_b64 s[10:11], s[0:1], 0x28
	s_load_b32 s4, s[0:1], 0x18
	s_lshl_b64 s[12:13], s[8:9], 2
	v_lshrrev_b32_e32 v5, 3, v0
	s_mul_u64 s[8:9], s[8:9], 20
	s_wait_kmcnt 0x0
	s_add_nc_u64 s[6:7], s[6:7], s[8:9]
	s_add_nc_u64 s[10:11], s[10:11], s[12:13]
	s_load_b64 s[12:13], s[10:11], 0x0
	s_wait_kmcnt 0x0
	s_sub_co_i32 s3, s12, s4
	s_sub_co_i32 s13, s13, s4
	v_add_nc_u32_e32 v8, s3, v5
	s_sub_co_i32 s5, s13, s3
	s_mul_i32 s10, s3, 25
	s_mul_i32 s5, s5, 5
	s_delay_alu instid0(SALU_CYCLE_1) | instskip(SKIP_2) | instid1(VALU_DEP_2)
	v_mul_lo_u32 v6, s5, v4
	s_add_co_i32 s5, s5, s2
	v_cmp_gt_i32_e32 vcc_lo, s13, v8
	v_add3_u32 v0, s5, s10, v6
	global_store_b32 v4, v0, s[6:7] offset:4 scale_offset
	s_wait_xcnt 0x0
	s_and_b32 exec_lo, exec_lo, vcc_lo
	s_cbranch_execz .LBB238_6
; %bb.4:
	s_clause 0x2
	s_load_b64 s[6:7], s[0:1], 0x48
	s_load_b64 s[14:15], s[0:1], 0x20
	s_load_b32 s3, s[0:1], 0x0
	v_dual_mov_b32 v1, 0 :: v_dual_lshlrev_b32 v0, 3, v4
	s_clause 0x1
	s_load_b64 s[8:9], s[0:1], 0x30
	s_load_b64 s[10:11], s[0:1], 0x58
	v_mul_u32_u24_e32 v7, 5, v5
	s_wait_xcnt 0x0
	s_mul_i32 s0, s12, 25
	s_mov_b32 s5, 0
	s_delay_alu instid0(SALU_CYCLE_1)
	s_mov_b32 s1, s5
	v_add3_u32 v6, v6, s0, v7
	s_mul_i32 s0, s4, 25
	s_delay_alu instid0(VALU_DEP_1) | instid1(SALU_CYCLE_1)
	v_subrev_nc_u32_e32 v6, s0, v6
	s_wait_kmcnt 0x0
	v_add_nc_u64_e32 v[2:3], s[14:15], v[0:1]
	v_lshlrev_b32_e32 v0, 5, v4
	s_cmp_eq_u32 s3, 0
	s_mov_b32 s3, s5
	s_cselect_b32 vcc_lo, -1, 0
	s_delay_alu instid0(VALU_DEP_1)
	v_add_nc_u64_e32 v[4:5], v[2:3], v[0:1]
	v_mul_lo_u32 v0, v8, 25
.LBB238_5:                              ; =>This Inner Loop Header: Depth=1
	global_load_b64 v[18:19], v8, s[8:9] scale_offset
	v_lshlrev_b64_e32 v[10:11], 3, v[0:1]
	s_wait_xcnt 0x0
	v_dual_ashrrev_i32 v7, 31, v6 :: v_dual_add_nc_u32 v8, 32, v8
	v_add_nc_u32_e32 v0, 0x320, v0
	s_delay_alu instid0(VALU_DEP_2) | instskip(NEXT) | instid1(VALU_DEP_4)
	v_cmp_le_i32_e64 s0, s13, v8
	v_add_nc_u64_e32 v[12:13], v[2:3], v[10:11]
	v_add_nc_u64_e32 v[10:11], v[4:5], v[10:11]
	s_or_b32 s1, s0, s1
	s_delay_alu instid0(VALU_DEP_2) | instskip(NEXT) | instid1(VALU_DEP_2)
	v_add_nc_u64_e32 v[24:25], 0x50, v[12:13]
	v_add_nc_u64_e32 v[22:23], 16, v[10:11]
	;; [unrolled: 1-line block ×6, first 2 shown]
	v_dual_cndmask_b32 v15, v13, v11 :: v_dual_cndmask_b32 v14, v12, v10
	v_add_nc_u64_e32 v[30:31], 24, v[10:11]
	v_add_nc_u64_e32 v[12:13], 0x78, v[12:13]
	v_dual_cndmask_b32 v23, v25, v23 :: v_dual_cndmask_b32 v26, v28, v26
	v_dual_cndmask_b32 v27, v29, v27 :: v_dual_cndmask_b32 v22, v24, v22
	;; [unrolled: 1-line block ×3, first 2 shown]
	s_delay_alu instid0(VALU_DEP_4)
	v_dual_cndmask_b32 v25, v13, v31 :: v_dual_cndmask_b32 v24, v12, v30
	global_load_b64 v[10:11], v[14:15], off
	global_load_b64 v[28:29], v[26:27], off
	;; [unrolled: 1-line block ×5, first 2 shown]
	s_wait_loadcnt 0x5
	s_wait_xcnt 0x2
	v_sub_nc_u64_e64 v[20:21], v[18:19], s[4:5]
	s_delay_alu instid0(VALU_DEP_1) | instskip(NEXT) | instid1(VALU_DEP_1)
	v_mad_nc_u64_u32 v[18:19], v20, 5, s[2:3]
	v_mad_u32 v19, v21, 5, v19
	v_lshlrev_b64_e32 v[20:21], 3, v[6:7]
	s_delay_alu instid0(VALU_DEP_1) | instskip(SKIP_1) | instid1(VALU_DEP_4)
	v_add_nc_u64_e32 v[32:33], s[6:7], v[20:21]
	v_add_nc_u64_e32 v[26:27], s[10:11], v[20:21]
	;; [unrolled: 1-line block ×4, first 2 shown]
	s_wait_xcnt 0x1
	v_add_nc_u64_e32 v[22:23], 2, v[18:19]
	s_wait_xcnt 0x0
	v_add_nc_u64_e32 v[24:25], 3, v[18:19]
	global_store_b64 v6, v[30:31], s[10:11] offset:32 scale_offset
	s_wait_loadcnt 0x3
	global_store_b64 v6, v[28:29], s[6:7] offset:32 scale_offset
	s_wait_xcnt 0x0
	v_add_nc_u32_e32 v6, 0xa0, v6
	s_wait_loadcnt 0x2
	global_store_b128 v[32:33], v[10:13], off
	s_wait_loadcnt 0x0
	global_store_b128 v[32:33], v[14:17], off offset:16
	s_clause 0x1
	global_store_b128 v[26:27], v[18:21], off
	global_store_b128 v[26:27], v[22:25], off offset:16
	s_wait_xcnt 0x0
	s_and_not1_b32 exec_lo, exec_lo, s1
	s_cbranch_execnz .LBB238_5
.LBB238_6:
	s_endpgm
	.section	.rodata,"a",@progbits
	.p2align	6, 0x0
	.amdhsa_kernel _ZN9rocsparseL32bsr2csr_block_per_row_2_7_kernelILj256ELj5EdilEEv20rocsparse_direction_T3_S2_21rocsparse_index_base_PKT1_PKT2_PKS2_S2_S3_PS4_PS7_PS2_
		.amdhsa_group_segment_fixed_size 0
		.amdhsa_private_segment_fixed_size 0
		.amdhsa_kernarg_size 96
		.amdhsa_user_sgpr_count 2
		.amdhsa_user_sgpr_dispatch_ptr 0
		.amdhsa_user_sgpr_queue_ptr 0
		.amdhsa_user_sgpr_kernarg_segment_ptr 1
		.amdhsa_user_sgpr_dispatch_id 0
		.amdhsa_user_sgpr_kernarg_preload_length 0
		.amdhsa_user_sgpr_kernarg_preload_offset 0
		.amdhsa_user_sgpr_private_segment_size 0
		.amdhsa_wavefront_size32 1
		.amdhsa_uses_dynamic_stack 0
		.amdhsa_enable_private_segment 0
		.amdhsa_system_sgpr_workgroup_id_x 1
		.amdhsa_system_sgpr_workgroup_id_y 0
		.amdhsa_system_sgpr_workgroup_id_z 0
		.amdhsa_system_sgpr_workgroup_info 0
		.amdhsa_system_vgpr_workitem_id 0
		.amdhsa_next_free_vgpr 34
		.amdhsa_next_free_sgpr 16
		.amdhsa_named_barrier_count 0
		.amdhsa_reserve_vcc 1
		.amdhsa_float_round_mode_32 0
		.amdhsa_float_round_mode_16_64 0
		.amdhsa_float_denorm_mode_32 3
		.amdhsa_float_denorm_mode_16_64 3
		.amdhsa_fp16_overflow 0
		.amdhsa_memory_ordered 1
		.amdhsa_forward_progress 1
		.amdhsa_inst_pref_size 7
		.amdhsa_round_robin_scheduling 0
		.amdhsa_exception_fp_ieee_invalid_op 0
		.amdhsa_exception_fp_denorm_src 0
		.amdhsa_exception_fp_ieee_div_zero 0
		.amdhsa_exception_fp_ieee_overflow 0
		.amdhsa_exception_fp_ieee_underflow 0
		.amdhsa_exception_fp_ieee_inexact 0
		.amdhsa_exception_int_div_zero 0
	.end_amdhsa_kernel
	.section	.text._ZN9rocsparseL32bsr2csr_block_per_row_2_7_kernelILj256ELj5EdilEEv20rocsparse_direction_T3_S2_21rocsparse_index_base_PKT1_PKT2_PKS2_S2_S3_PS4_PS7_PS2_,"axG",@progbits,_ZN9rocsparseL32bsr2csr_block_per_row_2_7_kernelILj256ELj5EdilEEv20rocsparse_direction_T3_S2_21rocsparse_index_base_PKT1_PKT2_PKS2_S2_S3_PS4_PS7_PS2_,comdat
.Lfunc_end238:
	.size	_ZN9rocsparseL32bsr2csr_block_per_row_2_7_kernelILj256ELj5EdilEEv20rocsparse_direction_T3_S2_21rocsparse_index_base_PKT1_PKT2_PKS2_S2_S3_PS4_PS7_PS2_, .Lfunc_end238-_ZN9rocsparseL32bsr2csr_block_per_row_2_7_kernelILj256ELj5EdilEEv20rocsparse_direction_T3_S2_21rocsparse_index_base_PKT1_PKT2_PKS2_S2_S3_PS4_PS7_PS2_
                                        ; -- End function
	.set _ZN9rocsparseL32bsr2csr_block_per_row_2_7_kernelILj256ELj5EdilEEv20rocsparse_direction_T3_S2_21rocsparse_index_base_PKT1_PKT2_PKS2_S2_S3_PS4_PS7_PS2_.num_vgpr, 34
	.set _ZN9rocsparseL32bsr2csr_block_per_row_2_7_kernelILj256ELj5EdilEEv20rocsparse_direction_T3_S2_21rocsparse_index_base_PKT1_PKT2_PKS2_S2_S3_PS4_PS7_PS2_.num_agpr, 0
	.set _ZN9rocsparseL32bsr2csr_block_per_row_2_7_kernelILj256ELj5EdilEEv20rocsparse_direction_T3_S2_21rocsparse_index_base_PKT1_PKT2_PKS2_S2_S3_PS4_PS7_PS2_.numbered_sgpr, 16
	.set _ZN9rocsparseL32bsr2csr_block_per_row_2_7_kernelILj256ELj5EdilEEv20rocsparse_direction_T3_S2_21rocsparse_index_base_PKT1_PKT2_PKS2_S2_S3_PS4_PS7_PS2_.num_named_barrier, 0
	.set _ZN9rocsparseL32bsr2csr_block_per_row_2_7_kernelILj256ELj5EdilEEv20rocsparse_direction_T3_S2_21rocsparse_index_base_PKT1_PKT2_PKS2_S2_S3_PS4_PS7_PS2_.private_seg_size, 0
	.set _ZN9rocsparseL32bsr2csr_block_per_row_2_7_kernelILj256ELj5EdilEEv20rocsparse_direction_T3_S2_21rocsparse_index_base_PKT1_PKT2_PKS2_S2_S3_PS4_PS7_PS2_.uses_vcc, 1
	.set _ZN9rocsparseL32bsr2csr_block_per_row_2_7_kernelILj256ELj5EdilEEv20rocsparse_direction_T3_S2_21rocsparse_index_base_PKT1_PKT2_PKS2_S2_S3_PS4_PS7_PS2_.uses_flat_scratch, 0
	.set _ZN9rocsparseL32bsr2csr_block_per_row_2_7_kernelILj256ELj5EdilEEv20rocsparse_direction_T3_S2_21rocsparse_index_base_PKT1_PKT2_PKS2_S2_S3_PS4_PS7_PS2_.has_dyn_sized_stack, 0
	.set _ZN9rocsparseL32bsr2csr_block_per_row_2_7_kernelILj256ELj5EdilEEv20rocsparse_direction_T3_S2_21rocsparse_index_base_PKT1_PKT2_PKS2_S2_S3_PS4_PS7_PS2_.has_recursion, 0
	.set _ZN9rocsparseL32bsr2csr_block_per_row_2_7_kernelILj256ELj5EdilEEv20rocsparse_direction_T3_S2_21rocsparse_index_base_PKT1_PKT2_PKS2_S2_S3_PS4_PS7_PS2_.has_indirect_call, 0
	.section	.AMDGPU.csdata,"",@progbits
; Kernel info:
; codeLenInByte = 812
; TotalNumSgprs: 18
; NumVgprs: 34
; ScratchSize: 0
; MemoryBound: 0
; FloatMode: 240
; IeeeMode: 1
; LDSByteSize: 0 bytes/workgroup (compile time only)
; SGPRBlocks: 0
; VGPRBlocks: 2
; NumSGPRsForWavesPerEU: 18
; NumVGPRsForWavesPerEU: 34
; NamedBarCnt: 0
; Occupancy: 16
; WaveLimiterHint : 0
; COMPUTE_PGM_RSRC2:SCRATCH_EN: 0
; COMPUTE_PGM_RSRC2:USER_SGPR: 2
; COMPUTE_PGM_RSRC2:TRAP_HANDLER: 0
; COMPUTE_PGM_RSRC2:TGID_X_EN: 1
; COMPUTE_PGM_RSRC2:TGID_Y_EN: 0
; COMPUTE_PGM_RSRC2:TGID_Z_EN: 0
; COMPUTE_PGM_RSRC2:TIDIG_COMP_CNT: 0
	.section	.text._ZN9rocsparseL32bsr2csr_block_per_row_2_7_kernelILj256ELj6EdilEEv20rocsparse_direction_T3_S2_21rocsparse_index_base_PKT1_PKT2_PKS2_S2_S3_PS4_PS7_PS2_,"axG",@progbits,_ZN9rocsparseL32bsr2csr_block_per_row_2_7_kernelILj256ELj6EdilEEv20rocsparse_direction_T3_S2_21rocsparse_index_base_PKT1_PKT2_PKS2_S2_S3_PS4_PS7_PS2_,comdat
	.globl	_ZN9rocsparseL32bsr2csr_block_per_row_2_7_kernelILj256ELj6EdilEEv20rocsparse_direction_T3_S2_21rocsparse_index_base_PKT1_PKT2_PKS2_S2_S3_PS4_PS7_PS2_ ; -- Begin function _ZN9rocsparseL32bsr2csr_block_per_row_2_7_kernelILj256ELj6EdilEEv20rocsparse_direction_T3_S2_21rocsparse_index_base_PKT1_PKT2_PKS2_S2_S3_PS4_PS7_PS2_
	.p2align	8
	.type	_ZN9rocsparseL32bsr2csr_block_per_row_2_7_kernelILj256ELj6EdilEEv20rocsparse_direction_T3_S2_21rocsparse_index_base_PKT1_PKT2_PKS2_S2_S3_PS4_PS7_PS2_,@function
_ZN9rocsparseL32bsr2csr_block_per_row_2_7_kernelILj256ELj6EdilEEv20rocsparse_direction_T3_S2_21rocsparse_index_base_PKT1_PKT2_PKS2_S2_S3_PS4_PS7_PS2_: ; @_ZN9rocsparseL32bsr2csr_block_per_row_2_7_kernelILj256ELj6EdilEEv20rocsparse_direction_T3_S2_21rocsparse_index_base_PKT1_PKT2_PKS2_S2_S3_PS4_PS7_PS2_
; %bb.0:
	s_clause 0x1
	s_load_b32 s2, s[0:1], 0x40
	s_load_b64 s[6:7], s[0:1], 0x50
	s_bfe_u32 s3, ttmp6, 0x4000c
	s_and_b32 s4, ttmp6, 15
	s_add_co_i32 s3, s3, 1
	s_getreg_b32 s5, hwreg(HW_REG_IB_STS2, 6, 4)
	s_mul_i32 s3, ttmp9, s3
	s_mov_b32 s9, 0
	s_add_co_i32 s4, s4, s3
	s_cmp_eq_u32 s5, 0
	s_mov_b32 s3, exec_lo
	s_cselect_b32 s8, ttmp9, s4
	s_delay_alu instid0(SALU_CYCLE_1) | instskip(NEXT) | instid1(VALU_DEP_1)
	v_or_b32_e32 v1, s8, v0
	v_cmpx_eq_u32_e32 0, v1
	s_cbranch_execz .LBB239_2
; %bb.1:
	s_wait_kmcnt 0x0
	v_dual_mov_b32 v1, 0 :: v_dual_mov_b32 v2, s2
	global_store_b32 v1, v2, s[6:7]
.LBB239_2:
	s_wait_xcnt 0x0
	s_or_b32 exec_lo, exec_lo, s3
	v_and_b32_e32 v4, 7, v0
	s_mov_b32 s3, exec_lo
	s_delay_alu instid0(VALU_DEP_1)
	v_cmpx_gt_u32_e32 6, v4
	s_cbranch_execz .LBB239_6
; %bb.3:
	s_clause 0x1
	s_load_b64 s[10:11], s[0:1], 0x28
	s_load_b32 s4, s[0:1], 0x18
	s_lshl_b64 s[12:13], s[8:9], 2
	v_lshrrev_b32_e32 v5, 3, v0
	s_mul_u64 s[8:9], s[8:9], 24
	s_wait_kmcnt 0x0
	s_add_nc_u64 s[6:7], s[6:7], s[8:9]
	s_add_nc_u64 s[10:11], s[10:11], s[12:13]
	s_load_b64 s[12:13], s[10:11], 0x0
	s_wait_kmcnt 0x0
	s_sub_co_i32 s3, s12, s4
	s_sub_co_i32 s13, s13, s4
	v_add_nc_u32_e32 v8, s3, v5
	s_sub_co_i32 s5, s13, s3
	s_mul_i32 s10, s3, 36
	s_mul_i32 s5, s5, 6
	s_delay_alu instid0(SALU_CYCLE_1) | instskip(SKIP_2) | instid1(VALU_DEP_2)
	v_mul_lo_u32 v6, s5, v4
	s_add_co_i32 s5, s5, s2
	v_cmp_gt_i32_e32 vcc_lo, s13, v8
	v_add3_u32 v0, s5, s10, v6
	global_store_b32 v4, v0, s[6:7] offset:4 scale_offset
	s_wait_xcnt 0x0
	s_and_b32 exec_lo, exec_lo, vcc_lo
	s_cbranch_execz .LBB239_6
; %bb.4:
	s_clause 0x2
	s_load_b64 s[6:7], s[0:1], 0x48
	s_load_b64 s[14:15], s[0:1], 0x20
	s_load_b32 s3, s[0:1], 0x0
	v_dual_mov_b32 v1, 0 :: v_dual_lshlrev_b32 v0, 3, v4
	s_clause 0x1
	s_load_b64 s[8:9], s[0:1], 0x30
	s_load_b64 s[10:11], s[0:1], 0x58
	v_mul_u32_u24_e32 v7, 6, v5
	s_wait_xcnt 0x0
	s_mul_i32 s0, s12, 36
	s_mov_b32 s5, 0
	s_delay_alu instid0(SALU_CYCLE_1)
	s_mov_b32 s1, s5
	v_add3_u32 v6, v6, s0, v7
	s_mul_i32 s0, s4, 36
	s_delay_alu instid0(VALU_DEP_1) | instid1(SALU_CYCLE_1)
	v_subrev_nc_u32_e32 v6, s0, v6
	s_wait_kmcnt 0x0
	v_add_nc_u64_e32 v[2:3], s[14:15], v[0:1]
	v_mul_lo_u32 v0, v8, 36
	s_cmp_eq_u32 s3, 0
	s_mov_b32 s3, s5
	s_cselect_b32 vcc_lo, -1, 0
	s_delay_alu instid0(VALU_DEP_2)
	v_mad_co_u64_u32 v[4:5], null, v4, 40, v[2:3]
.LBB239_5:                              ; =>This Inner Loop Header: Depth=1
	global_load_b64 v[22:23], v8, s[8:9] scale_offset
	v_lshlrev_b64_e32 v[10:11], 3, v[0:1]
	s_wait_xcnt 0x0
	v_dual_ashrrev_i32 v7, 31, v6 :: v_dual_add_nc_u32 v8, 32, v8
	v_add_nc_u32_e32 v0, 0x480, v0
	s_delay_alu instid0(VALU_DEP_2) | instskip(NEXT) | instid1(VALU_DEP_4)
	v_cmp_le_i32_e64 s0, s13, v8
	v_add_nc_u64_e32 v[12:13], v[2:3], v[10:11]
	v_add_nc_u64_e32 v[10:11], v[4:5], v[10:11]
	s_or_b32 s1, s0, s1
	s_delay_alu instid0(VALU_DEP_2) | instskip(NEXT) | instid1(VALU_DEP_2)
	v_add_nc_u64_e32 v[18:19], 48, v[12:13]
	v_add_nc_u64_e32 v[16:17], 8, v[10:11]
	;; [unrolled: 1-line block ×8, first 2 shown]
	v_dual_cndmask_b32 v15, v13, v11 :: v_dual_cndmask_b32 v14, v12, v10
	v_add_nc_u64_e32 v[34:35], 40, v[10:11]
	v_add_nc_u64_e32 v[12:13], 0xf0, v[12:13]
	v_dual_cndmask_b32 v37, v19, v17 :: v_dual_cndmask_b32 v36, v18, v16
	v_dual_cndmask_b32 v25, v25, v21 :: v_dual_cndmask_b32 v24, v24, v20
	;; [unrolled: 1-line block ×5, first 2 shown]
	global_load_b64 v[10:11], v[14:15], off
	global_load_b64 v[12:13], v[36:37], off
	;; [unrolled: 1-line block ×6, first 2 shown]
	s_wait_loadcnt 0x6
	s_wait_xcnt 0x3
	v_sub_nc_u64_e64 v[24:25], v[22:23], s[4:5]
	s_delay_alu instid0(VALU_DEP_1) | instskip(NEXT) | instid1(VALU_DEP_1)
	v_mad_nc_u64_u32 v[22:23], v24, 6, s[2:3]
	v_mad_u32 v23, v25, 6, v23
	v_lshlrev_b64_e32 v[24:25], 3, v[6:7]
	v_add_nc_u32_e32 v6, 0xc0, v6
	s_delay_alu instid0(VALU_DEP_2)
	v_add_nc_u64_e32 v[36:37], s[6:7], v[24:25]
	v_add_nc_u64_e32 v[34:35], s[10:11], v[24:25]
	;; [unrolled: 1-line block ×3, first 2 shown]
	s_wait_xcnt 0x2
	v_add_nc_u64_e32 v[26:27], 2, v[22:23]
	s_wait_xcnt 0x1
	v_add_nc_u64_e32 v[28:29], 3, v[22:23]
	;; [unrolled: 2-line block ×3, first 2 shown]
	v_add_nc_u64_e32 v[32:33], 5, v[22:23]
	s_wait_loadcnt 0x4
	global_store_b128 v[36:37], v[10:13], off
	s_wait_loadcnt 0x2
	global_store_b128 v[36:37], v[14:17], off offset:16
	s_wait_loadcnt 0x0
	global_store_b128 v[36:37], v[18:21], off offset:32
	s_clause 0x2
	global_store_b128 v[34:35], v[22:25], off
	global_store_b128 v[34:35], v[26:29], off offset:16
	global_store_b128 v[34:35], v[30:33], off offset:32
	s_wait_xcnt 0x0
	s_and_not1_b32 exec_lo, exec_lo, s1
	s_cbranch_execnz .LBB239_5
.LBB239_6:
	s_endpgm
	.section	.rodata,"a",@progbits
	.p2align	6, 0x0
	.amdhsa_kernel _ZN9rocsparseL32bsr2csr_block_per_row_2_7_kernelILj256ELj6EdilEEv20rocsparse_direction_T3_S2_21rocsparse_index_base_PKT1_PKT2_PKS2_S2_S3_PS4_PS7_PS2_
		.amdhsa_group_segment_fixed_size 0
		.amdhsa_private_segment_fixed_size 0
		.amdhsa_kernarg_size 96
		.amdhsa_user_sgpr_count 2
		.amdhsa_user_sgpr_dispatch_ptr 0
		.amdhsa_user_sgpr_queue_ptr 0
		.amdhsa_user_sgpr_kernarg_segment_ptr 1
		.amdhsa_user_sgpr_dispatch_id 0
		.amdhsa_user_sgpr_kernarg_preload_length 0
		.amdhsa_user_sgpr_kernarg_preload_offset 0
		.amdhsa_user_sgpr_private_segment_size 0
		.amdhsa_wavefront_size32 1
		.amdhsa_uses_dynamic_stack 0
		.amdhsa_enable_private_segment 0
		.amdhsa_system_sgpr_workgroup_id_x 1
		.amdhsa_system_sgpr_workgroup_id_y 0
		.amdhsa_system_sgpr_workgroup_id_z 0
		.amdhsa_system_sgpr_workgroup_info 0
		.amdhsa_system_vgpr_workitem_id 0
		.amdhsa_next_free_vgpr 38
		.amdhsa_next_free_sgpr 16
		.amdhsa_named_barrier_count 0
		.amdhsa_reserve_vcc 1
		.amdhsa_float_round_mode_32 0
		.amdhsa_float_round_mode_16_64 0
		.amdhsa_float_denorm_mode_32 3
		.amdhsa_float_denorm_mode_16_64 3
		.amdhsa_fp16_overflow 0
		.amdhsa_memory_ordered 1
		.amdhsa_forward_progress 1
		.amdhsa_inst_pref_size 7
		.amdhsa_round_robin_scheduling 0
		.amdhsa_exception_fp_ieee_invalid_op 0
		.amdhsa_exception_fp_denorm_src 0
		.amdhsa_exception_fp_ieee_div_zero 0
		.amdhsa_exception_fp_ieee_overflow 0
		.amdhsa_exception_fp_ieee_underflow 0
		.amdhsa_exception_fp_ieee_inexact 0
		.amdhsa_exception_int_div_zero 0
	.end_amdhsa_kernel
	.section	.text._ZN9rocsparseL32bsr2csr_block_per_row_2_7_kernelILj256ELj6EdilEEv20rocsparse_direction_T3_S2_21rocsparse_index_base_PKT1_PKT2_PKS2_S2_S3_PS4_PS7_PS2_,"axG",@progbits,_ZN9rocsparseL32bsr2csr_block_per_row_2_7_kernelILj256ELj6EdilEEv20rocsparse_direction_T3_S2_21rocsparse_index_base_PKT1_PKT2_PKS2_S2_S3_PS4_PS7_PS2_,comdat
.Lfunc_end239:
	.size	_ZN9rocsparseL32bsr2csr_block_per_row_2_7_kernelILj256ELj6EdilEEv20rocsparse_direction_T3_S2_21rocsparse_index_base_PKT1_PKT2_PKS2_S2_S3_PS4_PS7_PS2_, .Lfunc_end239-_ZN9rocsparseL32bsr2csr_block_per_row_2_7_kernelILj256ELj6EdilEEv20rocsparse_direction_T3_S2_21rocsparse_index_base_PKT1_PKT2_PKS2_S2_S3_PS4_PS7_PS2_
                                        ; -- End function
	.set _ZN9rocsparseL32bsr2csr_block_per_row_2_7_kernelILj256ELj6EdilEEv20rocsparse_direction_T3_S2_21rocsparse_index_base_PKT1_PKT2_PKS2_S2_S3_PS4_PS7_PS2_.num_vgpr, 38
	.set _ZN9rocsparseL32bsr2csr_block_per_row_2_7_kernelILj256ELj6EdilEEv20rocsparse_direction_T3_S2_21rocsparse_index_base_PKT1_PKT2_PKS2_S2_S3_PS4_PS7_PS2_.num_agpr, 0
	.set _ZN9rocsparseL32bsr2csr_block_per_row_2_7_kernelILj256ELj6EdilEEv20rocsparse_direction_T3_S2_21rocsparse_index_base_PKT1_PKT2_PKS2_S2_S3_PS4_PS7_PS2_.numbered_sgpr, 16
	.set _ZN9rocsparseL32bsr2csr_block_per_row_2_7_kernelILj256ELj6EdilEEv20rocsparse_direction_T3_S2_21rocsparse_index_base_PKT1_PKT2_PKS2_S2_S3_PS4_PS7_PS2_.num_named_barrier, 0
	.set _ZN9rocsparseL32bsr2csr_block_per_row_2_7_kernelILj256ELj6EdilEEv20rocsparse_direction_T3_S2_21rocsparse_index_base_PKT1_PKT2_PKS2_S2_S3_PS4_PS7_PS2_.private_seg_size, 0
	.set _ZN9rocsparseL32bsr2csr_block_per_row_2_7_kernelILj256ELj6EdilEEv20rocsparse_direction_T3_S2_21rocsparse_index_base_PKT1_PKT2_PKS2_S2_S3_PS4_PS7_PS2_.uses_vcc, 1
	.set _ZN9rocsparseL32bsr2csr_block_per_row_2_7_kernelILj256ELj6EdilEEv20rocsparse_direction_T3_S2_21rocsparse_index_base_PKT1_PKT2_PKS2_S2_S3_PS4_PS7_PS2_.uses_flat_scratch, 0
	.set _ZN9rocsparseL32bsr2csr_block_per_row_2_7_kernelILj256ELj6EdilEEv20rocsparse_direction_T3_S2_21rocsparse_index_base_PKT1_PKT2_PKS2_S2_S3_PS4_PS7_PS2_.has_dyn_sized_stack, 0
	.set _ZN9rocsparseL32bsr2csr_block_per_row_2_7_kernelILj256ELj6EdilEEv20rocsparse_direction_T3_S2_21rocsparse_index_base_PKT1_PKT2_PKS2_S2_S3_PS4_PS7_PS2_.has_recursion, 0
	.set _ZN9rocsparseL32bsr2csr_block_per_row_2_7_kernelILj256ELj6EdilEEv20rocsparse_direction_T3_S2_21rocsparse_index_base_PKT1_PKT2_PKS2_S2_S3_PS4_PS7_PS2_.has_indirect_call, 0
	.section	.AMDGPU.csdata,"",@progbits
; Kernel info:
; codeLenInByte = 844
; TotalNumSgprs: 18
; NumVgprs: 38
; ScratchSize: 0
; MemoryBound: 0
; FloatMode: 240
; IeeeMode: 1
; LDSByteSize: 0 bytes/workgroup (compile time only)
; SGPRBlocks: 0
; VGPRBlocks: 2
; NumSGPRsForWavesPerEU: 18
; NumVGPRsForWavesPerEU: 38
; NamedBarCnt: 0
; Occupancy: 16
; WaveLimiterHint : 0
; COMPUTE_PGM_RSRC2:SCRATCH_EN: 0
; COMPUTE_PGM_RSRC2:USER_SGPR: 2
; COMPUTE_PGM_RSRC2:TRAP_HANDLER: 0
; COMPUTE_PGM_RSRC2:TGID_X_EN: 1
; COMPUTE_PGM_RSRC2:TGID_Y_EN: 0
; COMPUTE_PGM_RSRC2:TGID_Z_EN: 0
; COMPUTE_PGM_RSRC2:TIDIG_COMP_CNT: 0
	.section	.text._ZN9rocsparseL32bsr2csr_block_per_row_2_7_kernelILj256ELj7EdilEEv20rocsparse_direction_T3_S2_21rocsparse_index_base_PKT1_PKT2_PKS2_S2_S3_PS4_PS7_PS2_,"axG",@progbits,_ZN9rocsparseL32bsr2csr_block_per_row_2_7_kernelILj256ELj7EdilEEv20rocsparse_direction_T3_S2_21rocsparse_index_base_PKT1_PKT2_PKS2_S2_S3_PS4_PS7_PS2_,comdat
	.globl	_ZN9rocsparseL32bsr2csr_block_per_row_2_7_kernelILj256ELj7EdilEEv20rocsparse_direction_T3_S2_21rocsparse_index_base_PKT1_PKT2_PKS2_S2_S3_PS4_PS7_PS2_ ; -- Begin function _ZN9rocsparseL32bsr2csr_block_per_row_2_7_kernelILj256ELj7EdilEEv20rocsparse_direction_T3_S2_21rocsparse_index_base_PKT1_PKT2_PKS2_S2_S3_PS4_PS7_PS2_
	.p2align	8
	.type	_ZN9rocsparseL32bsr2csr_block_per_row_2_7_kernelILj256ELj7EdilEEv20rocsparse_direction_T3_S2_21rocsparse_index_base_PKT1_PKT2_PKS2_S2_S3_PS4_PS7_PS2_,@function
_ZN9rocsparseL32bsr2csr_block_per_row_2_7_kernelILj256ELj7EdilEEv20rocsparse_direction_T3_S2_21rocsparse_index_base_PKT1_PKT2_PKS2_S2_S3_PS4_PS7_PS2_: ; @_ZN9rocsparseL32bsr2csr_block_per_row_2_7_kernelILj256ELj7EdilEEv20rocsparse_direction_T3_S2_21rocsparse_index_base_PKT1_PKT2_PKS2_S2_S3_PS4_PS7_PS2_
; %bb.0:
	s_clause 0x1
	s_load_b32 s2, s[0:1], 0x40
	s_load_b64 s[6:7], s[0:1], 0x50
	s_bfe_u32 s3, ttmp6, 0x4000c
	s_and_b32 s4, ttmp6, 15
	s_add_co_i32 s3, s3, 1
	s_getreg_b32 s5, hwreg(HW_REG_IB_STS2, 6, 4)
	s_mul_i32 s3, ttmp9, s3
	s_mov_b32 s9, 0
	s_add_co_i32 s4, s4, s3
	s_cmp_eq_u32 s5, 0
	s_mov_b32 s3, exec_lo
	s_cselect_b32 s8, ttmp9, s4
	s_delay_alu instid0(SALU_CYCLE_1) | instskip(NEXT) | instid1(VALU_DEP_1)
	v_or_b32_e32 v1, s8, v0
	v_cmpx_eq_u32_e32 0, v1
	s_cbranch_execz .LBB240_2
; %bb.1:
	s_wait_kmcnt 0x0
	v_dual_mov_b32 v1, 0 :: v_dual_mov_b32 v2, s2
	global_store_b32 v1, v2, s[6:7]
.LBB240_2:
	s_wait_xcnt 0x0
	s_or_b32 exec_lo, exec_lo, s3
	v_and_b32_e32 v4, 7, v0
	s_mov_b32 s3, exec_lo
	s_delay_alu instid0(VALU_DEP_1)
	v_cmpx_ne_u32_e32 7, v4
	s_cbranch_execz .LBB240_6
; %bb.3:
	s_clause 0x1
	s_load_b64 s[10:11], s[0:1], 0x28
	s_load_b32 s4, s[0:1], 0x18
	s_lshl_b64 s[12:13], s[8:9], 2
	v_lshrrev_b32_e32 v5, 3, v0
	s_mul_u64 s[8:9], s[8:9], 28
	s_wait_kmcnt 0x0
	s_add_nc_u64 s[6:7], s[6:7], s[8:9]
	s_add_nc_u64 s[10:11], s[10:11], s[12:13]
	s_load_b64 s[12:13], s[10:11], 0x0
	s_wait_kmcnt 0x0
	s_sub_co_i32 s3, s12, s4
	s_sub_co_i32 s13, s13, s4
	v_add_nc_u32_e32 v8, s3, v5
	s_sub_co_i32 s5, s13, s3
	s_mul_i32 s10, s3, 49
	s_mul_i32 s5, s5, 7
	s_delay_alu instid0(SALU_CYCLE_1) | instskip(SKIP_2) | instid1(VALU_DEP_2)
	v_mul_lo_u32 v6, s5, v4
	s_add_co_i32 s5, s5, s2
	v_cmp_gt_i32_e32 vcc_lo, s13, v8
	v_add3_u32 v0, s5, s10, v6
	global_store_b32 v4, v0, s[6:7] offset:4 scale_offset
	s_wait_xcnt 0x0
	s_and_b32 exec_lo, exec_lo, vcc_lo
	s_cbranch_execz .LBB240_6
; %bb.4:
	s_clause 0x2
	s_load_b64 s[6:7], s[0:1], 0x48
	s_load_b64 s[14:15], s[0:1], 0x20
	s_load_b32 s3, s[0:1], 0x0
	v_dual_mov_b32 v1, 0 :: v_dual_lshlrev_b32 v0, 3, v4
	s_clause 0x1
	s_load_b64 s[8:9], s[0:1], 0x30
	s_load_b64 s[10:11], s[0:1], 0x58
	v_mul_u32_u24_e32 v7, 7, v5
	s_wait_xcnt 0x0
	s_mul_i32 s0, s12, 49
	s_mov_b32 s5, 0
	s_delay_alu instid0(SALU_CYCLE_1)
	s_mov_b32 s1, s5
	v_add3_u32 v6, v6, s0, v7
	s_mul_i32 s0, s4, 49
	s_delay_alu instid0(VALU_DEP_1) | instid1(SALU_CYCLE_1)
	v_subrev_nc_u32_e32 v6, s0, v6
	s_wait_kmcnt 0x0
	v_add_nc_u64_e32 v[2:3], s[14:15], v[0:1]
	v_mul_lo_u32 v0, v8, 49
	s_cmp_eq_u32 s3, 0
	s_mov_b32 s3, s5
	s_cselect_b32 vcc_lo, -1, 0
	s_delay_alu instid0(VALU_DEP_2)
	v_mad_co_u64_u32 v[4:5], null, v4, 48, v[2:3]
.LBB240_5:                              ; =>This Inner Loop Header: Depth=1
	global_load_b64 v[22:23], v8, s[8:9] scale_offset
	v_lshlrev_b64_e32 v[10:11], 3, v[0:1]
	s_wait_xcnt 0x0
	v_dual_add_nc_u32 v8, 32, v8 :: v_dual_ashrrev_i32 v7, 31, v6
	v_add_nc_u32_e32 v0, 0x620, v0
	s_delay_alu instid0(VALU_DEP_2) | instskip(NEXT) | instid1(VALU_DEP_4)
	v_cmp_le_i32_e64 s0, s13, v8
	v_add_nc_u64_e32 v[12:13], v[2:3], v[10:11]
	v_add_nc_u64_e32 v[10:11], v[4:5], v[10:11]
	s_or_b32 s1, s0, s1
	s_delay_alu instid0(VALU_DEP_2) | instskip(NEXT) | instid1(VALU_DEP_2)
	v_add_nc_u64_e32 v[18:19], 56, v[12:13]
	v_add_nc_u64_e32 v[16:17], 8, v[10:11]
	;; [unrolled: 1-line block ×6, first 2 shown]
	v_dual_cndmask_b32 v15, v13, v11 :: v_dual_cndmask_b32 v14, v12, v10
	v_add_nc_u64_e32 v[30:31], 32, v[10:11]
	v_add_nc_u64_e32 v[32:33], 0xe0, v[12:13]
	;; [unrolled: 1-line block ×6, first 2 shown]
	v_dual_cndmask_b32 v41, v19, v17 :: v_dual_cndmask_b32 v40, v18, v16
	v_dual_cndmask_b32 v25, v25, v21 :: v_dual_cndmask_b32 v24, v24, v20
	;; [unrolled: 1-line block ×3, first 2 shown]
	global_load_b64 v[10:11], v[14:15], off
	v_dual_cndmask_b32 v29, v33, v31 :: v_dual_cndmask_b32 v28, v32, v30
	v_dual_cndmask_b32 v33, v13, v39 :: v_dual_cndmask_b32 v32, v12, v38
	;; [unrolled: 1-line block ×3, first 2 shown]
	global_load_b64 v[12:13], v[40:41], off
	global_load_b64 v[14:15], v[24:25], off
	;; [unrolled: 1-line block ×6, first 2 shown]
	s_wait_xcnt 0x3
	v_lshlrev_b64_e32 v[26:27], 3, v[6:7]
	s_wait_xcnt 0x1
	s_delay_alu instid0(VALU_DEP_1)
	v_add_nc_u64_e32 v[28:29], s[6:7], v[26:27]
	v_add_nc_u64_e32 v[26:27], s[10:11], v[26:27]
	s_wait_loadcnt 0x5
	global_store_b128 v[28:29], v[10:13], off
	s_wait_loadcnt 0x3
	global_store_b128 v[28:29], v[14:17], off offset:16
	v_sub_nc_u64_e64 v[24:25], v[22:23], s[4:5]
	s_delay_alu instid0(VALU_DEP_1) | instskip(NEXT) | instid1(VALU_DEP_1)
	v_mad_nc_u64_u32 v[22:23], v24, 7, s[2:3]
	v_mad_u32 v23, v25, 7, v23
	s_wait_xcnt 0x2
	s_delay_alu instid0(VALU_DEP_1)
	v_add_nc_u64_e32 v[30:31], 6, v[22:23]
	v_add_nc_u64_e32 v[24:25], 1, v[22:23]
	s_wait_xcnt 0x1
	v_add_nc_u64_e32 v[10:11], 2, v[22:23]
	v_add_nc_u64_e32 v[12:13], 3, v[22:23]
	global_store_b64 v6, v[30:31], s[10:11] offset:48 scale_offset
	s_wait_loadcnt 0x2
	global_store_b64 v6, v[34:35], s[6:7] offset:48 scale_offset
	s_wait_xcnt 0x0
	v_add_nc_u32_e32 v6, 0xe0, v6
	v_add_nc_u64_e32 v[14:15], 4, v[22:23]
	v_add_nc_u64_e32 v[16:17], 5, v[22:23]
	s_wait_loadcnt 0x0
	global_store_b128 v[28:29], v[18:21], off offset:32
	s_clause 0x2
	global_store_b128 v[26:27], v[22:25], off
	global_store_b128 v[26:27], v[10:13], off offset:16
	global_store_b128 v[26:27], v[14:17], off offset:32
	s_wait_xcnt 0x0
	s_and_not1_b32 exec_lo, exec_lo, s1
	s_cbranch_execnz .LBB240_5
.LBB240_6:
	s_endpgm
	.section	.rodata,"a",@progbits
	.p2align	6, 0x0
	.amdhsa_kernel _ZN9rocsparseL32bsr2csr_block_per_row_2_7_kernelILj256ELj7EdilEEv20rocsparse_direction_T3_S2_21rocsparse_index_base_PKT1_PKT2_PKS2_S2_S3_PS4_PS7_PS2_
		.amdhsa_group_segment_fixed_size 0
		.amdhsa_private_segment_fixed_size 0
		.amdhsa_kernarg_size 96
		.amdhsa_user_sgpr_count 2
		.amdhsa_user_sgpr_dispatch_ptr 0
		.amdhsa_user_sgpr_queue_ptr 0
		.amdhsa_user_sgpr_kernarg_segment_ptr 1
		.amdhsa_user_sgpr_dispatch_id 0
		.amdhsa_user_sgpr_kernarg_preload_length 0
		.amdhsa_user_sgpr_kernarg_preload_offset 0
		.amdhsa_user_sgpr_private_segment_size 0
		.amdhsa_wavefront_size32 1
		.amdhsa_uses_dynamic_stack 0
		.amdhsa_enable_private_segment 0
		.amdhsa_system_sgpr_workgroup_id_x 1
		.amdhsa_system_sgpr_workgroup_id_y 0
		.amdhsa_system_sgpr_workgroup_id_z 0
		.amdhsa_system_sgpr_workgroup_info 0
		.amdhsa_system_vgpr_workitem_id 0
		.amdhsa_next_free_vgpr 42
		.amdhsa_next_free_sgpr 16
		.amdhsa_named_barrier_count 0
		.amdhsa_reserve_vcc 1
		.amdhsa_float_round_mode_32 0
		.amdhsa_float_round_mode_16_64 0
		.amdhsa_float_denorm_mode_32 3
		.amdhsa_float_denorm_mode_16_64 3
		.amdhsa_fp16_overflow 0
		.amdhsa_memory_ordered 1
		.amdhsa_forward_progress 1
		.amdhsa_inst_pref_size 8
		.amdhsa_round_robin_scheduling 0
		.amdhsa_exception_fp_ieee_invalid_op 0
		.amdhsa_exception_fp_denorm_src 0
		.amdhsa_exception_fp_ieee_div_zero 0
		.amdhsa_exception_fp_ieee_overflow 0
		.amdhsa_exception_fp_ieee_underflow 0
		.amdhsa_exception_fp_ieee_inexact 0
		.amdhsa_exception_int_div_zero 0
	.end_amdhsa_kernel
	.section	.text._ZN9rocsparseL32bsr2csr_block_per_row_2_7_kernelILj256ELj7EdilEEv20rocsparse_direction_T3_S2_21rocsparse_index_base_PKT1_PKT2_PKS2_S2_S3_PS4_PS7_PS2_,"axG",@progbits,_ZN9rocsparseL32bsr2csr_block_per_row_2_7_kernelILj256ELj7EdilEEv20rocsparse_direction_T3_S2_21rocsparse_index_base_PKT1_PKT2_PKS2_S2_S3_PS4_PS7_PS2_,comdat
.Lfunc_end240:
	.size	_ZN9rocsparseL32bsr2csr_block_per_row_2_7_kernelILj256ELj7EdilEEv20rocsparse_direction_T3_S2_21rocsparse_index_base_PKT1_PKT2_PKS2_S2_S3_PS4_PS7_PS2_, .Lfunc_end240-_ZN9rocsparseL32bsr2csr_block_per_row_2_7_kernelILj256ELj7EdilEEv20rocsparse_direction_T3_S2_21rocsparse_index_base_PKT1_PKT2_PKS2_S2_S3_PS4_PS7_PS2_
                                        ; -- End function
	.set _ZN9rocsparseL32bsr2csr_block_per_row_2_7_kernelILj256ELj7EdilEEv20rocsparse_direction_T3_S2_21rocsparse_index_base_PKT1_PKT2_PKS2_S2_S3_PS4_PS7_PS2_.num_vgpr, 42
	.set _ZN9rocsparseL32bsr2csr_block_per_row_2_7_kernelILj256ELj7EdilEEv20rocsparse_direction_T3_S2_21rocsparse_index_base_PKT1_PKT2_PKS2_S2_S3_PS4_PS7_PS2_.num_agpr, 0
	.set _ZN9rocsparseL32bsr2csr_block_per_row_2_7_kernelILj256ELj7EdilEEv20rocsparse_direction_T3_S2_21rocsparse_index_base_PKT1_PKT2_PKS2_S2_S3_PS4_PS7_PS2_.numbered_sgpr, 16
	.set _ZN9rocsparseL32bsr2csr_block_per_row_2_7_kernelILj256ELj7EdilEEv20rocsparse_direction_T3_S2_21rocsparse_index_base_PKT1_PKT2_PKS2_S2_S3_PS4_PS7_PS2_.num_named_barrier, 0
	.set _ZN9rocsparseL32bsr2csr_block_per_row_2_7_kernelILj256ELj7EdilEEv20rocsparse_direction_T3_S2_21rocsparse_index_base_PKT1_PKT2_PKS2_S2_S3_PS4_PS7_PS2_.private_seg_size, 0
	.set _ZN9rocsparseL32bsr2csr_block_per_row_2_7_kernelILj256ELj7EdilEEv20rocsparse_direction_T3_S2_21rocsparse_index_base_PKT1_PKT2_PKS2_S2_S3_PS4_PS7_PS2_.uses_vcc, 1
	.set _ZN9rocsparseL32bsr2csr_block_per_row_2_7_kernelILj256ELj7EdilEEv20rocsparse_direction_T3_S2_21rocsparse_index_base_PKT1_PKT2_PKS2_S2_S3_PS4_PS7_PS2_.uses_flat_scratch, 0
	.set _ZN9rocsparseL32bsr2csr_block_per_row_2_7_kernelILj256ELj7EdilEEv20rocsparse_direction_T3_S2_21rocsparse_index_base_PKT1_PKT2_PKS2_S2_S3_PS4_PS7_PS2_.has_dyn_sized_stack, 0
	.set _ZN9rocsparseL32bsr2csr_block_per_row_2_7_kernelILj256ELj7EdilEEv20rocsparse_direction_T3_S2_21rocsparse_index_base_PKT1_PKT2_PKS2_S2_S3_PS4_PS7_PS2_.has_recursion, 0
	.set _ZN9rocsparseL32bsr2csr_block_per_row_2_7_kernelILj256ELj7EdilEEv20rocsparse_direction_T3_S2_21rocsparse_index_base_PKT1_PKT2_PKS2_S2_S3_PS4_PS7_PS2_.has_indirect_call, 0
	.section	.AMDGPU.csdata,"",@progbits
; Kernel info:
; codeLenInByte = 912
; TotalNumSgprs: 18
; NumVgprs: 42
; ScratchSize: 0
; MemoryBound: 0
; FloatMode: 240
; IeeeMode: 1
; LDSByteSize: 0 bytes/workgroup (compile time only)
; SGPRBlocks: 0
; VGPRBlocks: 2
; NumSGPRsForWavesPerEU: 18
; NumVGPRsForWavesPerEU: 42
; NamedBarCnt: 0
; Occupancy: 16
; WaveLimiterHint : 0
; COMPUTE_PGM_RSRC2:SCRATCH_EN: 0
; COMPUTE_PGM_RSRC2:USER_SGPR: 2
; COMPUTE_PGM_RSRC2:TRAP_HANDLER: 0
; COMPUTE_PGM_RSRC2:TGID_X_EN: 1
; COMPUTE_PGM_RSRC2:TGID_Y_EN: 0
; COMPUTE_PGM_RSRC2:TGID_Z_EN: 0
; COMPUTE_PGM_RSRC2:TIDIG_COMP_CNT: 0
	.section	.text._ZN9rocsparseL33bsr2csr_block_per_row_8_32_kernelILj1024ELj8EdilEEv20rocsparse_direction_T3_S2_21rocsparse_index_base_PKT1_PKT2_PKS2_S2_S3_PS4_PS7_PS2_,"axG",@progbits,_ZN9rocsparseL33bsr2csr_block_per_row_8_32_kernelILj1024ELj8EdilEEv20rocsparse_direction_T3_S2_21rocsparse_index_base_PKT1_PKT2_PKS2_S2_S3_PS4_PS7_PS2_,comdat
	.globl	_ZN9rocsparseL33bsr2csr_block_per_row_8_32_kernelILj1024ELj8EdilEEv20rocsparse_direction_T3_S2_21rocsparse_index_base_PKT1_PKT2_PKS2_S2_S3_PS4_PS7_PS2_ ; -- Begin function _ZN9rocsparseL33bsr2csr_block_per_row_8_32_kernelILj1024ELj8EdilEEv20rocsparse_direction_T3_S2_21rocsparse_index_base_PKT1_PKT2_PKS2_S2_S3_PS4_PS7_PS2_
	.p2align	8
	.type	_ZN9rocsparseL33bsr2csr_block_per_row_8_32_kernelILj1024ELj8EdilEEv20rocsparse_direction_T3_S2_21rocsparse_index_base_PKT1_PKT2_PKS2_S2_S3_PS4_PS7_PS2_,@function
_ZN9rocsparseL33bsr2csr_block_per_row_8_32_kernelILj1024ELj8EdilEEv20rocsparse_direction_T3_S2_21rocsparse_index_base_PKT1_PKT2_PKS2_S2_S3_PS4_PS7_PS2_: ; @_ZN9rocsparseL33bsr2csr_block_per_row_8_32_kernelILj1024ELj8EdilEEv20rocsparse_direction_T3_S2_21rocsparse_index_base_PKT1_PKT2_PKS2_S2_S3_PS4_PS7_PS2_
; %bb.0:
	s_clause 0x1
	s_load_b32 s6, s[0:1], 0x40
	s_load_b64 s[10:11], s[0:1], 0x50
	s_bfe_u32 s2, ttmp6, 0x4000c
	s_and_b32 s3, ttmp6, 15
	s_add_co_i32 s2, s2, 1
	s_getreg_b32 s4, hwreg(HW_REG_IB_STS2, 6, 4)
	s_mul_i32 s2, ttmp9, s2
	s_mov_b32 s13, 0
	s_add_co_i32 s3, s3, s2
	s_cmp_eq_u32 s4, 0
	s_mov_b32 s2, exec_lo
	s_cselect_b32 s12, ttmp9, s3
	s_delay_alu instid0(SALU_CYCLE_1) | instskip(NEXT) | instid1(VALU_DEP_1)
	v_or_b32_e32 v1, s12, v0
	v_cmpx_eq_u32_e32 0, v1
	s_cbranch_execz .LBB241_2
; %bb.1:
	s_wait_kmcnt 0x0
	v_dual_mov_b32 v1, 0 :: v_dual_mov_b32 v2, s6
	global_store_b32 v1, v2, s[10:11]
.LBB241_2:
	s_wait_xcnt 0x0
	s_or_b32 exec_lo, exec_lo, s2
	v_dual_mov_b32 v3, 0 :: v_dual_bitop2_b32 v2, 7, v0 bitop3:0x40
	v_bfe_u32 v4, v0, 3, 3
	s_load_b64 s[2:3], s[0:1], 0x38
	s_mov_b32 s4, exec_lo
	s_delay_alu instid0(VALU_DEP_2) | instskip(NEXT) | instid1(VALU_DEP_1)
	v_mov_b32_e32 v5, v3
	v_max_i64 v[6:7], v[4:5], v[2:3]
	s_wait_kmcnt 0x0
	s_delay_alu instid0(VALU_DEP_1)
	v_cmpx_gt_i64_e64 s[2:3], v[6:7]
	s_cbranch_execz .LBB241_6
; %bb.3:
	s_clause 0x1
	s_load_b64 s[8:9], s[0:1], 0x28
	s_load_b32 s4, s[0:1], 0x18
	s_lshl_b64 s[14:15], s[12:13], 2
	v_lshrrev_b32_e32 v1, 6, v0
	s_mul_u64 s[12:13], s[2:3], s[12:13]
	s_delay_alu instid0(SALU_CYCLE_1) | instskip(NEXT) | instid1(SALU_CYCLE_1)
	s_lshl_b64 s[12:13], s[12:13], 2
	s_add_nc_u64 s[10:11], s[10:11], s[12:13]
	s_wait_kmcnt 0x0
	s_add_nc_u64 s[8:9], s[8:9], s[14:15]
	s_load_b64 s[14:15], s[8:9], 0x0
	s_wait_xcnt 0x0
	s_mul_u64 s[8:9], s[2:3], s[2:3]
	s_wait_kmcnt 0x0
	s_sub_co_i32 s7, s14, s4
	s_sub_co_i32 s16, s15, s4
	s_mul_i32 s15, s8, s7
	s_sub_co_i32 s5, s16, s7
	v_add_nc_u32_e32 v0, s7, v1
	s_mul_i32 s14, s2, s5
	s_delay_alu instid0(SALU_CYCLE_1) | instskip(NEXT) | instid1(SALU_CYCLE_1)
	s_add_co_i32 s17, s6, s14
	s_add_co_i32 s17, s17, s15
	s_delay_alu instid0(VALU_DEP_1)
	v_cmp_gt_i32_e32 vcc_lo, s16, v0
	v_mad_u32 v6, s14, v4, s17
	global_store_b32 v4, v6, s[10:11] offset:4 scale_offset
	s_wait_xcnt 0x0
	s_and_b32 exec_lo, exec_lo, vcc_lo
	s_cbranch_execz .LBB241_6
; %bb.4:
	v_mul_u64_e32 v[6:7], s[2:3], v[2:3]
	v_mul_u64_e32 v[8:9], s[2:3], v[4:5]
	s_clause 0x2
	s_load_b64 s[10:11], s[0:1], 0x48
	s_load_b64 s[18:19], s[0:1], 0x20
	s_load_b32 s17, s[0:1], 0x0
	v_mad_u32 v1, s2, s7, v1
	v_dual_mov_b32 v11, 0 :: v_dual_lshlrev_b32 v10, 3, v4
	s_clause 0x1
	s_load_b64 s[12:13], s[0:1], 0x30
	s_load_b64 s[14:15], s[0:1], 0x58
	s_delay_alu instid0(VALU_DEP_2) | instskip(SKIP_1) | instid1(SALU_CYCLE_1)
	v_mad_u32 v1, s5, v4, v1
	s_mov_b32 s5, 0
	s_mov_b32 s7, s5
	s_wait_xcnt 0x0
	s_mov_b32 s0, s5
	s_wait_kmcnt 0x0
	s_cmp_eq_u32 s17, 0
	s_cselect_b32 vcc_lo, -1, 0
	s_lshl_b32 s1, s2, 4
	v_lshl_add_u64 v[6:7], v[6:7], 3, s[18:19]
	v_lshl_add_u64 v[4:5], v[8:9], 3, s[18:19]
	s_delay_alu instid0(VALU_DEP_2) | instskip(SKIP_1) | instid1(VALU_DEP_1)
	v_add_nc_u64_e32 v[6:7], v[6:7], v[10:11]
	v_lshlrev_b32_e32 v10, 3, v2
	v_add_nc_u64_e32 v[8:9], v[4:5], v[10:11]
	v_mad_u32 v5, s2, v1, v2
	v_add_nc_u64_e32 v[2:3], s[6:7], v[2:3]
	s_mov_b32 s6, s5
	s_delay_alu instid0(VALU_DEP_3) | instskip(NEXT) | instid1(VALU_DEP_4)
	v_dual_mov_b32 v4, v11 :: v_dual_cndmask_b32 v6, v6, v8, vcc_lo
	v_cndmask_b32_e32 v7, v7, v9, vcc_lo
.LBB241_5:                              ; =>This Inner Loop Header: Depth=1
	v_ashrrev_i32_e32 v1, 31, v0
	global_load_b64 v[8:9], v0, s[12:13] scale_offset
	v_ashrrev_i64 v[14:15], 29, v[4:5]
	v_add_nc_u64_e32 v[4:5], s[0:1], v[4:5]
	v_mul_u64_e32 v[10:11], s[8:9], v[0:1]
	s_wait_xcnt 0x0
	v_add_nc_u32_e32 v0, 16, v0
	s_delay_alu instid0(VALU_DEP_1) | instskip(SKIP_1) | instid1(VALU_DEP_3)
	v_cmp_le_i32_e32 vcc_lo, s16, v0
	s_or_b32 s6, vcc_lo, s6
	v_lshl_add_u64 v[10:11], v[10:11], 3, v[6:7]
	global_load_b64 v[10:11], v[10:11], off
	s_wait_loadcnt 0x1
	v_sub_nc_u64_e64 v[8:9], v[8:9], s[4:5]
	s_delay_alu instid0(VALU_DEP_1) | instskip(NEXT) | instid1(VALU_DEP_1)
	v_mad_nc_u64_u32 v[12:13], v8, s2, v[2:3]
	v_mad_u32 v1, v9, s2, v13
	s_delay_alu instid0(VALU_DEP_1)
	v_mad_u32 v13, v8, s3, v1
	v_add_nc_u64_e32 v[8:9], s[14:15], v[14:15]
	v_add_nc_u64_e32 v[14:15], s[10:11], v[14:15]
	global_store_b64 v[8:9], v[12:13], off
	s_wait_loadcnt 0x0
	global_store_b64 v[14:15], v[10:11], off
	s_wait_xcnt 0x0
	s_and_not1_b32 exec_lo, exec_lo, s6
	s_cbranch_execnz .LBB241_5
.LBB241_6:
	s_endpgm
	.section	.rodata,"a",@progbits
	.p2align	6, 0x0
	.amdhsa_kernel _ZN9rocsparseL33bsr2csr_block_per_row_8_32_kernelILj1024ELj8EdilEEv20rocsparse_direction_T3_S2_21rocsparse_index_base_PKT1_PKT2_PKS2_S2_S3_PS4_PS7_PS2_
		.amdhsa_group_segment_fixed_size 0
		.amdhsa_private_segment_fixed_size 0
		.amdhsa_kernarg_size 96
		.amdhsa_user_sgpr_count 2
		.amdhsa_user_sgpr_dispatch_ptr 0
		.amdhsa_user_sgpr_queue_ptr 0
		.amdhsa_user_sgpr_kernarg_segment_ptr 1
		.amdhsa_user_sgpr_dispatch_id 0
		.amdhsa_user_sgpr_kernarg_preload_length 0
		.amdhsa_user_sgpr_kernarg_preload_offset 0
		.amdhsa_user_sgpr_private_segment_size 0
		.amdhsa_wavefront_size32 1
		.amdhsa_uses_dynamic_stack 0
		.amdhsa_enable_private_segment 0
		.amdhsa_system_sgpr_workgroup_id_x 1
		.amdhsa_system_sgpr_workgroup_id_y 0
		.amdhsa_system_sgpr_workgroup_id_z 0
		.amdhsa_system_sgpr_workgroup_info 0
		.amdhsa_system_vgpr_workitem_id 0
		.amdhsa_next_free_vgpr 16
		.amdhsa_next_free_sgpr 20
		.amdhsa_named_barrier_count 0
		.amdhsa_reserve_vcc 1
		.amdhsa_float_round_mode_32 0
		.amdhsa_float_round_mode_16_64 0
		.amdhsa_float_denorm_mode_32 3
		.amdhsa_float_denorm_mode_16_64 3
		.amdhsa_fp16_overflow 0
		.amdhsa_memory_ordered 1
		.amdhsa_forward_progress 1
		.amdhsa_inst_pref_size 6
		.amdhsa_round_robin_scheduling 0
		.amdhsa_exception_fp_ieee_invalid_op 0
		.amdhsa_exception_fp_denorm_src 0
		.amdhsa_exception_fp_ieee_div_zero 0
		.amdhsa_exception_fp_ieee_overflow 0
		.amdhsa_exception_fp_ieee_underflow 0
		.amdhsa_exception_fp_ieee_inexact 0
		.amdhsa_exception_int_div_zero 0
	.end_amdhsa_kernel
	.section	.text._ZN9rocsparseL33bsr2csr_block_per_row_8_32_kernelILj1024ELj8EdilEEv20rocsparse_direction_T3_S2_21rocsparse_index_base_PKT1_PKT2_PKS2_S2_S3_PS4_PS7_PS2_,"axG",@progbits,_ZN9rocsparseL33bsr2csr_block_per_row_8_32_kernelILj1024ELj8EdilEEv20rocsparse_direction_T3_S2_21rocsparse_index_base_PKT1_PKT2_PKS2_S2_S3_PS4_PS7_PS2_,comdat
.Lfunc_end241:
	.size	_ZN9rocsparseL33bsr2csr_block_per_row_8_32_kernelILj1024ELj8EdilEEv20rocsparse_direction_T3_S2_21rocsparse_index_base_PKT1_PKT2_PKS2_S2_S3_PS4_PS7_PS2_, .Lfunc_end241-_ZN9rocsparseL33bsr2csr_block_per_row_8_32_kernelILj1024ELj8EdilEEv20rocsparse_direction_T3_S2_21rocsparse_index_base_PKT1_PKT2_PKS2_S2_S3_PS4_PS7_PS2_
                                        ; -- End function
	.set _ZN9rocsparseL33bsr2csr_block_per_row_8_32_kernelILj1024ELj8EdilEEv20rocsparse_direction_T3_S2_21rocsparse_index_base_PKT1_PKT2_PKS2_S2_S3_PS4_PS7_PS2_.num_vgpr, 16
	.set _ZN9rocsparseL33bsr2csr_block_per_row_8_32_kernelILj1024ELj8EdilEEv20rocsparse_direction_T3_S2_21rocsparse_index_base_PKT1_PKT2_PKS2_S2_S3_PS4_PS7_PS2_.num_agpr, 0
	.set _ZN9rocsparseL33bsr2csr_block_per_row_8_32_kernelILj1024ELj8EdilEEv20rocsparse_direction_T3_S2_21rocsparse_index_base_PKT1_PKT2_PKS2_S2_S3_PS4_PS7_PS2_.numbered_sgpr, 20
	.set _ZN9rocsparseL33bsr2csr_block_per_row_8_32_kernelILj1024ELj8EdilEEv20rocsparse_direction_T3_S2_21rocsparse_index_base_PKT1_PKT2_PKS2_S2_S3_PS4_PS7_PS2_.num_named_barrier, 0
	.set _ZN9rocsparseL33bsr2csr_block_per_row_8_32_kernelILj1024ELj8EdilEEv20rocsparse_direction_T3_S2_21rocsparse_index_base_PKT1_PKT2_PKS2_S2_S3_PS4_PS7_PS2_.private_seg_size, 0
	.set _ZN9rocsparseL33bsr2csr_block_per_row_8_32_kernelILj1024ELj8EdilEEv20rocsparse_direction_T3_S2_21rocsparse_index_base_PKT1_PKT2_PKS2_S2_S3_PS4_PS7_PS2_.uses_vcc, 1
	.set _ZN9rocsparseL33bsr2csr_block_per_row_8_32_kernelILj1024ELj8EdilEEv20rocsparse_direction_T3_S2_21rocsparse_index_base_PKT1_PKT2_PKS2_S2_S3_PS4_PS7_PS2_.uses_flat_scratch, 0
	.set _ZN9rocsparseL33bsr2csr_block_per_row_8_32_kernelILj1024ELj8EdilEEv20rocsparse_direction_T3_S2_21rocsparse_index_base_PKT1_PKT2_PKS2_S2_S3_PS4_PS7_PS2_.has_dyn_sized_stack, 0
	.set _ZN9rocsparseL33bsr2csr_block_per_row_8_32_kernelILj1024ELj8EdilEEv20rocsparse_direction_T3_S2_21rocsparse_index_base_PKT1_PKT2_PKS2_S2_S3_PS4_PS7_PS2_.has_recursion, 0
	.set _ZN9rocsparseL33bsr2csr_block_per_row_8_32_kernelILj1024ELj8EdilEEv20rocsparse_direction_T3_S2_21rocsparse_index_base_PKT1_PKT2_PKS2_S2_S3_PS4_PS7_PS2_.has_indirect_call, 0
	.section	.AMDGPU.csdata,"",@progbits
; Kernel info:
; codeLenInByte = 680
; TotalNumSgprs: 22
; NumVgprs: 16
; ScratchSize: 0
; MemoryBound: 0
; FloatMode: 240
; IeeeMode: 1
; LDSByteSize: 0 bytes/workgroup (compile time only)
; SGPRBlocks: 0
; VGPRBlocks: 0
; NumSGPRsForWavesPerEU: 22
; NumVGPRsForWavesPerEU: 16
; NamedBarCnt: 0
; Occupancy: 16
; WaveLimiterHint : 0
; COMPUTE_PGM_RSRC2:SCRATCH_EN: 0
; COMPUTE_PGM_RSRC2:USER_SGPR: 2
; COMPUTE_PGM_RSRC2:TRAP_HANDLER: 0
; COMPUTE_PGM_RSRC2:TGID_X_EN: 1
; COMPUTE_PGM_RSRC2:TGID_Y_EN: 0
; COMPUTE_PGM_RSRC2:TGID_Z_EN: 0
; COMPUTE_PGM_RSRC2:TIDIG_COMP_CNT: 0
	.section	.text._ZN9rocsparseL33bsr2csr_block_per_row_8_32_kernelILj1024ELj16EdilEEv20rocsparse_direction_T3_S2_21rocsparse_index_base_PKT1_PKT2_PKS2_S2_S3_PS4_PS7_PS2_,"axG",@progbits,_ZN9rocsparseL33bsr2csr_block_per_row_8_32_kernelILj1024ELj16EdilEEv20rocsparse_direction_T3_S2_21rocsparse_index_base_PKT1_PKT2_PKS2_S2_S3_PS4_PS7_PS2_,comdat
	.globl	_ZN9rocsparseL33bsr2csr_block_per_row_8_32_kernelILj1024ELj16EdilEEv20rocsparse_direction_T3_S2_21rocsparse_index_base_PKT1_PKT2_PKS2_S2_S3_PS4_PS7_PS2_ ; -- Begin function _ZN9rocsparseL33bsr2csr_block_per_row_8_32_kernelILj1024ELj16EdilEEv20rocsparse_direction_T3_S2_21rocsparse_index_base_PKT1_PKT2_PKS2_S2_S3_PS4_PS7_PS2_
	.p2align	8
	.type	_ZN9rocsparseL33bsr2csr_block_per_row_8_32_kernelILj1024ELj16EdilEEv20rocsparse_direction_T3_S2_21rocsparse_index_base_PKT1_PKT2_PKS2_S2_S3_PS4_PS7_PS2_,@function
_ZN9rocsparseL33bsr2csr_block_per_row_8_32_kernelILj1024ELj16EdilEEv20rocsparse_direction_T3_S2_21rocsparse_index_base_PKT1_PKT2_PKS2_S2_S3_PS4_PS7_PS2_: ; @_ZN9rocsparseL33bsr2csr_block_per_row_8_32_kernelILj1024ELj16EdilEEv20rocsparse_direction_T3_S2_21rocsparse_index_base_PKT1_PKT2_PKS2_S2_S3_PS4_PS7_PS2_
; %bb.0:
	s_clause 0x1
	s_load_b32 s6, s[0:1], 0x40
	s_load_b64 s[10:11], s[0:1], 0x50
	s_bfe_u32 s2, ttmp6, 0x4000c
	s_and_b32 s3, ttmp6, 15
	s_add_co_i32 s2, s2, 1
	s_getreg_b32 s4, hwreg(HW_REG_IB_STS2, 6, 4)
	s_mul_i32 s2, ttmp9, s2
	s_mov_b32 s13, 0
	s_add_co_i32 s3, s3, s2
	s_cmp_eq_u32 s4, 0
	s_mov_b32 s2, exec_lo
	s_cselect_b32 s12, ttmp9, s3
	s_delay_alu instid0(SALU_CYCLE_1) | instskip(NEXT) | instid1(VALU_DEP_1)
	v_or_b32_e32 v1, s12, v0
	v_cmpx_eq_u32_e32 0, v1
	s_cbranch_execz .LBB242_2
; %bb.1:
	s_wait_kmcnt 0x0
	v_dual_mov_b32 v1, 0 :: v_dual_mov_b32 v2, s6
	global_store_b32 v1, v2, s[10:11]
.LBB242_2:
	s_wait_xcnt 0x0
	s_or_b32 exec_lo, exec_lo, s2
	v_dual_mov_b32 v3, 0 :: v_dual_bitop2_b32 v2, 15, v0 bitop3:0x40
	v_bfe_u32 v4, v0, 4, 4
	s_load_b64 s[2:3], s[0:1], 0x38
	s_mov_b32 s4, exec_lo
	s_delay_alu instid0(VALU_DEP_2) | instskip(NEXT) | instid1(VALU_DEP_1)
	v_mov_b32_e32 v5, v3
	v_max_i64 v[6:7], v[4:5], v[2:3]
	s_wait_kmcnt 0x0
	s_delay_alu instid0(VALU_DEP_1)
	v_cmpx_gt_i64_e64 s[2:3], v[6:7]
	s_cbranch_execz .LBB242_6
; %bb.3:
	s_clause 0x1
	s_load_b64 s[8:9], s[0:1], 0x28
	s_load_b32 s4, s[0:1], 0x18
	s_lshl_b64 s[14:15], s[12:13], 2
	v_lshrrev_b32_e32 v1, 8, v0
	s_mul_u64 s[12:13], s[2:3], s[12:13]
	s_delay_alu instid0(SALU_CYCLE_1) | instskip(NEXT) | instid1(SALU_CYCLE_1)
	s_lshl_b64 s[12:13], s[12:13], 2
	s_add_nc_u64 s[10:11], s[10:11], s[12:13]
	s_wait_kmcnt 0x0
	s_add_nc_u64 s[8:9], s[8:9], s[14:15]
	s_load_b64 s[14:15], s[8:9], 0x0
	s_wait_xcnt 0x0
	s_mul_u64 s[8:9], s[2:3], s[2:3]
	s_wait_kmcnt 0x0
	s_sub_co_i32 s7, s14, s4
	s_sub_co_i32 s16, s15, s4
	s_mul_i32 s15, s8, s7
	s_sub_co_i32 s5, s16, s7
	v_add_nc_u32_e32 v0, s7, v1
	s_mul_i32 s14, s2, s5
	s_delay_alu instid0(SALU_CYCLE_1) | instskip(NEXT) | instid1(SALU_CYCLE_1)
	s_add_co_i32 s17, s6, s14
	s_add_co_i32 s17, s17, s15
	s_delay_alu instid0(VALU_DEP_1)
	v_cmp_gt_i32_e32 vcc_lo, s16, v0
	v_mad_u32 v6, s14, v4, s17
	global_store_b32 v4, v6, s[10:11] offset:4 scale_offset
	s_wait_xcnt 0x0
	s_and_b32 exec_lo, exec_lo, vcc_lo
	s_cbranch_execz .LBB242_6
; %bb.4:
	v_mul_u64_e32 v[6:7], s[2:3], v[2:3]
	v_mul_u64_e32 v[8:9], s[2:3], v[4:5]
	s_clause 0x2
	s_load_b64 s[10:11], s[0:1], 0x48
	s_load_b64 s[18:19], s[0:1], 0x20
	s_load_b32 s17, s[0:1], 0x0
	v_mad_u32 v1, s2, s7, v1
	v_dual_mov_b32 v11, 0 :: v_dual_lshlrev_b32 v10, 3, v4
	s_clause 0x1
	s_load_b64 s[12:13], s[0:1], 0x30
	s_load_b64 s[14:15], s[0:1], 0x58
	s_delay_alu instid0(VALU_DEP_2) | instskip(SKIP_1) | instid1(SALU_CYCLE_1)
	v_mad_u32 v1, s5, v4, v1
	s_mov_b32 s5, 0
	s_mov_b32 s7, s5
	s_wait_xcnt 0x0
	s_mov_b32 s0, s5
	s_wait_kmcnt 0x0
	s_cmp_eq_u32 s17, 0
	s_cselect_b32 vcc_lo, -1, 0
	s_lshl_b32 s1, s2, 2
	v_lshl_add_u64 v[6:7], v[6:7], 3, s[18:19]
	v_lshl_add_u64 v[4:5], v[8:9], 3, s[18:19]
	s_delay_alu instid0(VALU_DEP_2) | instskip(SKIP_1) | instid1(VALU_DEP_1)
	v_add_nc_u64_e32 v[6:7], v[6:7], v[10:11]
	v_lshlrev_b32_e32 v10, 3, v2
	v_add_nc_u64_e32 v[8:9], v[4:5], v[10:11]
	v_mad_u32 v5, s2, v1, v2
	v_add_nc_u64_e32 v[2:3], s[6:7], v[2:3]
	s_mov_b32 s6, s5
	s_delay_alu instid0(VALU_DEP_3) | instskip(NEXT) | instid1(VALU_DEP_4)
	v_dual_mov_b32 v4, v11 :: v_dual_cndmask_b32 v6, v6, v8, vcc_lo
	v_cndmask_b32_e32 v7, v7, v9, vcc_lo
.LBB242_5:                              ; =>This Inner Loop Header: Depth=1
	v_ashrrev_i32_e32 v1, 31, v0
	global_load_b64 v[8:9], v0, s[12:13] scale_offset
	v_ashrrev_i64 v[14:15], 29, v[4:5]
	v_add_nc_u64_e32 v[4:5], s[0:1], v[4:5]
	v_mul_u64_e32 v[10:11], s[8:9], v[0:1]
	s_wait_xcnt 0x0
	v_add_nc_u32_e32 v0, 4, v0
	s_delay_alu instid0(VALU_DEP_1) | instskip(SKIP_1) | instid1(VALU_DEP_3)
	v_cmp_le_i32_e32 vcc_lo, s16, v0
	s_or_b32 s6, vcc_lo, s6
	v_lshl_add_u64 v[10:11], v[10:11], 3, v[6:7]
	global_load_b64 v[10:11], v[10:11], off
	s_wait_loadcnt 0x1
	v_sub_nc_u64_e64 v[8:9], v[8:9], s[4:5]
	s_delay_alu instid0(VALU_DEP_1) | instskip(NEXT) | instid1(VALU_DEP_1)
	v_mad_nc_u64_u32 v[12:13], v8, s2, v[2:3]
	v_mad_u32 v1, v9, s2, v13
	s_delay_alu instid0(VALU_DEP_1)
	v_mad_u32 v13, v8, s3, v1
	v_add_nc_u64_e32 v[8:9], s[14:15], v[14:15]
	v_add_nc_u64_e32 v[14:15], s[10:11], v[14:15]
	global_store_b64 v[8:9], v[12:13], off
	s_wait_loadcnt 0x0
	global_store_b64 v[14:15], v[10:11], off
	s_wait_xcnt 0x0
	s_and_not1_b32 exec_lo, exec_lo, s6
	s_cbranch_execnz .LBB242_5
.LBB242_6:
	s_endpgm
	.section	.rodata,"a",@progbits
	.p2align	6, 0x0
	.amdhsa_kernel _ZN9rocsparseL33bsr2csr_block_per_row_8_32_kernelILj1024ELj16EdilEEv20rocsparse_direction_T3_S2_21rocsparse_index_base_PKT1_PKT2_PKS2_S2_S3_PS4_PS7_PS2_
		.amdhsa_group_segment_fixed_size 0
		.amdhsa_private_segment_fixed_size 0
		.amdhsa_kernarg_size 96
		.amdhsa_user_sgpr_count 2
		.amdhsa_user_sgpr_dispatch_ptr 0
		.amdhsa_user_sgpr_queue_ptr 0
		.amdhsa_user_sgpr_kernarg_segment_ptr 1
		.amdhsa_user_sgpr_dispatch_id 0
		.amdhsa_user_sgpr_kernarg_preload_length 0
		.amdhsa_user_sgpr_kernarg_preload_offset 0
		.amdhsa_user_sgpr_private_segment_size 0
		.amdhsa_wavefront_size32 1
		.amdhsa_uses_dynamic_stack 0
		.amdhsa_enable_private_segment 0
		.amdhsa_system_sgpr_workgroup_id_x 1
		.amdhsa_system_sgpr_workgroup_id_y 0
		.amdhsa_system_sgpr_workgroup_id_z 0
		.amdhsa_system_sgpr_workgroup_info 0
		.amdhsa_system_vgpr_workitem_id 0
		.amdhsa_next_free_vgpr 16
		.amdhsa_next_free_sgpr 20
		.amdhsa_named_barrier_count 0
		.amdhsa_reserve_vcc 1
		.amdhsa_float_round_mode_32 0
		.amdhsa_float_round_mode_16_64 0
		.amdhsa_float_denorm_mode_32 3
		.amdhsa_float_denorm_mode_16_64 3
		.amdhsa_fp16_overflow 0
		.amdhsa_memory_ordered 1
		.amdhsa_forward_progress 1
		.amdhsa_inst_pref_size 6
		.amdhsa_round_robin_scheduling 0
		.amdhsa_exception_fp_ieee_invalid_op 0
		.amdhsa_exception_fp_denorm_src 0
		.amdhsa_exception_fp_ieee_div_zero 0
		.amdhsa_exception_fp_ieee_overflow 0
		.amdhsa_exception_fp_ieee_underflow 0
		.amdhsa_exception_fp_ieee_inexact 0
		.amdhsa_exception_int_div_zero 0
	.end_amdhsa_kernel
	.section	.text._ZN9rocsparseL33bsr2csr_block_per_row_8_32_kernelILj1024ELj16EdilEEv20rocsparse_direction_T3_S2_21rocsparse_index_base_PKT1_PKT2_PKS2_S2_S3_PS4_PS7_PS2_,"axG",@progbits,_ZN9rocsparseL33bsr2csr_block_per_row_8_32_kernelILj1024ELj16EdilEEv20rocsparse_direction_T3_S2_21rocsparse_index_base_PKT1_PKT2_PKS2_S2_S3_PS4_PS7_PS2_,comdat
.Lfunc_end242:
	.size	_ZN9rocsparseL33bsr2csr_block_per_row_8_32_kernelILj1024ELj16EdilEEv20rocsparse_direction_T3_S2_21rocsparse_index_base_PKT1_PKT2_PKS2_S2_S3_PS4_PS7_PS2_, .Lfunc_end242-_ZN9rocsparseL33bsr2csr_block_per_row_8_32_kernelILj1024ELj16EdilEEv20rocsparse_direction_T3_S2_21rocsparse_index_base_PKT1_PKT2_PKS2_S2_S3_PS4_PS7_PS2_
                                        ; -- End function
	.set _ZN9rocsparseL33bsr2csr_block_per_row_8_32_kernelILj1024ELj16EdilEEv20rocsparse_direction_T3_S2_21rocsparse_index_base_PKT1_PKT2_PKS2_S2_S3_PS4_PS7_PS2_.num_vgpr, 16
	.set _ZN9rocsparseL33bsr2csr_block_per_row_8_32_kernelILj1024ELj16EdilEEv20rocsparse_direction_T3_S2_21rocsparse_index_base_PKT1_PKT2_PKS2_S2_S3_PS4_PS7_PS2_.num_agpr, 0
	.set _ZN9rocsparseL33bsr2csr_block_per_row_8_32_kernelILj1024ELj16EdilEEv20rocsparse_direction_T3_S2_21rocsparse_index_base_PKT1_PKT2_PKS2_S2_S3_PS4_PS7_PS2_.numbered_sgpr, 20
	.set _ZN9rocsparseL33bsr2csr_block_per_row_8_32_kernelILj1024ELj16EdilEEv20rocsparse_direction_T3_S2_21rocsparse_index_base_PKT1_PKT2_PKS2_S2_S3_PS4_PS7_PS2_.num_named_barrier, 0
	.set _ZN9rocsparseL33bsr2csr_block_per_row_8_32_kernelILj1024ELj16EdilEEv20rocsparse_direction_T3_S2_21rocsparse_index_base_PKT1_PKT2_PKS2_S2_S3_PS4_PS7_PS2_.private_seg_size, 0
	.set _ZN9rocsparseL33bsr2csr_block_per_row_8_32_kernelILj1024ELj16EdilEEv20rocsparse_direction_T3_S2_21rocsparse_index_base_PKT1_PKT2_PKS2_S2_S3_PS4_PS7_PS2_.uses_vcc, 1
	.set _ZN9rocsparseL33bsr2csr_block_per_row_8_32_kernelILj1024ELj16EdilEEv20rocsparse_direction_T3_S2_21rocsparse_index_base_PKT1_PKT2_PKS2_S2_S3_PS4_PS7_PS2_.uses_flat_scratch, 0
	.set _ZN9rocsparseL33bsr2csr_block_per_row_8_32_kernelILj1024ELj16EdilEEv20rocsparse_direction_T3_S2_21rocsparse_index_base_PKT1_PKT2_PKS2_S2_S3_PS4_PS7_PS2_.has_dyn_sized_stack, 0
	.set _ZN9rocsparseL33bsr2csr_block_per_row_8_32_kernelILj1024ELj16EdilEEv20rocsparse_direction_T3_S2_21rocsparse_index_base_PKT1_PKT2_PKS2_S2_S3_PS4_PS7_PS2_.has_recursion, 0
	.set _ZN9rocsparseL33bsr2csr_block_per_row_8_32_kernelILj1024ELj16EdilEEv20rocsparse_direction_T3_S2_21rocsparse_index_base_PKT1_PKT2_PKS2_S2_S3_PS4_PS7_PS2_.has_indirect_call, 0
	.section	.AMDGPU.csdata,"",@progbits
; Kernel info:
; codeLenInByte = 680
; TotalNumSgprs: 22
; NumVgprs: 16
; ScratchSize: 0
; MemoryBound: 0
; FloatMode: 240
; IeeeMode: 1
; LDSByteSize: 0 bytes/workgroup (compile time only)
; SGPRBlocks: 0
; VGPRBlocks: 0
; NumSGPRsForWavesPerEU: 22
; NumVGPRsForWavesPerEU: 16
; NamedBarCnt: 0
; Occupancy: 16
; WaveLimiterHint : 0
; COMPUTE_PGM_RSRC2:SCRATCH_EN: 0
; COMPUTE_PGM_RSRC2:USER_SGPR: 2
; COMPUTE_PGM_RSRC2:TRAP_HANDLER: 0
; COMPUTE_PGM_RSRC2:TGID_X_EN: 1
; COMPUTE_PGM_RSRC2:TGID_Y_EN: 0
; COMPUTE_PGM_RSRC2:TGID_Z_EN: 0
; COMPUTE_PGM_RSRC2:TIDIG_COMP_CNT: 0
	.section	.text._ZN9rocsparseL33bsr2csr_block_per_row_8_32_kernelILj1024ELj32EdilEEv20rocsparse_direction_T3_S2_21rocsparse_index_base_PKT1_PKT2_PKS2_S2_S3_PS4_PS7_PS2_,"axG",@progbits,_ZN9rocsparseL33bsr2csr_block_per_row_8_32_kernelILj1024ELj32EdilEEv20rocsparse_direction_T3_S2_21rocsparse_index_base_PKT1_PKT2_PKS2_S2_S3_PS4_PS7_PS2_,comdat
	.globl	_ZN9rocsparseL33bsr2csr_block_per_row_8_32_kernelILj1024ELj32EdilEEv20rocsparse_direction_T3_S2_21rocsparse_index_base_PKT1_PKT2_PKS2_S2_S3_PS4_PS7_PS2_ ; -- Begin function _ZN9rocsparseL33bsr2csr_block_per_row_8_32_kernelILj1024ELj32EdilEEv20rocsparse_direction_T3_S2_21rocsparse_index_base_PKT1_PKT2_PKS2_S2_S3_PS4_PS7_PS2_
	.p2align	8
	.type	_ZN9rocsparseL33bsr2csr_block_per_row_8_32_kernelILj1024ELj32EdilEEv20rocsparse_direction_T3_S2_21rocsparse_index_base_PKT1_PKT2_PKS2_S2_S3_PS4_PS7_PS2_,@function
_ZN9rocsparseL33bsr2csr_block_per_row_8_32_kernelILj1024ELj32EdilEEv20rocsparse_direction_T3_S2_21rocsparse_index_base_PKT1_PKT2_PKS2_S2_S3_PS4_PS7_PS2_: ; @_ZN9rocsparseL33bsr2csr_block_per_row_8_32_kernelILj1024ELj32EdilEEv20rocsparse_direction_T3_S2_21rocsparse_index_base_PKT1_PKT2_PKS2_S2_S3_PS4_PS7_PS2_
; %bb.0:
	s_clause 0x1
	s_load_b32 s8, s[0:1], 0x40
	s_load_b64 s[10:11], s[0:1], 0x50
	s_bfe_u32 s2, ttmp6, 0x4000c
	s_and_b32 s3, ttmp6, 15
	s_add_co_i32 s2, s2, 1
	s_getreg_b32 s4, hwreg(HW_REG_IB_STS2, 6, 4)
	s_mul_i32 s2, ttmp9, s2
	s_mov_b32 s15, 0
	s_add_co_i32 s3, s3, s2
	s_cmp_eq_u32 s4, 0
	s_mov_b32 s2, exec_lo
	s_cselect_b32 s14, ttmp9, s3
	s_delay_alu instid0(SALU_CYCLE_1) | instskip(NEXT) | instid1(VALU_DEP_1)
	v_or_b32_e32 v1, s14, v0
	v_cmpx_eq_u32_e32 0, v1
	s_cbranch_execz .LBB243_2
; %bb.1:
	s_wait_kmcnt 0x0
	v_dual_mov_b32 v1, 0 :: v_dual_mov_b32 v2, s8
	global_store_b32 v1, v2, s[10:11]
.LBB243_2:
	s_wait_xcnt 0x0
	s_or_b32 exec_lo, exec_lo, s2
	v_dual_mov_b32 v3, 0 :: v_dual_bitop2_b32 v2, 31, v0 bitop3:0x40
	v_lshrrev_b32_e32 v0, 5, v0
	s_load_b64 s[2:3], s[0:1], 0x38
	s_mov_b32 s4, exec_lo
	s_delay_alu instid0(VALU_DEP_2) | instskip(NEXT) | instid1(VALU_DEP_1)
	v_mov_b32_e32 v1, v3
	v_max_i64 v[4:5], v[0:1], v[2:3]
	s_wait_kmcnt 0x0
	s_delay_alu instid0(VALU_DEP_1)
	v_cmpx_gt_i64_e64 s[2:3], v[4:5]
	s_cbranch_execz .LBB243_6
; %bb.3:
	s_clause 0x1
	s_load_b64 s[6:7], s[0:1], 0x28
	s_load_b32 s4, s[0:1], 0x18
	s_lshl_b64 s[12:13], s[14:15], 2
	s_mul_u64 s[14:15], s[2:3], s[14:15]
	s_delay_alu instid0(SALU_CYCLE_1) | instskip(NEXT) | instid1(SALU_CYCLE_1)
	s_lshl_b64 s[14:15], s[14:15], 2
	s_add_nc_u64 s[10:11], s[10:11], s[14:15]
	s_wait_kmcnt 0x0
	s_add_nc_u64 s[6:7], s[6:7], s[12:13]
	s_mul_u64 s[12:13], s[2:3], s[2:3]
	s_load_b64 s[18:19], s[6:7], 0x0
	s_wait_kmcnt 0x0
	s_sub_co_i32 s6, s18, s4
	s_sub_co_i32 s16, s19, s4
	s_mul_i32 s9, s12, s6
	s_sub_co_i32 s5, s16, s6
	s_delay_alu instid0(SALU_CYCLE_1) | instskip(NEXT) | instid1(SALU_CYCLE_1)
	s_mul_i32 s7, s2, s5
	s_add_co_i32 s17, s8, s7
	s_delay_alu instid0(SALU_CYCLE_1)
	s_add_co_i32 s17, s17, s9
	s_cmp_ge_i32 s18, s19
	v_mad_u32 v4, s7, v0, s17
	global_store_b32 v0, v4, s[10:11] offset:4 scale_offset
	s_cbranch_scc1 .LBB243_6
; %bb.4:
	s_wait_xcnt 0x0
	v_mul_u64_e32 v[4:5], s[2:3], v[2:3]
	v_mul_u64_e32 v[6:7], s[2:3], v[0:1]
	s_clause 0x3
	s_load_b64 s[14:15], s[0:1], 0x20
	s_load_b64 s[18:19], s[0:1], 0x30
	;; [unrolled: 1-line block ×3, first 2 shown]
	s_load_b32 s7, s[0:1], 0x0
	v_mul_lo_u32 v10, v0, s5
	v_dual_mov_b32 v9, 0 :: v_dual_lshlrev_b32 v8, 3, v0
	s_wait_xcnt 0x0
	s_load_b64 s[0:1], s[0:1], 0x58
	s_mov_b32 s5, 0
	s_delay_alu instid0(SALU_CYCLE_1) | instskip(NEXT) | instid1(VALU_DEP_2)
	s_mov_b32 s9, s5
	v_mad_u32 v10, s2, s6, v10
	s_wait_kmcnt 0x0
	s_cmp_eq_u32 s7, 0
	s_cselect_b32 vcc_lo, -1, 0
	s_ashr_i32 s7, s6, 31
	s_delay_alu instid0(SALU_CYCLE_1) | instskip(SKIP_4) | instid1(VALU_DEP_2)
	s_lshl_b64 s[20:21], s[6:7], 3
	v_lshl_add_u64 v[0:1], v[4:5], 3, s[14:15]
	v_lshl_add_u64 v[4:5], v[6:7], 3, s[14:15]
	s_mul_u64 s[14:15], s[12:13], s[6:7]
	s_lshl_b64 s[12:13], s[12:13], 3
	v_add_nc_u64_e32 v[6:7], v[0:1], v[8:9]
	v_lshlrev_b32_e32 v8, 3, v2
	v_add_nc_u64_e32 v[0:1], s[8:9], v[2:3]
	v_mad_u32 v3, s2, v10, v2
	s_mov_b32 s8, s5
	s_mov_b32 s9, s2
	v_add_nc_u64_e32 v[4:5], v[4:5], v[8:9]
	s_delay_alu instid0(VALU_DEP_1) | instskip(NEXT) | instid1(VALU_DEP_2)
	v_dual_mov_b32 v2, v9 :: v_dual_cndmask_b32 v4, v6, v4, vcc_lo
	v_cndmask_b32_e32 v5, v7, v5, vcc_lo
	s_delay_alu instid0(VALU_DEP_1)
	v_lshl_add_u64 v[4:5], s[14:15], 3, v[4:5]
	s_add_nc_u64 s[14:15], s[18:19], s[20:21]
.LBB243_5:                              ; =>This Inner Loop Header: Depth=1
	global_load_b64 v[6:7], v[4:5], off
	s_load_b64 s[18:19], s[14:15], 0x0
	v_ashrrev_i64 v[10:11], 29, v[2:3]
	v_add_nc_u64_e32 v[2:3], s[8:9], v[2:3]
	v_add_nc_u64_e32 v[4:5], s[12:13], v[4:5]
	s_add_co_i32 s6, s6, 1
	s_wait_xcnt 0x0
	s_add_nc_u64 s[14:15], s[14:15], 8
	s_cmp_lt_i32 s6, s16
	v_add_nc_u64_e32 v[12:13], s[0:1], v[10:11]
	v_add_nc_u64_e32 v[10:11], s[10:11], v[10:11]
	s_wait_kmcnt 0x0
	s_sub_nc_u64 s[18:19], s[18:19], s[4:5]
	s_delay_alu instid0(SALU_CYCLE_1)
	v_mad_nc_u64_u32 v[8:9], s18, s2, v[0:1]
	s_mul_i32 s7, s19, s2
	s_mul_i32 s17, s18, s3
	s_delay_alu instid0(VALU_DEP_1) | instid1(SALU_CYCLE_1)
	v_add3_u32 v9, s17, s7, v9
	global_store_b64 v[12:13], v[8:9], off
	s_wait_loadcnt 0x0
	global_store_b64 v[10:11], v[6:7], off
	s_cbranch_scc1 .LBB243_5
.LBB243_6:
	s_endpgm
	.section	.rodata,"a",@progbits
	.p2align	6, 0x0
	.amdhsa_kernel _ZN9rocsparseL33bsr2csr_block_per_row_8_32_kernelILj1024ELj32EdilEEv20rocsparse_direction_T3_S2_21rocsparse_index_base_PKT1_PKT2_PKS2_S2_S3_PS4_PS7_PS2_
		.amdhsa_group_segment_fixed_size 0
		.amdhsa_private_segment_fixed_size 0
		.amdhsa_kernarg_size 96
		.amdhsa_user_sgpr_count 2
		.amdhsa_user_sgpr_dispatch_ptr 0
		.amdhsa_user_sgpr_queue_ptr 0
		.amdhsa_user_sgpr_kernarg_segment_ptr 1
		.amdhsa_user_sgpr_dispatch_id 0
		.amdhsa_user_sgpr_kernarg_preload_length 0
		.amdhsa_user_sgpr_kernarg_preload_offset 0
		.amdhsa_user_sgpr_private_segment_size 0
		.amdhsa_wavefront_size32 1
		.amdhsa_uses_dynamic_stack 0
		.amdhsa_enable_private_segment 0
		.amdhsa_system_sgpr_workgroup_id_x 1
		.amdhsa_system_sgpr_workgroup_id_y 0
		.amdhsa_system_sgpr_workgroup_id_z 0
		.amdhsa_system_sgpr_workgroup_info 0
		.amdhsa_system_vgpr_workitem_id 0
		.amdhsa_next_free_vgpr 14
		.amdhsa_next_free_sgpr 22
		.amdhsa_named_barrier_count 0
		.amdhsa_reserve_vcc 1
		.amdhsa_float_round_mode_32 0
		.amdhsa_float_round_mode_16_64 0
		.amdhsa_float_denorm_mode_32 3
		.amdhsa_float_denorm_mode_16_64 3
		.amdhsa_fp16_overflow 0
		.amdhsa_memory_ordered 1
		.amdhsa_forward_progress 1
		.amdhsa_inst_pref_size 6
		.amdhsa_round_robin_scheduling 0
		.amdhsa_exception_fp_ieee_invalid_op 0
		.amdhsa_exception_fp_denorm_src 0
		.amdhsa_exception_fp_ieee_div_zero 0
		.amdhsa_exception_fp_ieee_overflow 0
		.amdhsa_exception_fp_ieee_underflow 0
		.amdhsa_exception_fp_ieee_inexact 0
		.amdhsa_exception_int_div_zero 0
	.end_amdhsa_kernel
	.section	.text._ZN9rocsparseL33bsr2csr_block_per_row_8_32_kernelILj1024ELj32EdilEEv20rocsparse_direction_T3_S2_21rocsparse_index_base_PKT1_PKT2_PKS2_S2_S3_PS4_PS7_PS2_,"axG",@progbits,_ZN9rocsparseL33bsr2csr_block_per_row_8_32_kernelILj1024ELj32EdilEEv20rocsparse_direction_T3_S2_21rocsparse_index_base_PKT1_PKT2_PKS2_S2_S3_PS4_PS7_PS2_,comdat
.Lfunc_end243:
	.size	_ZN9rocsparseL33bsr2csr_block_per_row_8_32_kernelILj1024ELj32EdilEEv20rocsparse_direction_T3_S2_21rocsparse_index_base_PKT1_PKT2_PKS2_S2_S3_PS4_PS7_PS2_, .Lfunc_end243-_ZN9rocsparseL33bsr2csr_block_per_row_8_32_kernelILj1024ELj32EdilEEv20rocsparse_direction_T3_S2_21rocsparse_index_base_PKT1_PKT2_PKS2_S2_S3_PS4_PS7_PS2_
                                        ; -- End function
	.set _ZN9rocsparseL33bsr2csr_block_per_row_8_32_kernelILj1024ELj32EdilEEv20rocsparse_direction_T3_S2_21rocsparse_index_base_PKT1_PKT2_PKS2_S2_S3_PS4_PS7_PS2_.num_vgpr, 14
	.set _ZN9rocsparseL33bsr2csr_block_per_row_8_32_kernelILj1024ELj32EdilEEv20rocsparse_direction_T3_S2_21rocsparse_index_base_PKT1_PKT2_PKS2_S2_S3_PS4_PS7_PS2_.num_agpr, 0
	.set _ZN9rocsparseL33bsr2csr_block_per_row_8_32_kernelILj1024ELj32EdilEEv20rocsparse_direction_T3_S2_21rocsparse_index_base_PKT1_PKT2_PKS2_S2_S3_PS4_PS7_PS2_.numbered_sgpr, 22
	.set _ZN9rocsparseL33bsr2csr_block_per_row_8_32_kernelILj1024ELj32EdilEEv20rocsparse_direction_T3_S2_21rocsparse_index_base_PKT1_PKT2_PKS2_S2_S3_PS4_PS7_PS2_.num_named_barrier, 0
	.set _ZN9rocsparseL33bsr2csr_block_per_row_8_32_kernelILj1024ELj32EdilEEv20rocsparse_direction_T3_S2_21rocsparse_index_base_PKT1_PKT2_PKS2_S2_S3_PS4_PS7_PS2_.private_seg_size, 0
	.set _ZN9rocsparseL33bsr2csr_block_per_row_8_32_kernelILj1024ELj32EdilEEv20rocsparse_direction_T3_S2_21rocsparse_index_base_PKT1_PKT2_PKS2_S2_S3_PS4_PS7_PS2_.uses_vcc, 1
	.set _ZN9rocsparseL33bsr2csr_block_per_row_8_32_kernelILj1024ELj32EdilEEv20rocsparse_direction_T3_S2_21rocsparse_index_base_PKT1_PKT2_PKS2_S2_S3_PS4_PS7_PS2_.uses_flat_scratch, 0
	.set _ZN9rocsparseL33bsr2csr_block_per_row_8_32_kernelILj1024ELj32EdilEEv20rocsparse_direction_T3_S2_21rocsparse_index_base_PKT1_PKT2_PKS2_S2_S3_PS4_PS7_PS2_.has_dyn_sized_stack, 0
	.set _ZN9rocsparseL33bsr2csr_block_per_row_8_32_kernelILj1024ELj32EdilEEv20rocsparse_direction_T3_S2_21rocsparse_index_base_PKT1_PKT2_PKS2_S2_S3_PS4_PS7_PS2_.has_recursion, 0
	.set _ZN9rocsparseL33bsr2csr_block_per_row_8_32_kernelILj1024ELj32EdilEEv20rocsparse_direction_T3_S2_21rocsparse_index_base_PKT1_PKT2_PKS2_S2_S3_PS4_PS7_PS2_.has_indirect_call, 0
	.section	.AMDGPU.csdata,"",@progbits
; Kernel info:
; codeLenInByte = 652
; TotalNumSgprs: 24
; NumVgprs: 14
; ScratchSize: 0
; MemoryBound: 0
; FloatMode: 240
; IeeeMode: 1
; LDSByteSize: 0 bytes/workgroup (compile time only)
; SGPRBlocks: 0
; VGPRBlocks: 0
; NumSGPRsForWavesPerEU: 24
; NumVGPRsForWavesPerEU: 14
; NamedBarCnt: 0
; Occupancy: 16
; WaveLimiterHint : 0
; COMPUTE_PGM_RSRC2:SCRATCH_EN: 0
; COMPUTE_PGM_RSRC2:USER_SGPR: 2
; COMPUTE_PGM_RSRC2:TRAP_HANDLER: 0
; COMPUTE_PGM_RSRC2:TGID_X_EN: 1
; COMPUTE_PGM_RSRC2:TGID_Y_EN: 0
; COMPUTE_PGM_RSRC2:TGID_Z_EN: 0
; COMPUTE_PGM_RSRC2:TIDIG_COMP_CNT: 0
	.section	.text._ZN9rocsparseL35bsr2csr_block_per_row_33_256_kernelILj1024ELj64ELj32EdilEEv20rocsparse_direction_T4_S2_21rocsparse_index_base_PKT2_PKT3_PKS2_S2_S3_PS4_PS7_PS2_,"axG",@progbits,_ZN9rocsparseL35bsr2csr_block_per_row_33_256_kernelILj1024ELj64ELj32EdilEEv20rocsparse_direction_T4_S2_21rocsparse_index_base_PKT2_PKT3_PKS2_S2_S3_PS4_PS7_PS2_,comdat
	.globl	_ZN9rocsparseL35bsr2csr_block_per_row_33_256_kernelILj1024ELj64ELj32EdilEEv20rocsparse_direction_T4_S2_21rocsparse_index_base_PKT2_PKT3_PKS2_S2_S3_PS4_PS7_PS2_ ; -- Begin function _ZN9rocsparseL35bsr2csr_block_per_row_33_256_kernelILj1024ELj64ELj32EdilEEv20rocsparse_direction_T4_S2_21rocsparse_index_base_PKT2_PKT3_PKS2_S2_S3_PS4_PS7_PS2_
	.p2align	8
	.type	_ZN9rocsparseL35bsr2csr_block_per_row_33_256_kernelILj1024ELj64ELj32EdilEEv20rocsparse_direction_T4_S2_21rocsparse_index_base_PKT2_PKT3_PKS2_S2_S3_PS4_PS7_PS2_,@function
_ZN9rocsparseL35bsr2csr_block_per_row_33_256_kernelILj1024ELj64ELj32EdilEEv20rocsparse_direction_T4_S2_21rocsparse_index_base_PKT2_PKT3_PKS2_S2_S3_PS4_PS7_PS2_: ; @_ZN9rocsparseL35bsr2csr_block_per_row_33_256_kernelILj1024ELj64ELj32EdilEEv20rocsparse_direction_T4_S2_21rocsparse_index_base_PKT2_PKT3_PKS2_S2_S3_PS4_PS7_PS2_
; %bb.0:
	s_load_b64 s[8:9], s[0:1], 0x28
	s_bfe_u32 s2, ttmp6, 0x4000c
	s_and_b32 s3, ttmp6, 15
	s_add_co_i32 s2, s2, 1
	s_getreg_b32 s4, hwreg(HW_REG_IB_STS2, 6, 4)
	s_mul_i32 s2, ttmp9, s2
	s_mov_b32 s5, 0
	s_add_co_i32 s3, s3, s2
	s_cmp_eq_u32 s4, 0
	s_clause 0x1
	s_load_b32 s6, s[0:1], 0x40
	s_load_b64 s[14:15], s[0:1], 0x50
	s_cselect_b32 s2, ttmp9, s3
	s_mov_b32 s3, s5
	v_or_b32_e32 v1, s2, v0
	s_lshl_b64 s[10:11], s[2:3], 2
	s_mov_b32 s4, exec_lo
	s_wait_kmcnt 0x0
	s_add_nc_u64 s[8:9], s[8:9], s[10:11]
	s_load_b64 s[12:13], s[8:9], 0x0
	v_cmpx_eq_u32_e32 0, v1
	s_cbranch_execz .LBB244_2
; %bb.1:
	v_dual_mov_b32 v1, 0 :: v_dual_mov_b32 v2, s6
	global_store_b32 v1, v2, s[14:15]
.LBB244_2:
	s_wait_xcnt 0x0
	s_or_b32 exec_lo, exec_lo, s4
	s_clause 0x1
	s_load_b32 s8, s[0:1], 0x18
	s_load_b64 s[10:11], s[0:1], 0x38
	v_dual_mov_b32 v13, 0 :: v_dual_lshrrev_b32 v12, 5, v0
	s_mov_b32 s17, s5
	s_wait_kmcnt 0x0
	s_sub_co_i32 s4, s12, s8
	s_sub_co_i32 s24, s13, s8
	s_mul_u64 s[26:27], s[10:11], s[2:3]
	v_cmp_gt_i64_e64 s2, s[10:11], v[12:13]
	s_sub_co_i32 s16, s24, s4
	s_mul_u64 s[18:19], s[10:11], s[10:11]
	s_mul_u64 s[22:23], s[10:11], s[16:17]
	s_lshl_b64 s[26:27], s[26:27], 2
	s_mul_u64 s[20:21], s[18:19], s[4:5]
	s_add_co_i32 s5, s6, s22
	s_add_nc_u64 s[14:15], s[14:15], s[26:27]
	s_and_saveexec_b32 s3, s2
	s_cbranch_execz .LBB244_4
; %bb.3:
	s_add_co_i32 s7, s5, s20
	s_delay_alu instid0(SALU_CYCLE_1)
	v_mad_u32 v1, v12, s22, s7
	global_store_b32 v12, v1, s[14:15] offset:4 scale_offset
.LBB244_4:
	s_wait_xcnt 0x0
	s_or_b32 exec_lo, exec_lo, s3
	v_dual_mov_b32 v3, v13 :: v_dual_bitop2_b32 v2, 32, v12 bitop3:0x54
	s_delay_alu instid0(VALU_DEP_1)
	v_cmp_gt_i64_e64 s3, s[10:11], v[2:3]
	s_and_saveexec_b32 s7, s3
	s_cbranch_execz .LBB244_6
; %bb.5:
	s_add_co_i32 s5, s5, s20
	s_delay_alu instid0(SALU_CYCLE_1)
	v_mad_u32 v1, v2, s22, s5
	global_store_b32 v12, v1, s[14:15] offset:132 scale_offset
.LBB244_6:
	s_wait_xcnt 0x0
	s_or_b32 exec_lo, exec_lo, s7
	s_cmp_lt_i32 s12, s13
	s_cbranch_scc0 .LBB244_17
; %bb.7:
	s_clause 0x2
	s_load_b64 s[20:21], s[0:1], 0x30
	s_load_b64 s[12:13], s[0:1], 0x48
	s_load_b32 s5, s[0:1], 0x0
	v_dual_mov_b32 v1, 0 :: v_dual_bitop2_b32 v0, 31, v0 bitop3:0x40
	v_lshlrev_b32_e32 v8, 3, v12
	s_mul_i32 s7, s10, s4
	s_mov_b32 s9, 0
	s_delay_alu instid0(VALU_DEP_2)
	v_dual_mov_b32 v9, v1 :: v_dual_lshlrev_b32 v4, 3, v0
	v_mov_b32_e32 v5, v1
	v_mad_u32 v13, v2, s16, s7
	v_mad_u32 v12, v12, s16, s7
	v_dual_mov_b32 v11, v1 :: v_dual_bitop2_b32 v10, 32, v0 bitop3:0x54
	s_mov_b32 s7, s9
	s_load_b64 s[16:17], s[0:1], 0x58
	v_mov_b32_e32 v14, v1
	s_wait_kmcnt 0x0
	s_cmp_eq_u32 s5, 0
	s_delay_alu instid0(VALU_DEP_4) | instskip(SKIP_2) | instid1(VALU_DEP_4)
	v_mul_lo_u32 v13, s10, v13
	s_cselect_b32 vcc_lo, -1, 0
	s_ashr_i32 s5, s4, 31
	v_mul_lo_u32 v15, s10, v12
	s_mul_u64 s[14:15], s[10:11], s[4:5]
	v_mov_b32_e32 v12, v1
	s_lshl_b64 s[14:15], s[14:15], 3
	s_lshl_b64 s[18:19], s[18:19], 3
	v_add_nc_u64_e32 v[16:17], s[14:15], v[8:9]
	v_add_nc_u64_e32 v[18:19], s[14:15], v[4:5]
	s_load_b64 s[14:15], s[0:1], 0x20
	s_wait_xcnt 0x0
	v_cmp_gt_i64_e64 s0, s[10:11], v[0:1]
	v_cmp_gt_i64_e64 s1, s[10:11], v[10:11]
	s_delay_alu instid0(VALU_DEP_4) | instskip(NEXT) | instid1(VALU_DEP_4)
	v_add_nc_u64_e32 v[20:21], 0x100, v[16:17]
	v_add_nc_u64_e32 v[22:23], 0x100, v[18:19]
	v_mad_nc_u64_u32 v[2:3], s10, v16, v[4:5]
	s_and_b32 s22, s2, s0
	s_and_b32 s23, s2, s1
	;; [unrolled: 1-line block ×4, first 2 shown]
	v_mad_nc_u64_u32 v[4:5], s10, v20, v[4:5]
	v_mad_nc_u64_u32 v[6:7], s10, v22, v[8:9]
	;; [unrolled: 1-line block ×3, first 2 shown]
	s_lshl_b64 s[2:3], s[4:5], 3
	s_mov_b32 s0, s9
	s_mov_b32 s1, s10
	v_mad_u32 v3, s11, v16, v3
	v_mov_b32_e32 v16, v1
	s_add_nc_u64 s[2:3], s[20:21], s[2:3]
	v_mad_u32 v5, s11, v20, v5
	v_mad_u32 v7, s11, v22, v7
	v_mad_u32 v9, s11, v18, v9
	v_mad_u32 v3, s10, v17, v3
	v_mov_b32_e32 v17, v0
	v_mad_u32 v5, s10, v21, v5
	v_mad_u32 v7, s10, v23, v7
	;; [unrolled: 1-line block ×3, first 2 shown]
	s_branch .LBB244_9
.LBB244_8:                              ;   in Loop: Header=BB244_9 Depth=1
	s_wait_xcnt 0x0
	s_or_b32 exec_lo, exec_lo, s5
	v_add_nc_u64_e32 v[16:17], s[0:1], v[16:17]
	s_add_co_i32 s4, s4, 1
	s_add_nc_u64 s[2:3], s[2:3], 8
	s_cmp_ge_i32 s4, s24
	s_add_nc_u64 s[14:15], s[14:15], s[18:19]
	s_cbranch_scc1 .LBB244_17
.LBB244_9:                              ; =>This Inner Loop Header: Depth=1
	s_load_b64 s[20:21], s[2:3], 0x0
	v_add_nc_u64_e32 v[26:27], v[14:15], v[16:17]
	s_wait_kmcnt 0x0
	v_add_nc_u64_e32 v[28:29], s[14:15], v[2:3]
	s_delay_alu instid0(VALU_DEP_3) | instskip(SKIP_1) | instid1(SALU_CYCLE_1)
	v_add_nc_u64_e32 v[24:25], s[14:15], v[8:9]
	s_sub_nc_u64 s[20:21], s[20:21], s[8:9]
	s_mul_u64 s[20:21], s[20:21], s[10:11]
	s_delay_alu instid0(SALU_CYCLE_1) | instskip(NEXT) | instid1(SALU_CYCLE_1)
	s_add_nc_u64 s[20:21], s[20:21], s[6:7]
	v_add_nc_u64_e32 v[20:21], s[20:21], v[0:1]
	s_and_saveexec_b32 s5, s22
	s_cbranch_execz .LBB244_11
; %bb.10:                               ;   in Loop: Header=BB244_9 Depth=1
	v_dual_cndmask_b32 v19, v25, v29 :: v_dual_cndmask_b32 v18, v24, v28
	v_ashrrev_i64 v[22:23], 29, v[26:27]
	global_load_b64 v[18:19], v[18:19], off
	v_add_nc_u64_e32 v[30:31], s[16:17], v[22:23]
	v_add_nc_u64_e32 v[22:23], s[12:13], v[22:23]
	global_store_b64 v[30:31], v[20:21], off
	s_wait_loadcnt 0x0
	global_store_b64 v[22:23], v[18:19], off
.LBB244_11:                             ;   in Loop: Header=BB244_9 Depth=1
	s_wait_xcnt 0x0
	s_or_b32 exec_lo, exec_lo, s5
	v_add_nc_u64_e32 v[18:19], s[20:21], v[10:11]
	v_add_nc_u64_e32 v[22:23], s[14:15], v[6:7]
	s_and_saveexec_b32 s5, s23
	s_cbranch_execz .LBB244_13
; %bb.12:                               ;   in Loop: Header=BB244_9 Depth=1
	v_add_nc_u64_e32 v[28:29], 0x100, v[28:29]
	v_add_nc_u32_e32 v27, 32, v27
	s_delay_alu instid0(VALU_DEP_1) | instskip(NEXT) | instid1(VALU_DEP_3)
	v_ashrrev_i64 v[26:27], 29, v[26:27]
	v_dual_cndmask_b32 v29, v23, v29 :: v_dual_cndmask_b32 v28, v22, v28
	global_load_b64 v[28:29], v[28:29], off
	v_add_nc_u64_e32 v[30:31], s[16:17], v[26:27]
	v_add_nc_u64_e32 v[26:27], s[12:13], v[26:27]
	global_store_b64 v[30:31], v[18:19], off
	s_wait_loadcnt 0x0
	global_store_b64 v[26:27], v[28:29], off
.LBB244_13:                             ;   in Loop: Header=BB244_9 Depth=1
	s_wait_xcnt 0x0
	s_or_b32 exec_lo, exec_lo, s5
	v_add_nc_u64_e32 v[26:27], v[12:13], v[16:17]
	v_add_nc_u64_e32 v[28:29], s[14:15], v[4:5]
	s_and_saveexec_b32 s5, s25
	s_cbranch_execz .LBB244_15
; %bb.14:                               ;   in Loop: Header=BB244_9 Depth=1
	v_add_nc_u64_e32 v[24:25], 0x100, v[24:25]
	s_delay_alu instid0(VALU_DEP_3) | instskip(NEXT) | instid1(VALU_DEP_2)
	v_ashrrev_i64 v[30:31], 29, v[26:27]
	v_dual_cndmask_b32 v25, v25, v29 :: v_dual_cndmask_b32 v24, v24, v28
	s_delay_alu instid0(VALU_DEP_2)
	v_add_nc_u64_e32 v[32:33], s[16:17], v[30:31]
	v_add_nc_u64_e32 v[30:31], s[12:13], v[30:31]
	global_load_b64 v[24:25], v[24:25], off
	global_store_b64 v[32:33], v[20:21], off
	s_wait_loadcnt 0x0
	global_store_b64 v[30:31], v[24:25], off
.LBB244_15:                             ;   in Loop: Header=BB244_9 Depth=1
	s_wait_xcnt 0x0
	s_or_b32 exec_lo, exec_lo, s5
	s_and_saveexec_b32 s5, s26
	s_cbranch_execz .LBB244_8
; %bb.16:                               ;   in Loop: Header=BB244_9 Depth=1
	v_dual_cndmask_b32 v21, v23, v29 :: v_dual_cndmask_b32 v20, v22, v28
	v_add_nc_u32_e32 v27, 32, v27
	global_load_b64 v[20:21], v[20:21], off offset:256
	v_ashrrev_i64 v[22:23], 29, v[26:27]
	s_delay_alu instid0(VALU_DEP_1)
	v_add_nc_u64_e32 v[24:25], s[16:17], v[22:23]
	v_add_nc_u64_e32 v[22:23], s[12:13], v[22:23]
	global_store_b64 v[24:25], v[18:19], off
	s_wait_loadcnt 0x0
	global_store_b64 v[22:23], v[20:21], off
	s_branch .LBB244_8
.LBB244_17:
	s_endpgm
	.section	.rodata,"a",@progbits
	.p2align	6, 0x0
	.amdhsa_kernel _ZN9rocsparseL35bsr2csr_block_per_row_33_256_kernelILj1024ELj64ELj32EdilEEv20rocsparse_direction_T4_S2_21rocsparse_index_base_PKT2_PKT3_PKS2_S2_S3_PS4_PS7_PS2_
		.amdhsa_group_segment_fixed_size 0
		.amdhsa_private_segment_fixed_size 0
		.amdhsa_kernarg_size 96
		.amdhsa_user_sgpr_count 2
		.amdhsa_user_sgpr_dispatch_ptr 0
		.amdhsa_user_sgpr_queue_ptr 0
		.amdhsa_user_sgpr_kernarg_segment_ptr 1
		.amdhsa_user_sgpr_dispatch_id 0
		.amdhsa_user_sgpr_kernarg_preload_length 0
		.amdhsa_user_sgpr_kernarg_preload_offset 0
		.amdhsa_user_sgpr_private_segment_size 0
		.amdhsa_wavefront_size32 1
		.amdhsa_uses_dynamic_stack 0
		.amdhsa_enable_private_segment 0
		.amdhsa_system_sgpr_workgroup_id_x 1
		.amdhsa_system_sgpr_workgroup_id_y 0
		.amdhsa_system_sgpr_workgroup_id_z 0
		.amdhsa_system_sgpr_workgroup_info 0
		.amdhsa_system_vgpr_workitem_id 0
		.amdhsa_next_free_vgpr 34
		.amdhsa_next_free_sgpr 28
		.amdhsa_named_barrier_count 0
		.amdhsa_reserve_vcc 1
		.amdhsa_float_round_mode_32 0
		.amdhsa_float_round_mode_16_64 0
		.amdhsa_float_denorm_mode_32 3
		.amdhsa_float_denorm_mode_16_64 3
		.amdhsa_fp16_overflow 0
		.amdhsa_memory_ordered 1
		.amdhsa_forward_progress 1
		.amdhsa_inst_pref_size 10
		.amdhsa_round_robin_scheduling 0
		.amdhsa_exception_fp_ieee_invalid_op 0
		.amdhsa_exception_fp_denorm_src 0
		.amdhsa_exception_fp_ieee_div_zero 0
		.amdhsa_exception_fp_ieee_overflow 0
		.amdhsa_exception_fp_ieee_underflow 0
		.amdhsa_exception_fp_ieee_inexact 0
		.amdhsa_exception_int_div_zero 0
	.end_amdhsa_kernel
	.section	.text._ZN9rocsparseL35bsr2csr_block_per_row_33_256_kernelILj1024ELj64ELj32EdilEEv20rocsparse_direction_T4_S2_21rocsparse_index_base_PKT2_PKT3_PKS2_S2_S3_PS4_PS7_PS2_,"axG",@progbits,_ZN9rocsparseL35bsr2csr_block_per_row_33_256_kernelILj1024ELj64ELj32EdilEEv20rocsparse_direction_T4_S2_21rocsparse_index_base_PKT2_PKT3_PKS2_S2_S3_PS4_PS7_PS2_,comdat
.Lfunc_end244:
	.size	_ZN9rocsparseL35bsr2csr_block_per_row_33_256_kernelILj1024ELj64ELj32EdilEEv20rocsparse_direction_T4_S2_21rocsparse_index_base_PKT2_PKT3_PKS2_S2_S3_PS4_PS7_PS2_, .Lfunc_end244-_ZN9rocsparseL35bsr2csr_block_per_row_33_256_kernelILj1024ELj64ELj32EdilEEv20rocsparse_direction_T4_S2_21rocsparse_index_base_PKT2_PKT3_PKS2_S2_S3_PS4_PS7_PS2_
                                        ; -- End function
	.set _ZN9rocsparseL35bsr2csr_block_per_row_33_256_kernelILj1024ELj64ELj32EdilEEv20rocsparse_direction_T4_S2_21rocsparse_index_base_PKT2_PKT3_PKS2_S2_S3_PS4_PS7_PS2_.num_vgpr, 34
	.set _ZN9rocsparseL35bsr2csr_block_per_row_33_256_kernelILj1024ELj64ELj32EdilEEv20rocsparse_direction_T4_S2_21rocsparse_index_base_PKT2_PKT3_PKS2_S2_S3_PS4_PS7_PS2_.num_agpr, 0
	.set _ZN9rocsparseL35bsr2csr_block_per_row_33_256_kernelILj1024ELj64ELj32EdilEEv20rocsparse_direction_T4_S2_21rocsparse_index_base_PKT2_PKT3_PKS2_S2_S3_PS4_PS7_PS2_.numbered_sgpr, 28
	.set _ZN9rocsparseL35bsr2csr_block_per_row_33_256_kernelILj1024ELj64ELj32EdilEEv20rocsparse_direction_T4_S2_21rocsparse_index_base_PKT2_PKT3_PKS2_S2_S3_PS4_PS7_PS2_.num_named_barrier, 0
	.set _ZN9rocsparseL35bsr2csr_block_per_row_33_256_kernelILj1024ELj64ELj32EdilEEv20rocsparse_direction_T4_S2_21rocsparse_index_base_PKT2_PKT3_PKS2_S2_S3_PS4_PS7_PS2_.private_seg_size, 0
	.set _ZN9rocsparseL35bsr2csr_block_per_row_33_256_kernelILj1024ELj64ELj32EdilEEv20rocsparse_direction_T4_S2_21rocsparse_index_base_PKT2_PKT3_PKS2_S2_S3_PS4_PS7_PS2_.uses_vcc, 1
	.set _ZN9rocsparseL35bsr2csr_block_per_row_33_256_kernelILj1024ELj64ELj32EdilEEv20rocsparse_direction_T4_S2_21rocsparse_index_base_PKT2_PKT3_PKS2_S2_S3_PS4_PS7_PS2_.uses_flat_scratch, 0
	.set _ZN9rocsparseL35bsr2csr_block_per_row_33_256_kernelILj1024ELj64ELj32EdilEEv20rocsparse_direction_T4_S2_21rocsparse_index_base_PKT2_PKT3_PKS2_S2_S3_PS4_PS7_PS2_.has_dyn_sized_stack, 0
	.set _ZN9rocsparseL35bsr2csr_block_per_row_33_256_kernelILj1024ELj64ELj32EdilEEv20rocsparse_direction_T4_S2_21rocsparse_index_base_PKT2_PKT3_PKS2_S2_S3_PS4_PS7_PS2_.has_recursion, 0
	.set _ZN9rocsparseL35bsr2csr_block_per_row_33_256_kernelILj1024ELj64ELj32EdilEEv20rocsparse_direction_T4_S2_21rocsparse_index_base_PKT2_PKT3_PKS2_S2_S3_PS4_PS7_PS2_.has_indirect_call, 0
	.section	.AMDGPU.csdata,"",@progbits
; Kernel info:
; codeLenInByte = 1156
; TotalNumSgprs: 30
; NumVgprs: 34
; ScratchSize: 0
; MemoryBound: 0
; FloatMode: 240
; IeeeMode: 1
; LDSByteSize: 0 bytes/workgroup (compile time only)
; SGPRBlocks: 0
; VGPRBlocks: 2
; NumSGPRsForWavesPerEU: 30
; NumVGPRsForWavesPerEU: 34
; NamedBarCnt: 0
; Occupancy: 16
; WaveLimiterHint : 1
; COMPUTE_PGM_RSRC2:SCRATCH_EN: 0
; COMPUTE_PGM_RSRC2:USER_SGPR: 2
; COMPUTE_PGM_RSRC2:TRAP_HANDLER: 0
; COMPUTE_PGM_RSRC2:TGID_X_EN: 1
; COMPUTE_PGM_RSRC2:TGID_Y_EN: 0
; COMPUTE_PGM_RSRC2:TGID_Z_EN: 0
; COMPUTE_PGM_RSRC2:TIDIG_COMP_CNT: 0
	.section	.text._ZN9rocsparseL35bsr2csr_block_per_row_33_256_kernelILj1024ELj128ELj32EdilEEv20rocsparse_direction_T4_S2_21rocsparse_index_base_PKT2_PKT3_PKS2_S2_S3_PS4_PS7_PS2_,"axG",@progbits,_ZN9rocsparseL35bsr2csr_block_per_row_33_256_kernelILj1024ELj128ELj32EdilEEv20rocsparse_direction_T4_S2_21rocsparse_index_base_PKT2_PKT3_PKS2_S2_S3_PS4_PS7_PS2_,comdat
	.globl	_ZN9rocsparseL35bsr2csr_block_per_row_33_256_kernelILj1024ELj128ELj32EdilEEv20rocsparse_direction_T4_S2_21rocsparse_index_base_PKT2_PKT3_PKS2_S2_S3_PS4_PS7_PS2_ ; -- Begin function _ZN9rocsparseL35bsr2csr_block_per_row_33_256_kernelILj1024ELj128ELj32EdilEEv20rocsparse_direction_T4_S2_21rocsparse_index_base_PKT2_PKT3_PKS2_S2_S3_PS4_PS7_PS2_
	.p2align	8
	.type	_ZN9rocsparseL35bsr2csr_block_per_row_33_256_kernelILj1024ELj128ELj32EdilEEv20rocsparse_direction_T4_S2_21rocsparse_index_base_PKT2_PKT3_PKS2_S2_S3_PS4_PS7_PS2_,@function
_ZN9rocsparseL35bsr2csr_block_per_row_33_256_kernelILj1024ELj128ELj32EdilEEv20rocsparse_direction_T4_S2_21rocsparse_index_base_PKT2_PKT3_PKS2_S2_S3_PS4_PS7_PS2_: ; @_ZN9rocsparseL35bsr2csr_block_per_row_33_256_kernelILj1024ELj128ELj32EdilEEv20rocsparse_direction_T4_S2_21rocsparse_index_base_PKT2_PKT3_PKS2_S2_S3_PS4_PS7_PS2_
; %bb.0:
	s_load_b64 s[6:7], s[0:1], 0x28
	s_bfe_u32 s2, ttmp6, 0x4000c
	s_and_b32 s3, ttmp6, 15
	s_add_co_i32 s2, s2, 1
	s_getreg_b32 s4, hwreg(HW_REG_IB_STS2, 6, 4)
	s_mul_i32 s2, ttmp9, s2
	s_mov_b32 s9, 0
	s_add_co_i32 s3, s3, s2
	s_cmp_eq_u32 s4, 0
	s_clause 0x1
	s_load_b32 s10, s[0:1], 0x40
	s_load_b64 s[4:5], s[0:1], 0x50
	s_cselect_b32 s2, ttmp9, s3
	s_mov_b32 s3, s9
	v_or_b32_e32 v1, s2, v0
	s_lshl_b64 s[12:13], s[2:3], 2
	s_mov_b32 s8, exec_lo
	s_wait_kmcnt 0x0
	s_add_nc_u64 s[12:13], s[6:7], s[12:13]
	s_load_b64 s[6:7], s[12:13], 0x0
	v_cmpx_eq_u32_e32 0, v1
	s_cbranch_execz .LBB245_2
; %bb.1:
	v_dual_mov_b32 v1, 0 :: v_dual_mov_b32 v2, s10
	global_store_b32 v1, v2, s[4:5]
.LBB245_2:
	s_wait_xcnt 0x0
	s_or_b32 exec_lo, exec_lo, s8
	s_clause 0x1
	s_load_b32 s12, s[0:1], 0x18
	s_load_b64 s[14:15], s[0:1], 0x38
	v_dual_mov_b32 v11, 0 :: v_dual_lshrrev_b32 v10, 5, v0
	s_mov_b32 s25, s9
	s_wait_kmcnt 0x0
	s_sub_co_i32 s8, s6, s12
	s_sub_co_i32 s28, s7, s12
	s_mul_u64 s[20:21], s[14:15], s[2:3]
	v_cmp_gt_i64_e64 s3, s[14:15], v[10:11]
	s_sub_co_i32 s24, s28, s8
	s_mul_u64 s[22:23], s[14:15], s[14:15]
	s_mul_u64 s[18:19], s[14:15], s[24:25]
	s_lshl_b64 s[20:21], s[20:21], 2
	s_mul_u64 s[16:17], s[22:23], s[8:9]
	s_add_co_i32 s9, s10, s18
	s_add_nc_u64 s[20:21], s[4:5], s[20:21]
	s_and_saveexec_b32 s2, s3
	s_cbranch_execz .LBB245_4
; %bb.3:
	s_add_co_i32 s4, s9, s16
	s_delay_alu instid0(SALU_CYCLE_1)
	v_mad_u32 v1, v10, s18, s4
	global_store_b32 v10, v1, s[20:21] offset:4 scale_offset
.LBB245_4:
	s_wait_xcnt 0x0
	s_or_b32 exec_lo, exec_lo, s2
	v_dual_mov_b32 v29, v11 :: v_dual_bitop2_b32 v28, 32, v10 bitop3:0x54
	s_delay_alu instid0(VALU_DEP_1)
	v_cmp_gt_i64_e64 s4, s[14:15], v[28:29]
	s_and_saveexec_b32 s2, s4
	s_cbranch_execz .LBB245_6
; %bb.5:
	s_add_co_i32 s5, s9, s16
	s_delay_alu instid0(SALU_CYCLE_1)
	v_mad_u32 v1, v28, s18, s5
	global_store_b32 v10, v1, s[20:21] offset:132 scale_offset
.LBB245_6:
	s_wait_xcnt 0x0
	s_or_b32 exec_lo, exec_lo, s2
	v_dual_mov_b32 v31, v11 :: v_dual_bitop2_b32 v30, 64, v10 bitop3:0x54
	s_delay_alu instid0(VALU_DEP_1)
	v_cmp_gt_i64_e64 s5, s[14:15], v[30:31]
	s_and_saveexec_b32 s2, s5
	s_cbranch_execz .LBB245_8
; %bb.7:
	s_add_co_i32 s11, s9, s16
	s_delay_alu instid0(SALU_CYCLE_1)
	v_mad_u32 v1, v30, s18, s11
	global_store_b32 v10, v1, s[20:21] offset:260 scale_offset
.LBB245_8:
	s_wait_xcnt 0x0
	s_or_b32 exec_lo, exec_lo, s2
	v_or_b32_e32 v8, 0x60, v10
	v_mov_b32_e32 v9, v11
	s_delay_alu instid0(VALU_DEP_1)
	v_cmp_gt_i64_e64 s2, s[14:15], v[8:9]
	s_and_saveexec_b32 s11, s2
	s_cbranch_execz .LBB245_10
; %bb.9:
	s_add_co_i32 s9, s9, s16
	s_delay_alu instid0(SALU_CYCLE_1)
	v_mad_u32 v1, v8, s18, s9
	global_store_b32 v10, v1, s[20:21] offset:388 scale_offset
.LBB245_10:
	s_wait_xcnt 0x0
	s_or_b32 exec_lo, exec_lo, s11
	s_cmp_lt_i32 s6, s7
	s_cbranch_scc0 .LBB245_45
; %bb.11:
	s_clause 0x2
	s_load_b64 s[26:27], s[0:1], 0x30
	s_load_b64 s[16:17], s[0:1], 0x48
	s_load_b32 s9, s[0:1], 0x0
	v_dual_mov_b32 v1, 0 :: v_dual_bitop2_b32 v0, 31, v0 bitop3:0x40
	s_clause 0x1
	s_load_b64 s[18:19], s[0:1], 0x20
	s_load_b64 s[20:21], s[0:1], 0x58
	s_mov_b32 s13, 0
	v_dual_lshlrev_b32 v26, 3, v10 :: v_dual_bitop2_b32 v2, 32, v0 bitop3:0x54
	v_dual_mov_b32 v3, v1 :: v_dual_bitop2_b32 v4, 64, v0 bitop3:0x54
	v_mov_b32_e32 v5, v1
	v_or_b32_e32 v6, 0x60, v0
	v_mov_b32_e32 v7, v1
	s_wait_xcnt 0x0
	v_cmp_gt_i64_e64 s0, s[14:15], v[0:1]
	v_cmp_gt_i64_e64 s1, s[14:15], v[2:3]
	;; [unrolled: 1-line block ×3, first 2 shown]
	v_dual_mov_b32 v27, v1 :: v_dual_lshlrev_b32 v18, 3, v0
	v_cmp_gt_i64_e64 s7, s[14:15], v[6:7]
	v_dual_mov_b32 v19, v1 :: v_dual_mov_b32 v9, v0
	s_wait_kmcnt 0x0
	s_cmp_eq_u32 s9, 0
	v_mov_b32_e32 v32, v1
	s_cselect_b32 vcc_lo, -1, 0
	s_ashr_i32 s9, s8, 31
	s_and_b32 s33, s4, s0
	s_and_b32 s34, s4, s1
	;; [unrolled: 1-line block ×8, first 2 shown]
	s_mul_u64 s[4:5], s[14:15], s[8:9]
	s_and_b32 s25, s3, s0
	s_and_b32 s41, s2, s0
	s_mul_i32 s0, s14, s8
	s_lshl_b64 s[4:5], s[4:5], 3
	v_mad_u32 v11, v8, s24, s0
	v_add_nc_u64_e32 v[34:35], s[4:5], v[26:27]
	v_mov_b32_e32 v8, v1
	v_add_nc_u64_e32 v[36:37], s[4:5], v[18:19]
	v_mad_u32 v29, v30, s24, s0
	v_mad_u32 v28, v28, s24, s0
	;; [unrolled: 1-line block ×3, first 2 shown]
	v_mov_b32_e32 v30, v1
	v_add_nc_u64_e32 v[38:39], 0x300, v[34:35]
	v_add_nc_u64_e32 v[40:41], 0x200, v[34:35]
	v_add_nc_u64_e32 v[42:43], 0x100, v[34:35]
	v_add_nc_u64_e32 v[44:45], 0x300, v[36:37]
	v_add_nc_u64_e32 v[46:47], 0x200, v[36:37]
	v_add_nc_u64_e32 v[48:49], 0x100, v[36:37]
	v_mad_u32 v11, s14, v11, 0x60
	v_mad_nc_u64_u32 v[12:13], s14, v38, v[18:19]
	v_mad_nc_u64_u32 v[14:15], s14, v40, v[18:19]
	;; [unrolled: 1-line block ×8, first 2 shown]
	v_mul_lo_u32 v29, s14, v29
	v_mul_lo_u32 v31, s14, v28
	;; [unrolled: 1-line block ×3, first 2 shown]
	v_mad_u32 v13, s15, v38, v13
	v_mad_u32 v15, s15, v40, v15
	;; [unrolled: 1-line block ×8, first 2 shown]
	v_dual_mov_b32 v10, v1 :: v_dual_mov_b32 v28, v1
	s_and_b32 s29, s3, s1
	v_mad_u32 v13, s14, v39, v13
	v_mad_u32 v15, s14, v41, v15
	;; [unrolled: 1-line block ×8, first 2 shown]
	s_and_b32 s30, s3, s6
	s_and_b32 s31, s3, s7
	;; [unrolled: 1-line block ×5, first 2 shown]
	s_lshl_b64 s[2:3], s[8:9], 3
	s_mov_b32 s11, s13
	s_mov_b32 s0, s13
	;; [unrolled: 1-line block ×3, first 2 shown]
	s_add_nc_u64 s[2:3], s[26:27], s[2:3]
	s_lshl_b64 s[4:5], s[22:23], 3
	s_branch .LBB245_13
.LBB245_12:                             ;   in Loop: Header=BB245_13 Depth=1
	s_wait_xcnt 0x0
	s_or_b32 exec_lo, exec_lo, s6
	v_add_nc_u64_e32 v[10:11], s[0:1], v[10:11]
	v_add_nc_u64_e32 v[28:29], s[0:1], v[28:29]
	;; [unrolled: 1-line block ×4, first 2 shown]
	s_add_co_i32 s8, s8, 1
	s_add_nc_u64 s[2:3], s[2:3], 8
	s_cmp_ge_i32 s8, s28
	s_add_nc_u64 s[18:19], s[18:19], s[4:5]
	s_cbranch_scc1 .LBB245_45
.LBB245_13:                             ; =>This Inner Loop Header: Depth=1
	s_load_b64 s[6:7], s[2:3], 0x0
	v_add_nc_u64_e32 v[50:51], v[8:9], v[32:33]
	v_add_nc_u64_e32 v[52:53], s[18:19], v[18:19]
	v_add_nc_u64_e32 v[48:49], s[18:19], v[26:27]
	s_wait_kmcnt 0x0
	s_sub_nc_u64 s[6:7], s[6:7], s[12:13]
	s_delay_alu instid0(SALU_CYCLE_1) | instskip(NEXT) | instid1(SALU_CYCLE_1)
	s_mul_u64 s[6:7], s[6:7], s[14:15]
	s_add_nc_u64 s[6:7], s[6:7], s[10:11]
	s_delay_alu instid0(SALU_CYCLE_1)
	v_add_nc_u64_e32 v[38:39], s[6:7], v[0:1]
	s_and_saveexec_b32 s9, s25
	s_cbranch_execz .LBB245_15
; %bb.14:                               ;   in Loop: Header=BB245_13 Depth=1
	v_dual_cndmask_b32 v35, v49, v53 :: v_dual_cndmask_b32 v34, v48, v52
	v_ashrrev_i64 v[36:37], 29, v[50:51]
	global_load_b64 v[34:35], v[34:35], off
	v_add_nc_u64_e32 v[40:41], s[20:21], v[36:37]
	v_add_nc_u64_e32 v[36:37], s[16:17], v[36:37]
	global_store_b64 v[40:41], v[38:39], off
	s_wait_loadcnt 0x0
	global_store_b64 v[36:37], v[34:35], off
.LBB245_15:                             ;   in Loop: Header=BB245_13 Depth=1
	s_wait_xcnt 0x0
	s_or_b32 exec_lo, exec_lo, s9
	v_add_nc_u64_e32 v[34:35], s[6:7], v[2:3]
	v_add_nc_u64_e32 v[42:43], s[18:19], v[24:25]
	s_and_saveexec_b32 s9, s29
	s_cbranch_execz .LBB245_17
; %bb.16:                               ;   in Loop: Header=BB245_13 Depth=1
	v_add_nc_u64_e32 v[36:37], 0x100, v[52:53]
	v_dual_mov_b32 v40, v50 :: v_dual_add_nc_u32 v41, 32, v51
	s_delay_alu instid0(VALU_DEP_1) | instskip(NEXT) | instid1(VALU_DEP_3)
	v_ashrrev_i64 v[40:41], 29, v[40:41]
	v_dual_cndmask_b32 v37, v43, v37 :: v_dual_cndmask_b32 v36, v42, v36
	global_load_b64 v[36:37], v[36:37], off
	v_add_nc_u64_e32 v[44:45], s[20:21], v[40:41]
	v_add_nc_u64_e32 v[40:41], s[16:17], v[40:41]
	global_store_b64 v[44:45], v[34:35], off
	s_wait_loadcnt 0x0
	global_store_b64 v[40:41], v[36:37], off
.LBB245_17:                             ;   in Loop: Header=BB245_13 Depth=1
	s_wait_xcnt 0x0
	s_or_b32 exec_lo, exec_lo, s9
	v_add_nc_u64_e32 v[36:37], s[6:7], v[4:5]
	v_add_nc_u64_e32 v[44:45], s[18:19], v[22:23]
	s_and_saveexec_b32 s9, s30
	s_cbranch_execz .LBB245_19
; %bb.18:                               ;   in Loop: Header=BB245_13 Depth=1
	v_add_nc_u64_e32 v[40:41], 0x200, v[52:53]
	v_dual_mov_b32 v46, v50 :: v_dual_add_nc_u32 v47, 64, v51
	s_delay_alu instid0(VALU_DEP_1) | instskip(NEXT) | instid1(VALU_DEP_3)
	v_ashrrev_i64 v[46:47], 29, v[46:47]
	v_dual_cndmask_b32 v41, v45, v41 :: v_dual_cndmask_b32 v40, v44, v40
	global_load_b64 v[40:41], v[40:41], off
	v_add_nc_u64_e32 v[54:55], s[20:21], v[46:47]
	v_add_nc_u64_e32 v[46:47], s[16:17], v[46:47]
	global_store_b64 v[54:55], v[36:37], off
	s_wait_loadcnt 0x0
	global_store_b64 v[46:47], v[40:41], off
.LBB245_19:                             ;   in Loop: Header=BB245_13 Depth=1
	s_wait_xcnt 0x0
	s_or_b32 exec_lo, exec_lo, s9
	v_add_nc_u64_e32 v[40:41], s[6:7], v[6:7]
	v_add_nc_u64_e32 v[46:47], s[18:19], v[20:21]
	s_and_saveexec_b32 s6, s31
	s_cbranch_execz .LBB245_21
; %bb.20:                               ;   in Loop: Header=BB245_13 Depth=1
	v_add_nc_u64_e32 v[52:53], 0x300, v[52:53]
	v_add_nc_u32_e32 v51, 0x60, v51
	s_delay_alu instid0(VALU_DEP_1) | instskip(NEXT) | instid1(VALU_DEP_3)
	v_ashrrev_i64 v[50:51], 29, v[50:51]
	v_dual_cndmask_b32 v53, v47, v53 :: v_dual_cndmask_b32 v52, v46, v52
	global_load_b64 v[52:53], v[52:53], off
	v_add_nc_u64_e32 v[54:55], s[20:21], v[50:51]
	v_add_nc_u64_e32 v[50:51], s[16:17], v[50:51]
	global_store_b64 v[54:55], v[40:41], off
	s_wait_loadcnt 0x0
	global_store_b64 v[50:51], v[52:53], off
.LBB245_21:                             ;   in Loop: Header=BB245_13 Depth=1
	s_wait_xcnt 0x0
	s_or_b32 exec_lo, exec_lo, s6
	v_add_nc_u64_e32 v[50:51], v[8:9], v[30:31]
	v_add_nc_u64_e32 v[52:53], s[18:19], v[16:17]
	s_and_saveexec_b32 s6, s33
	s_cbranch_execnz .LBB245_35
; %bb.22:                               ;   in Loop: Header=BB245_13 Depth=1
	s_or_b32 exec_lo, exec_lo, s6
	s_and_saveexec_b32 s6, s34
	s_cbranch_execnz .LBB245_36
.LBB245_23:                             ;   in Loop: Header=BB245_13 Depth=1
	s_or_b32 exec_lo, exec_lo, s6
	s_and_saveexec_b32 s6, s35
	s_cbranch_execnz .LBB245_37
.LBB245_24:                             ;   in Loop: Header=BB245_13 Depth=1
	s_or_b32 exec_lo, exec_lo, s6
	s_and_saveexec_b32 s6, s36
	s_cbranch_execz .LBB245_26
.LBB245_25:                             ;   in Loop: Header=BB245_13 Depth=1
	v_add_nc_u64_e32 v[52:53], 0x300, v[52:53]
	v_add_nc_u64_e32 v[54:55], 0x100, v[46:47]
	v_add_nc_u32_e32 v51, 0x60, v51
	s_delay_alu instid0(VALU_DEP_1) | instskip(NEXT) | instid1(VALU_DEP_3)
	v_ashrrev_i64 v[50:51], 29, v[50:51]
	v_dual_cndmask_b32 v53, v55, v53 :: v_dual_cndmask_b32 v52, v54, v52
	global_load_b64 v[52:53], v[52:53], off
	v_add_nc_u64_e32 v[54:55], s[20:21], v[50:51]
	v_add_nc_u64_e32 v[50:51], s[16:17], v[50:51]
	global_store_b64 v[54:55], v[40:41], off
	s_wait_loadcnt 0x0
	global_store_b64 v[50:51], v[52:53], off
.LBB245_26:                             ;   in Loop: Header=BB245_13 Depth=1
	s_wait_xcnt 0x0
	s_or_b32 exec_lo, exec_lo, s6
	v_add_nc_u64_e32 v[50:51], v[8:9], v[28:29]
	v_add_nc_u64_e32 v[52:53], s[18:19], v[14:15]
	s_and_saveexec_b32 s6, s37
	s_cbranch_execnz .LBB245_38
; %bb.27:                               ;   in Loop: Header=BB245_13 Depth=1
	s_or_b32 exec_lo, exec_lo, s6
	s_and_saveexec_b32 s6, s38
	s_cbranch_execnz .LBB245_39
.LBB245_28:                             ;   in Loop: Header=BB245_13 Depth=1
	s_or_b32 exec_lo, exec_lo, s6
	s_and_saveexec_b32 s6, s39
	s_cbranch_execnz .LBB245_40
.LBB245_29:                             ;   in Loop: Header=BB245_13 Depth=1
	s_or_b32 exec_lo, exec_lo, s6
	s_and_saveexec_b32 s6, s40
	s_cbranch_execz .LBB245_31
.LBB245_30:                             ;   in Loop: Header=BB245_13 Depth=1
	v_add_nc_u64_e32 v[52:53], 0x300, v[52:53]
	v_add_nc_u64_e32 v[54:55], 0x200, v[46:47]
	v_add_nc_u32_e32 v51, 0x60, v51
	s_delay_alu instid0(VALU_DEP_1) | instskip(NEXT) | instid1(VALU_DEP_3)
	v_ashrrev_i64 v[50:51], 29, v[50:51]
	v_dual_cndmask_b32 v53, v55, v53 :: v_dual_cndmask_b32 v52, v54, v52
	global_load_b64 v[52:53], v[52:53], off
	v_add_nc_u64_e32 v[54:55], s[20:21], v[50:51]
	v_add_nc_u64_e32 v[50:51], s[16:17], v[50:51]
	global_store_b64 v[54:55], v[40:41], off
	s_wait_loadcnt 0x0
	global_store_b64 v[50:51], v[52:53], off
.LBB245_31:                             ;   in Loop: Header=BB245_13 Depth=1
	s_wait_xcnt 0x0
	s_or_b32 exec_lo, exec_lo, s6
	v_add_nc_u64_e32 v[50:51], v[8:9], v[10:11]
	v_add_nc_u64_e32 v[52:53], s[18:19], v[12:13]
	s_and_saveexec_b32 s6, s41
	s_cbranch_execnz .LBB245_41
; %bb.32:                               ;   in Loop: Header=BB245_13 Depth=1
	s_or_b32 exec_lo, exec_lo, s6
	s_and_saveexec_b32 s6, s42
	s_cbranch_execnz .LBB245_42
.LBB245_33:                             ;   in Loop: Header=BB245_13 Depth=1
	s_or_b32 exec_lo, exec_lo, s6
	s_and_saveexec_b32 s6, s43
	s_cbranch_execnz .LBB245_43
.LBB245_34:                             ;   in Loop: Header=BB245_13 Depth=1
	s_or_b32 exec_lo, exec_lo, s6
	s_and_saveexec_b32 s6, s44
	s_cbranch_execz .LBB245_12
	s_branch .LBB245_44
.LBB245_35:                             ;   in Loop: Header=BB245_13 Depth=1
	v_add_nc_u64_e32 v[54:55], 0x100, v[48:49]
	s_delay_alu instid0(VALU_DEP_3) | instskip(NEXT) | instid1(VALU_DEP_2)
	v_ashrrev_i64 v[56:57], 29, v[50:51]
	v_dual_cndmask_b32 v55, v55, v53 :: v_dual_cndmask_b32 v54, v54, v52
	s_delay_alu instid0(VALU_DEP_2)
	v_add_nc_u64_e32 v[58:59], s[20:21], v[56:57]
	v_add_nc_u64_e32 v[56:57], s[16:17], v[56:57]
	global_load_b64 v[54:55], v[54:55], off
	global_store_b64 v[58:59], v[38:39], off
	s_wait_loadcnt 0x0
	global_store_b64 v[56:57], v[54:55], off
	s_wait_xcnt 0x0
	s_or_b32 exec_lo, exec_lo, s6
	s_and_saveexec_b32 s6, s34
	s_cbranch_execz .LBB245_23
.LBB245_36:                             ;   in Loop: Header=BB245_13 Depth=1
	s_delay_alu instid0(VALU_DEP_1) | instskip(SKIP_3) | instid1(VALU_DEP_1)
	v_dual_cndmask_b32 v55, v43, v53 :: v_dual_cndmask_b32 v54, v42, v52
	v_dual_mov_b32 v56, v50 :: v_dual_add_nc_u32 v57, 32, v51
	global_load_b64 v[54:55], v[54:55], off offset:256
	v_ashrrev_i64 v[56:57], 29, v[56:57]
	v_add_nc_u64_e32 v[58:59], s[20:21], v[56:57]
	v_add_nc_u64_e32 v[56:57], s[16:17], v[56:57]
	global_store_b64 v[58:59], v[34:35], off
	s_wait_loadcnt 0x0
	global_store_b64 v[56:57], v[54:55], off
	s_wait_xcnt 0x0
	s_or_b32 exec_lo, exec_lo, s6
	s_and_saveexec_b32 s6, s35
	s_cbranch_execz .LBB245_24
.LBB245_37:                             ;   in Loop: Header=BB245_13 Depth=1
	v_add_nc_u64_e32 v[54:55], 0x200, v[52:53]
	v_add_nc_u64_e32 v[56:57], 0x100, v[44:45]
	s_delay_alu instid0(VALU_DEP_1) | instskip(SKIP_3) | instid1(VALU_DEP_1)
	v_dual_cndmask_b32 v55, v57, v55 :: v_dual_cndmask_b32 v54, v56, v54
	v_dual_mov_b32 v56, v50 :: v_dual_add_nc_u32 v57, 64, v51
	global_load_b64 v[54:55], v[54:55], off
	v_ashrrev_i64 v[56:57], 29, v[56:57]
	v_add_nc_u64_e32 v[58:59], s[20:21], v[56:57]
	v_add_nc_u64_e32 v[56:57], s[16:17], v[56:57]
	global_store_b64 v[58:59], v[36:37], off
	s_wait_loadcnt 0x0
	global_store_b64 v[56:57], v[54:55], off
	s_wait_xcnt 0x0
	s_or_b32 exec_lo, exec_lo, s6
	s_and_saveexec_b32 s6, s36
	s_cbranch_execnz .LBB245_25
	s_branch .LBB245_26
.LBB245_38:                             ;   in Loop: Header=BB245_13 Depth=1
	v_add_nc_u64_e32 v[54:55], 0x200, v[48:49]
	s_delay_alu instid0(VALU_DEP_3) | instskip(NEXT) | instid1(VALU_DEP_2)
	v_ashrrev_i64 v[56:57], 29, v[50:51]
	v_dual_cndmask_b32 v55, v55, v53 :: v_dual_cndmask_b32 v54, v54, v52
	s_delay_alu instid0(VALU_DEP_2)
	v_add_nc_u64_e32 v[58:59], s[20:21], v[56:57]
	v_add_nc_u64_e32 v[56:57], s[16:17], v[56:57]
	global_load_b64 v[54:55], v[54:55], off
	global_store_b64 v[58:59], v[38:39], off
	s_wait_loadcnt 0x0
	global_store_b64 v[56:57], v[54:55], off
	s_wait_xcnt 0x0
	s_or_b32 exec_lo, exec_lo, s6
	s_and_saveexec_b32 s6, s38
	s_cbranch_execz .LBB245_28
.LBB245_39:                             ;   in Loop: Header=BB245_13 Depth=1
	s_delay_alu instid0(VALU_DEP_1) | instskip(SKIP_1) | instid1(VALU_DEP_1)
	v_add_nc_u64_e32 v[54:55], 0x100, v[52:53]
	v_add_nc_u64_e32 v[56:57], 0x200, v[42:43]
	v_dual_cndmask_b32 v55, v57, v55 :: v_dual_cndmask_b32 v54, v56, v54
	v_dual_mov_b32 v56, v50 :: v_dual_add_nc_u32 v57, 32, v51
	global_load_b64 v[54:55], v[54:55], off
	v_ashrrev_i64 v[56:57], 29, v[56:57]
	s_delay_alu instid0(VALU_DEP_1)
	v_add_nc_u64_e32 v[58:59], s[20:21], v[56:57]
	v_add_nc_u64_e32 v[56:57], s[16:17], v[56:57]
	global_store_b64 v[58:59], v[34:35], off
	s_wait_loadcnt 0x0
	global_store_b64 v[56:57], v[54:55], off
	s_wait_xcnt 0x0
	s_or_b32 exec_lo, exec_lo, s6
	s_and_saveexec_b32 s6, s39
	s_cbranch_execz .LBB245_29
.LBB245_40:                             ;   in Loop: Header=BB245_13 Depth=1
	v_dual_cndmask_b32 v55, v45, v53 :: v_dual_cndmask_b32 v54, v44, v52
	v_dual_mov_b32 v56, v50 :: v_dual_add_nc_u32 v57, 64, v51
	global_load_b64 v[54:55], v[54:55], off offset:512
	v_ashrrev_i64 v[56:57], 29, v[56:57]
	s_delay_alu instid0(VALU_DEP_1)
	v_add_nc_u64_e32 v[58:59], s[20:21], v[56:57]
	v_add_nc_u64_e32 v[56:57], s[16:17], v[56:57]
	global_store_b64 v[58:59], v[36:37], off
	s_wait_loadcnt 0x0
	global_store_b64 v[56:57], v[54:55], off
	s_wait_xcnt 0x0
	s_or_b32 exec_lo, exec_lo, s6
	s_and_saveexec_b32 s6, s40
	s_cbranch_execnz .LBB245_30
	s_branch .LBB245_31
.LBB245_41:                             ;   in Loop: Header=BB245_13 Depth=1
	v_add_nc_u64_e32 v[48:49], 0x300, v[48:49]
	s_delay_alu instid0(VALU_DEP_3) | instskip(NEXT) | instid1(VALU_DEP_1)
	v_dual_mov_b32 v54, v50 :: v_dual_add_nc_u32 v55, 0xffffffa0, v51
	v_ashrrev_i64 v[54:55], 29, v[54:55]
	s_delay_alu instid0(VALU_DEP_3)
	v_dual_cndmask_b32 v49, v49, v53 :: v_dual_cndmask_b32 v48, v48, v52
	global_load_b64 v[48:49], v[48:49], off
	v_add_nc_u64_e32 v[56:57], s[20:21], v[54:55]
	v_add_nc_u64_e32 v[54:55], s[16:17], v[54:55]
	global_store_b64 v[56:57], v[38:39], off
	s_wait_loadcnt 0x0
	global_store_b64 v[54:55], v[48:49], off
	s_wait_xcnt 0x0
	s_or_b32 exec_lo, exec_lo, s6
	s_and_saveexec_b32 s6, s42
	s_cbranch_execz .LBB245_33
.LBB245_42:                             ;   in Loop: Header=BB245_13 Depth=1
	s_delay_alu instid0(VALU_DEP_1) | instskip(SKIP_1) | instid1(VALU_DEP_1)
	v_add_nc_u64_e32 v[38:39], 0x100, v[52:53]
	v_add_nc_u64_e32 v[42:43], 0x300, v[42:43]
	v_dual_cndmask_b32 v39, v43, v39 :: v_dual_cndmask_b32 v38, v42, v38
	v_subrev_nc_u32_e32 v43, 64, v51
	v_mov_b32_e32 v42, v50
	global_load_b64 v[38:39], v[38:39], off
	v_ashrrev_i64 v[42:43], 29, v[42:43]
	s_delay_alu instid0(VALU_DEP_1)
	v_add_nc_u64_e32 v[48:49], s[20:21], v[42:43]
	v_add_nc_u64_e32 v[42:43], s[16:17], v[42:43]
	global_store_b64 v[48:49], v[34:35], off
	s_wait_loadcnt 0x0
	global_store_b64 v[42:43], v[38:39], off
	s_wait_xcnt 0x0
	s_or_b32 exec_lo, exec_lo, s6
	s_and_saveexec_b32 s6, s43
	s_cbranch_execz .LBB245_34
.LBB245_43:                             ;   in Loop: Header=BB245_13 Depth=1
	v_add_nc_u64_e32 v[34:35], 0x200, v[52:53]
	v_add_nc_u64_e32 v[38:39], 0x300, v[44:45]
	s_delay_alu instid0(VALU_DEP_1) | instskip(SKIP_4) | instid1(VALU_DEP_1)
	v_dual_cndmask_b32 v35, v39, v35 :: v_dual_cndmask_b32 v34, v38, v34
	v_subrev_nc_u32_e32 v39, 32, v51
	v_mov_b32_e32 v38, v50
	global_load_b64 v[34:35], v[34:35], off
	v_ashrrev_i64 v[38:39], 29, v[38:39]
	v_add_nc_u64_e32 v[42:43], s[20:21], v[38:39]
	v_add_nc_u64_e32 v[38:39], s[16:17], v[38:39]
	global_store_b64 v[42:43], v[36:37], off
	s_wait_loadcnt 0x0
	global_store_b64 v[38:39], v[34:35], off
	s_wait_xcnt 0x0
	s_or_b32 exec_lo, exec_lo, s6
	s_and_saveexec_b32 s6, s44
	s_cbranch_execz .LBB245_12
.LBB245_44:                             ;   in Loop: Header=BB245_13 Depth=1
	v_dual_cndmask_b32 v35, v47, v53 :: v_dual_cndmask_b32 v34, v46, v52
	v_ashrrev_i64 v[36:37], 29, v[50:51]
	global_load_b64 v[34:35], v[34:35], off offset:768
	v_add_nc_u64_e32 v[38:39], s[20:21], v[36:37]
	v_add_nc_u64_e32 v[36:37], s[16:17], v[36:37]
	global_store_b64 v[38:39], v[40:41], off
	s_wait_loadcnt 0x0
	global_store_b64 v[36:37], v[34:35], off
	s_branch .LBB245_12
.LBB245_45:
	s_endpgm
	.section	.rodata,"a",@progbits
	.p2align	6, 0x0
	.amdhsa_kernel _ZN9rocsparseL35bsr2csr_block_per_row_33_256_kernelILj1024ELj128ELj32EdilEEv20rocsparse_direction_T4_S2_21rocsparse_index_base_PKT2_PKT3_PKS2_S2_S3_PS4_PS7_PS2_
		.amdhsa_group_segment_fixed_size 0
		.amdhsa_private_segment_fixed_size 0
		.amdhsa_kernarg_size 96
		.amdhsa_user_sgpr_count 2
		.amdhsa_user_sgpr_dispatch_ptr 0
		.amdhsa_user_sgpr_queue_ptr 0
		.amdhsa_user_sgpr_kernarg_segment_ptr 1
		.amdhsa_user_sgpr_dispatch_id 0
		.amdhsa_user_sgpr_kernarg_preload_length 0
		.amdhsa_user_sgpr_kernarg_preload_offset 0
		.amdhsa_user_sgpr_private_segment_size 0
		.amdhsa_wavefront_size32 1
		.amdhsa_uses_dynamic_stack 0
		.amdhsa_enable_private_segment 0
		.amdhsa_system_sgpr_workgroup_id_x 1
		.amdhsa_system_sgpr_workgroup_id_y 0
		.amdhsa_system_sgpr_workgroup_id_z 0
		.amdhsa_system_sgpr_workgroup_info 0
		.amdhsa_system_vgpr_workitem_id 0
		.amdhsa_next_free_vgpr 60
		.amdhsa_next_free_sgpr 45
		.amdhsa_named_barrier_count 0
		.amdhsa_reserve_vcc 1
		.amdhsa_float_round_mode_32 0
		.amdhsa_float_round_mode_16_64 0
		.amdhsa_float_denorm_mode_32 3
		.amdhsa_float_denorm_mode_16_64 3
		.amdhsa_fp16_overflow 0
		.amdhsa_memory_ordered 1
		.amdhsa_forward_progress 1
		.amdhsa_inst_pref_size 24
		.amdhsa_round_robin_scheduling 0
		.amdhsa_exception_fp_ieee_invalid_op 0
		.amdhsa_exception_fp_denorm_src 0
		.amdhsa_exception_fp_ieee_div_zero 0
		.amdhsa_exception_fp_ieee_overflow 0
		.amdhsa_exception_fp_ieee_underflow 0
		.amdhsa_exception_fp_ieee_inexact 0
		.amdhsa_exception_int_div_zero 0
	.end_amdhsa_kernel
	.section	.text._ZN9rocsparseL35bsr2csr_block_per_row_33_256_kernelILj1024ELj128ELj32EdilEEv20rocsparse_direction_T4_S2_21rocsparse_index_base_PKT2_PKT3_PKS2_S2_S3_PS4_PS7_PS2_,"axG",@progbits,_ZN9rocsparseL35bsr2csr_block_per_row_33_256_kernelILj1024ELj128ELj32EdilEEv20rocsparse_direction_T4_S2_21rocsparse_index_base_PKT2_PKT3_PKS2_S2_S3_PS4_PS7_PS2_,comdat
.Lfunc_end245:
	.size	_ZN9rocsparseL35bsr2csr_block_per_row_33_256_kernelILj1024ELj128ELj32EdilEEv20rocsparse_direction_T4_S2_21rocsparse_index_base_PKT2_PKT3_PKS2_S2_S3_PS4_PS7_PS2_, .Lfunc_end245-_ZN9rocsparseL35bsr2csr_block_per_row_33_256_kernelILj1024ELj128ELj32EdilEEv20rocsparse_direction_T4_S2_21rocsparse_index_base_PKT2_PKT3_PKS2_S2_S3_PS4_PS7_PS2_
                                        ; -- End function
	.set _ZN9rocsparseL35bsr2csr_block_per_row_33_256_kernelILj1024ELj128ELj32EdilEEv20rocsparse_direction_T4_S2_21rocsparse_index_base_PKT2_PKT3_PKS2_S2_S3_PS4_PS7_PS2_.num_vgpr, 60
	.set _ZN9rocsparseL35bsr2csr_block_per_row_33_256_kernelILj1024ELj128ELj32EdilEEv20rocsparse_direction_T4_S2_21rocsparse_index_base_PKT2_PKT3_PKS2_S2_S3_PS4_PS7_PS2_.num_agpr, 0
	.set _ZN9rocsparseL35bsr2csr_block_per_row_33_256_kernelILj1024ELj128ELj32EdilEEv20rocsparse_direction_T4_S2_21rocsparse_index_base_PKT2_PKT3_PKS2_S2_S3_PS4_PS7_PS2_.numbered_sgpr, 45
	.set _ZN9rocsparseL35bsr2csr_block_per_row_33_256_kernelILj1024ELj128ELj32EdilEEv20rocsparse_direction_T4_S2_21rocsparse_index_base_PKT2_PKT3_PKS2_S2_S3_PS4_PS7_PS2_.num_named_barrier, 0
	.set _ZN9rocsparseL35bsr2csr_block_per_row_33_256_kernelILj1024ELj128ELj32EdilEEv20rocsparse_direction_T4_S2_21rocsparse_index_base_PKT2_PKT3_PKS2_S2_S3_PS4_PS7_PS2_.private_seg_size, 0
	.set _ZN9rocsparseL35bsr2csr_block_per_row_33_256_kernelILj1024ELj128ELj32EdilEEv20rocsparse_direction_T4_S2_21rocsparse_index_base_PKT2_PKT3_PKS2_S2_S3_PS4_PS7_PS2_.uses_vcc, 1
	.set _ZN9rocsparseL35bsr2csr_block_per_row_33_256_kernelILj1024ELj128ELj32EdilEEv20rocsparse_direction_T4_S2_21rocsparse_index_base_PKT2_PKT3_PKS2_S2_S3_PS4_PS7_PS2_.uses_flat_scratch, 0
	.set _ZN9rocsparseL35bsr2csr_block_per_row_33_256_kernelILj1024ELj128ELj32EdilEEv20rocsparse_direction_T4_S2_21rocsparse_index_base_PKT2_PKT3_PKS2_S2_S3_PS4_PS7_PS2_.has_dyn_sized_stack, 0
	.set _ZN9rocsparseL35bsr2csr_block_per_row_33_256_kernelILj1024ELj128ELj32EdilEEv20rocsparse_direction_T4_S2_21rocsparse_index_base_PKT2_PKT3_PKS2_S2_S3_PS4_PS7_PS2_.has_recursion, 0
	.set _ZN9rocsparseL35bsr2csr_block_per_row_33_256_kernelILj1024ELj128ELj32EdilEEv20rocsparse_direction_T4_S2_21rocsparse_index_base_PKT2_PKT3_PKS2_S2_S3_PS4_PS7_PS2_.has_indirect_call, 0
	.section	.AMDGPU.csdata,"",@progbits
; Kernel info:
; codeLenInByte = 2956
; TotalNumSgprs: 47
; NumVgprs: 60
; ScratchSize: 0
; MemoryBound: 0
; FloatMode: 240
; IeeeMode: 1
; LDSByteSize: 0 bytes/workgroup (compile time only)
; SGPRBlocks: 0
; VGPRBlocks: 3
; NumSGPRsForWavesPerEU: 47
; NumVGPRsForWavesPerEU: 60
; NamedBarCnt: 0
; Occupancy: 16
; WaveLimiterHint : 1
; COMPUTE_PGM_RSRC2:SCRATCH_EN: 0
; COMPUTE_PGM_RSRC2:USER_SGPR: 2
; COMPUTE_PGM_RSRC2:TRAP_HANDLER: 0
; COMPUTE_PGM_RSRC2:TGID_X_EN: 1
; COMPUTE_PGM_RSRC2:TGID_Y_EN: 0
; COMPUTE_PGM_RSRC2:TGID_Z_EN: 0
; COMPUTE_PGM_RSRC2:TIDIG_COMP_CNT: 0
	.section	.text._ZN9rocsparseL35bsr2csr_block_per_row_33_256_kernelILj1024ELj256ELj32EdilEEv20rocsparse_direction_T4_S2_21rocsparse_index_base_PKT2_PKT3_PKS2_S2_S3_PS4_PS7_PS2_,"axG",@progbits,_ZN9rocsparseL35bsr2csr_block_per_row_33_256_kernelILj1024ELj256ELj32EdilEEv20rocsparse_direction_T4_S2_21rocsparse_index_base_PKT2_PKT3_PKS2_S2_S3_PS4_PS7_PS2_,comdat
	.globl	_ZN9rocsparseL35bsr2csr_block_per_row_33_256_kernelILj1024ELj256ELj32EdilEEv20rocsparse_direction_T4_S2_21rocsparse_index_base_PKT2_PKT3_PKS2_S2_S3_PS4_PS7_PS2_ ; -- Begin function _ZN9rocsparseL35bsr2csr_block_per_row_33_256_kernelILj1024ELj256ELj32EdilEEv20rocsparse_direction_T4_S2_21rocsparse_index_base_PKT2_PKT3_PKS2_S2_S3_PS4_PS7_PS2_
	.p2align	8
	.type	_ZN9rocsparseL35bsr2csr_block_per_row_33_256_kernelILj1024ELj256ELj32EdilEEv20rocsparse_direction_T4_S2_21rocsparse_index_base_PKT2_PKT3_PKS2_S2_S3_PS4_PS7_PS2_,@function
_ZN9rocsparseL35bsr2csr_block_per_row_33_256_kernelILj1024ELj256ELj32EdilEEv20rocsparse_direction_T4_S2_21rocsparse_index_base_PKT2_PKT3_PKS2_S2_S3_PS4_PS7_PS2_: ; @_ZN9rocsparseL35bsr2csr_block_per_row_33_256_kernelILj1024ELj256ELj32EdilEEv20rocsparse_direction_T4_S2_21rocsparse_index_base_PKT2_PKT3_PKS2_S2_S3_PS4_PS7_PS2_
; %bb.0:
	s_load_b64 s[6:7], s[0:1], 0x28
	s_bfe_u32 s2, ttmp6, 0x4000c
	s_and_b32 s3, ttmp6, 15
	s_add_co_i32 s2, s2, 1
	s_getreg_b32 s4, hwreg(HW_REG_IB_STS2, 6, 4)
	s_mul_i32 s2, ttmp9, s2
	s_mov_b32 s17, 0
	s_add_co_i32 s3, s3, s2
	s_cmp_eq_u32 s4, 0
	s_clause 0x1
	s_load_b32 s18, s[0:1], 0x40
	s_load_b64 s[4:5], s[0:1], 0x50
	s_cselect_b32 s2, ttmp9, s3
	s_mov_b32 s3, s17
	v_or_b32_e32 v1, s2, v0
	s_lshl_b64 s[8:9], s[2:3], 2
	s_wait_kmcnt 0x0
	s_add_nc_u64 s[6:7], s[6:7], s[8:9]
	s_load_b64 s[10:11], s[6:7], 0x0
	s_wait_xcnt 0x0
	s_mov_b32 s6, exec_lo
	v_cmpx_eq_u32_e32 0, v1
	s_cbranch_execz .LBB246_2
; %bb.1:
	v_dual_mov_b32 v1, 0 :: v_dual_mov_b32 v2, s18
	global_store_b32 v1, v2, s[4:5]
.LBB246_2:
	s_wait_xcnt 0x0
	s_or_b32 exec_lo, exec_lo, s6
	s_clause 0x1
	s_load_b32 s20, s[0:1], 0x18
	s_load_b64 s[22:23], s[0:1], 0x38
	v_dual_mov_b32 v51, 0 :: v_dual_lshrrev_b32 v50, 5, v0
	s_mov_b32 s35, s17
	s_wait_kmcnt 0x0
	s_sub_co_i32 s16, s10, s20
	s_sub_co_i32 s33, s11, s20
	s_mul_u64 s[6:7], s[22:23], s[2:3]
	v_cmp_gt_i64_e64 s2, s[22:23], v[50:51]
	s_sub_co_i32 s34, s33, s16
	s_mul_u64 s[30:31], s[22:23], s[22:23]
	s_mul_u64 s[14:15], s[22:23], s[34:35]
	s_lshl_b64 s[6:7], s[6:7], 2
	s_mul_u64 s[12:13], s[30:31], s[16:17]
	s_add_co_i32 s13, s18, s14
	s_add_nc_u64 s[24:25], s[4:5], s[6:7]
	s_and_saveexec_b32 s3, s2
	s_cbranch_execz .LBB246_4
; %bb.3:
	s_add_co_i32 s4, s13, s12
	s_delay_alu instid0(SALU_CYCLE_1)
	v_mad_u32 v1, v50, s14, s4
	global_store_b32 v50, v1, s[24:25] offset:4 scale_offset
.LBB246_4:
	s_wait_xcnt 0x0
	s_or_b32 exec_lo, exec_lo, s3
	v_dual_mov_b32 v53, v51 :: v_dual_bitop2_b32 v52, 32, v50 bitop3:0x54
	s_delay_alu instid0(VALU_DEP_1)
	v_cmp_gt_i64_e64 s3, s[22:23], v[52:53]
	s_and_saveexec_b32 s4, s3
	s_cbranch_execz .LBB246_6
; %bb.5:
	s_add_co_i32 s5, s13, s12
	s_delay_alu instid0(SALU_CYCLE_1)
	v_mad_u32 v1, v52, s14, s5
	global_store_b32 v50, v1, s[24:25] offset:132 scale_offset
.LBB246_6:
	s_wait_xcnt 0x0
	s_or_b32 exec_lo, exec_lo, s4
	v_dual_mov_b32 v49, v51 :: v_dual_bitop2_b32 v48, 64, v50 bitop3:0x54
	s_delay_alu instid0(VALU_DEP_1)
	v_cmp_gt_i64_e64 s4, s[22:23], v[48:49]
	s_and_saveexec_b32 s5, s4
	s_cbranch_execz .LBB246_8
; %bb.7:
	s_add_co_i32 s6, s13, s12
	s_delay_alu instid0(SALU_CYCLE_1)
	v_mad_u32 v1, v48, s14, s6
	global_store_b32 v50, v1, s[24:25] offset:260 scale_offset
.LBB246_8:
	s_wait_xcnt 0x0
	s_or_b32 exec_lo, exec_lo, s5
	v_or_b32_e32 v54, 0x60, v50
	v_mov_b32_e32 v55, v51
	s_delay_alu instid0(VALU_DEP_1)
	v_cmp_gt_i64_e64 s5, s[22:23], v[54:55]
	s_and_saveexec_b32 s6, s5
	s_cbranch_execz .LBB246_10
; %bb.9:
	s_add_co_i32 s7, s13, s12
	s_delay_alu instid0(SALU_CYCLE_1)
	v_mad_u32 v1, v54, s14, s7
	global_store_b32 v50, v1, s[24:25] offset:388 scale_offset
.LBB246_10:
	s_wait_xcnt 0x0
	s_or_b32 exec_lo, exec_lo, s6
	v_or_b32_e32 v46, 0x80, v50
	v_mov_b32_e32 v47, v51
	;; [unrolled: 14-line block ×5, first 2 shown]
	s_delay_alu instid0(VALU_DEP_1)
	v_cmp_gt_i64_e64 s9, s[22:23], v[58:59]
	s_and_saveexec_b32 s15, s9
	s_cbranch_execz .LBB246_18
; %bb.17:
	s_add_co_i32 s13, s13, s12
	s_delay_alu instid0(SALU_CYCLE_1)
	v_mad_u32 v1, v58, s14, s13
	global_store_b32 v50, v1, s[24:25] offset:900 scale_offset
.LBB246_18:
	s_wait_xcnt 0x0
	s_or_b32 exec_lo, exec_lo, s15
	s_cmp_lt_i32 s10, s11
	s_cbranch_scc0 .LBB246_149
; %bb.19:
	s_clause 0x2
	s_load_b32 s10, s[0:1], 0x0
	s_load_b64 s[36:37], s[0:1], 0x30
	s_load_b64 s[28:29], s[0:1], 0x58
	v_dual_mov_b32 v1, 0 :: v_dual_lshlrev_b32 v32, 3, v50
	v_and_b32_e32 v0, 31, v0
	s_mul_i32 s94, s22, s16
	s_clause 0x1
	s_load_b64 s[24:25], s[0:1], 0x48
	s_load_b64 s[26:27], s[0:1], 0x20
	v_dual_mov_b32 v33, v1 :: v_dual_mov_b32 v19, v1
	v_lshlrev_b32_e32 v18, 3, v0
	v_mad_u32 v51, v58, s34, s94
	v_mad_u32 v53, v44, s34, s94
	;; [unrolled: 1-line block ×5, first 2 shown]
	v_or_b32_e32 v44, 0xc0, v0
	v_or_b32_e32 v46, 0xe0, v0
	v_mov_b32_e32 v47, v1
	s_wait_xcnt 0x0
	v_cmp_gt_i64_e64 s0, s[22:23], v[0:1]
	s_wait_kmcnt 0x0
	s_cmp_eq_u32 s10, 0
	v_mov_b32_e32 v49, v0
	s_cselect_b32 vcc_lo, -1, 0
	s_ashr_i32 s17, s16, 31
	v_mul_lo_u32 v51, s22, v51
	s_mul_u64 s[10:11], s[22:23], s[16:17]
	v_mul_lo_u32 v53, s22, v53
	s_lshl_b64 s[10:11], s[10:11], 3
	v_mul_lo_u32 v55, s22, v55
	v_add_nc_u64_e32 v[30:31], s[10:11], v[32:33]
	v_add_nc_u64_e32 v[34:35], s[10:11], v[18:19]
	v_mul_lo_u32 v57, s22, v56
	v_mul_lo_u32 v59, s22, v58
	v_dual_mov_b32 v56, v1 :: v_dual_mov_b32 v58, v1
	s_mov_b32 s21, 0
	v_mad_nc_u64_u32 v[2:3], s22, v30, v[18:19]
	v_add_nc_u64_e32 v[36:37], 0x700, v[30:31]
	v_add_nc_u64_e32 v[38:39], 0x600, v[30:31]
	;; [unrolled: 1-line block ×10, first 2 shown]
	v_mad_u32 v3, s23, v30, v3
	v_add_nc_u64_e32 v[72:73], 0x400, v[34:35]
	v_add_nc_u64_e32 v[74:75], 0x500, v[34:35]
	;; [unrolled: 1-line block ×4, first 2 shown]
	v_mad_nc_u64_u32 v[4:5], s22, v34, v[32:33]
	v_mad_nc_u64_u32 v[6:7], s22, v36, v[18:19]
	;; [unrolled: 1-line block ×13, first 2 shown]
	v_mad_u32 v3, s22, v31, v3
	v_mad_nc_u64_u32 v[30:31], s22, v76, v[32:33]
	v_mad_nc_u64_u32 v[32:33], s22, v78, v[32:33]
	v_mad_u32 v5, s23, v34, v5
	v_mad_u32 v7, s23, v36, v7
	;; [unrolled: 1-line block ×23, first 2 shown]
	v_dual_mov_b32 v35, v1 :: v_dual_bitop2_b32 v34, 32, v0 bitop3:0x54
	v_dual_mov_b32 v37, v1 :: v_dual_bitop2_b32 v36, 64, v0 bitop3:0x54
	v_or_b32_e32 v38, 0x60, v0
	v_dual_mov_b32 v39, v1 :: v_dual_mov_b32 v41, v1
	v_or_b32_e32 v40, 0x80, v0
	v_or_b32_e32 v42, 0xa0, v0
	v_dual_mov_b32 v43, v1 :: v_dual_mov_b32 v45, v1
	v_mad_u32 v15, s22, v61, v15
	v_mad_u32 v17, s22, v63, v17
	;; [unrolled: 1-line block ×8, first 2 shown]
	v_cmp_gt_i64_e64 s1, s[22:23], v[34:35]
	v_cmp_gt_i64_e64 s10, s[22:23], v[36:37]
	v_mad_u32 v31, s22, v77, v31
	v_mad_u32 v33, s22, v79, v33
	v_cmp_gt_i64_e64 s11, s[22:23], v[38:39]
	v_cmp_gt_i64_e64 s12, s[22:23], v[40:41]
	v_cmp_gt_i64_e64 s13, s[22:23], v[42:43]
	v_cmp_gt_i64_e64 s14, s[22:23], v[44:45]
	v_mov_b32_e32 v48, v1
	v_cmp_gt_i64_e64 s15, s[22:23], v[46:47]
	v_mul_lo_u32 v61, s22, v60
	v_mul_lo_u32 v63, s22, v62
	;; [unrolled: 1-line block ×3, first 2 shown]
	v_dual_mov_b32 v50, v1 :: v_dual_mov_b32 v52, v1
	v_dual_mov_b32 v54, v1 :: v_dual_mov_b32 v60, v1
	;; [unrolled: 1-line block ×3, first 2 shown]
	s_and_b32 s35, s2, s0
	s_and_b32 s38, s2, s1
	;; [unrolled: 1-line block ×16, first 2 shown]
	s_lshl_b64 s[2:3], s[16:17], 3
	s_mov_b32 s19, s21
	s_and_b32 s53, s4, s0
	s_and_b32 s54, s4, s1
	;; [unrolled: 1-line block ×48, first 2 shown]
	s_mov_b32 s0, s21
	s_mov_b32 s1, s22
	s_add_nc_u64 s[2:3], s[36:37], s[2:3]
	s_lshl_b64 s[4:5], s[30:31], 3
	s_branch .LBB246_21
.LBB246_20:                             ;   in Loop: Header=BB246_21 Depth=1
	s_wait_xcnt 0x0
	s_or_b32 exec_lo, exec_lo, s6
	v_add_nc_u64_e32 v[50:51], s[0:1], v[50:51]
	v_add_nc_u64_e32 v[52:53], s[0:1], v[52:53]
	;; [unrolled: 1-line block ×8, first 2 shown]
	s_add_co_i32 s16, s16, 1
	s_add_nc_u64 s[2:3], s[2:3], 8
	s_cmp_ge_i32 s16, s33
	s_add_nc_u64 s[26:27], s[26:27], s[4:5]
	s_cbranch_scc1 .LBB246_149
.LBB246_21:                             ; =>This Inner Loop Header: Depth=1
	s_load_b64 s[6:7], s[2:3], 0x0
	v_add_nc_u64_e32 v[98:99], v[48:49], v[64:65]
	v_add_nc_u64_e32 v[100:101], s[26:27], v[2:3]
	;; [unrolled: 1-line block ×3, first 2 shown]
	s_wait_kmcnt 0x0
	s_sub_nc_u64 s[6:7], s[6:7], s[20:21]
	s_delay_alu instid0(SALU_CYCLE_1) | instskip(NEXT) | instid1(SALU_CYCLE_1)
	s_mul_u64 s[6:7], s[6:7], s[22:23]
	s_add_nc_u64 s[6:7], s[6:7], s[18:19]
	s_delay_alu instid0(SALU_CYCLE_1)
	v_add_nc_u64_e32 v[76:77], s[6:7], v[0:1]
	s_and_saveexec_b32 s15, s35
	s_cbranch_execz .LBB246_23
; %bb.22:                               ;   in Loop: Header=BB246_21 Depth=1
	v_dual_cndmask_b32 v67, v91, v101 :: v_dual_cndmask_b32 v66, v90, v100
	v_ashrrev_i64 v[68:69], 29, v[98:99]
	global_load_b64 v[66:67], v[66:67], off
	v_add_nc_u64_e32 v[70:71], s[28:29], v[68:69]
	v_add_nc_u64_e32 v[68:69], s[24:25], v[68:69]
	global_store_b64 v[70:71], v[76:77], off
	s_wait_loadcnt 0x0
	global_store_b64 v[68:69], v[66:67], off
.LBB246_23:                             ;   in Loop: Header=BB246_21 Depth=1
	s_wait_xcnt 0x0
	s_or_b32 exec_lo, exec_lo, s15
	v_add_nc_u64_e32 v[66:67], s[6:7], v[34:35]
	v_add_nc_u64_e32 v[82:83], s[26:27], v[20:21]
	s_and_saveexec_b32 s15, s38
	s_cbranch_execz .LBB246_25
; %bb.24:                               ;   in Loop: Header=BB246_21 Depth=1
	v_add_nc_u64_e32 v[68:69], 0x100, v[100:101]
	v_dual_mov_b32 v70, v98 :: v_dual_add_nc_u32 v71, 32, v99
	s_delay_alu instid0(VALU_DEP_1) | instskip(NEXT) | instid1(VALU_DEP_3)
	v_ashrrev_i64 v[70:71], 29, v[70:71]
	v_dual_cndmask_b32 v69, v83, v69 :: v_dual_cndmask_b32 v68, v82, v68
	global_load_b64 v[68:69], v[68:69], off
	v_add_nc_u64_e32 v[72:73], s[28:29], v[70:71]
	v_add_nc_u64_e32 v[70:71], s[24:25], v[70:71]
	global_store_b64 v[72:73], v[66:67], off
	s_wait_loadcnt 0x0
	global_store_b64 v[70:71], v[68:69], off
.LBB246_25:                             ;   in Loop: Header=BB246_21 Depth=1
	s_wait_xcnt 0x0
	s_or_b32 exec_lo, exec_lo, s15
	v_add_nc_u64_e32 v[68:69], s[6:7], v[36:37]
	v_add_nc_u64_e32 v[84:85], s[26:27], v[22:23]
	s_and_saveexec_b32 s15, s39
	s_cbranch_execz .LBB246_27
; %bb.26:                               ;   in Loop: Header=BB246_21 Depth=1
	v_add_nc_u64_e32 v[70:71], 0x200, v[100:101]
	v_dual_mov_b32 v72, v98 :: v_dual_add_nc_u32 v73, 64, v99
	s_delay_alu instid0(VALU_DEP_1) | instskip(NEXT) | instid1(VALU_DEP_3)
	v_ashrrev_i64 v[72:73], 29, v[72:73]
	v_dual_cndmask_b32 v71, v85, v71 :: v_dual_cndmask_b32 v70, v84, v70
	global_load_b64 v[70:71], v[70:71], off
	v_add_nc_u64_e32 v[74:75], s[28:29], v[72:73]
	v_add_nc_u64_e32 v[72:73], s[24:25], v[72:73]
	global_store_b64 v[74:75], v[68:69], off
	s_wait_loadcnt 0x0
	global_store_b64 v[72:73], v[70:71], off
.LBB246_27:                             ;   in Loop: Header=BB246_21 Depth=1
	;; [unrolled: 19-line block ×6, first 2 shown]
	s_wait_xcnt 0x0
	s_or_b32 exec_lo, exec_lo, s15
	v_add_nc_u64_e32 v[80:81], s[6:7], v[46:47]
	v_add_nc_u64_e32 v[96:97], s[26:27], v[32:33]
	s_and_saveexec_b32 s6, s44
	s_cbranch_execz .LBB246_37
; %bb.36:                               ;   in Loop: Header=BB246_21 Depth=1
	v_add_nc_u64_e32 v[100:101], 0x700, v[100:101]
	v_add_nc_u32_e32 v99, 0xe0, v99
	s_delay_alu instid0(VALU_DEP_1) | instskip(NEXT) | instid1(VALU_DEP_3)
	v_ashrrev_i64 v[98:99], 29, v[98:99]
	v_dual_cndmask_b32 v101, v97, v101 :: v_dual_cndmask_b32 v100, v96, v100
	global_load_b64 v[100:101], v[100:101], off
	v_add_nc_u64_e32 v[102:103], s[28:29], v[98:99]
	v_add_nc_u64_e32 v[98:99], s[24:25], v[98:99]
	global_store_b64 v[102:103], v[80:81], off
	s_wait_loadcnt 0x0
	global_store_b64 v[98:99], v[100:101], off
.LBB246_37:                             ;   in Loop: Header=BB246_21 Depth=1
	s_wait_xcnt 0x0
	s_or_b32 exec_lo, exec_lo, s6
	v_add_nc_u64_e32 v[98:99], v[48:49], v[62:63]
	v_add_nc_u64_e32 v[100:101], s[26:27], v[18:19]
	s_and_saveexec_b32 s6, s45
	s_cbranch_execnz .LBB246_99
; %bb.38:                               ;   in Loop: Header=BB246_21 Depth=1
	s_or_b32 exec_lo, exec_lo, s6
	s_and_saveexec_b32 s6, s46
	s_cbranch_execnz .LBB246_100
.LBB246_39:                             ;   in Loop: Header=BB246_21 Depth=1
	s_or_b32 exec_lo, exec_lo, s6
	s_and_saveexec_b32 s6, s47
	s_cbranch_execnz .LBB246_101
.LBB246_40:                             ;   in Loop: Header=BB246_21 Depth=1
	s_or_b32 exec_lo, exec_lo, s6
	s_and_saveexec_b32 s6, s48
	s_cbranch_execnz .LBB246_102
.LBB246_41:                             ;   in Loop: Header=BB246_21 Depth=1
	s_or_b32 exec_lo, exec_lo, s6
	s_and_saveexec_b32 s6, s49
	s_cbranch_execnz .LBB246_103
.LBB246_42:                             ;   in Loop: Header=BB246_21 Depth=1
	s_or_b32 exec_lo, exec_lo, s6
	s_and_saveexec_b32 s6, s50
	s_cbranch_execnz .LBB246_104
.LBB246_43:                             ;   in Loop: Header=BB246_21 Depth=1
	s_or_b32 exec_lo, exec_lo, s6
	s_and_saveexec_b32 s6, s51
	s_cbranch_execnz .LBB246_105
.LBB246_44:                             ;   in Loop: Header=BB246_21 Depth=1
	s_or_b32 exec_lo, exec_lo, s6
	s_and_saveexec_b32 s6, s52
	s_cbranch_execz .LBB246_46
.LBB246_45:                             ;   in Loop: Header=BB246_21 Depth=1
	v_add_nc_u64_e32 v[100:101], 0x700, v[100:101]
	v_add_nc_u64_e32 v[102:103], 0x100, v[96:97]
	v_add_nc_u32_e32 v99, 0xe0, v99
	s_delay_alu instid0(VALU_DEP_1) | instskip(NEXT) | instid1(VALU_DEP_3)
	v_ashrrev_i64 v[98:99], 29, v[98:99]
	v_dual_cndmask_b32 v101, v103, v101 :: v_dual_cndmask_b32 v100, v102, v100
	global_load_b64 v[100:101], v[100:101], off
	v_add_nc_u64_e32 v[102:103], s[28:29], v[98:99]
	v_add_nc_u64_e32 v[98:99], s[24:25], v[98:99]
	global_store_b64 v[102:103], v[80:81], off
	s_wait_loadcnt 0x0
	global_store_b64 v[98:99], v[100:101], off
.LBB246_46:                             ;   in Loop: Header=BB246_21 Depth=1
	s_wait_xcnt 0x0
	s_or_b32 exec_lo, exec_lo, s6
	v_add_nc_u64_e32 v[98:99], v[48:49], v[60:61]
	v_add_nc_u64_e32 v[100:101], s[26:27], v[16:17]
	s_and_saveexec_b32 s6, s53
	s_cbranch_execnz .LBB246_106
; %bb.47:                               ;   in Loop: Header=BB246_21 Depth=1
	s_or_b32 exec_lo, exec_lo, s6
	s_and_saveexec_b32 s6, s54
	s_cbranch_execnz .LBB246_107
.LBB246_48:                             ;   in Loop: Header=BB246_21 Depth=1
	s_or_b32 exec_lo, exec_lo, s6
	s_and_saveexec_b32 s6, s55
	s_cbranch_execnz .LBB246_108
.LBB246_49:                             ;   in Loop: Header=BB246_21 Depth=1
	s_or_b32 exec_lo, exec_lo, s6
	s_and_saveexec_b32 s6, s56
	s_cbranch_execnz .LBB246_109
.LBB246_50:                             ;   in Loop: Header=BB246_21 Depth=1
	s_or_b32 exec_lo, exec_lo, s6
	s_and_saveexec_b32 s6, s57
	s_cbranch_execnz .LBB246_110
.LBB246_51:                             ;   in Loop: Header=BB246_21 Depth=1
	s_or_b32 exec_lo, exec_lo, s6
	s_and_saveexec_b32 s6, s58
	s_cbranch_execnz .LBB246_111
.LBB246_52:                             ;   in Loop: Header=BB246_21 Depth=1
	s_or_b32 exec_lo, exec_lo, s6
	s_and_saveexec_b32 s6, s59
	s_cbranch_execnz .LBB246_112
.LBB246_53:                             ;   in Loop: Header=BB246_21 Depth=1
	s_or_b32 exec_lo, exec_lo, s6
	s_and_saveexec_b32 s6, s60
	s_cbranch_execz .LBB246_55
.LBB246_54:                             ;   in Loop: Header=BB246_21 Depth=1
	v_add_nc_u64_e32 v[100:101], 0x700, v[100:101]
	v_add_nc_u64_e32 v[102:103], 0x200, v[96:97]
	v_add_nc_u32_e32 v99, 0xe0, v99
	s_delay_alu instid0(VALU_DEP_1) | instskip(NEXT) | instid1(VALU_DEP_3)
	v_ashrrev_i64 v[98:99], 29, v[98:99]
	v_dual_cndmask_b32 v101, v103, v101 :: v_dual_cndmask_b32 v100, v102, v100
	global_load_b64 v[100:101], v[100:101], off
	v_add_nc_u64_e32 v[102:103], s[28:29], v[98:99]
	v_add_nc_u64_e32 v[98:99], s[24:25], v[98:99]
	global_store_b64 v[102:103], v[80:81], off
	s_wait_loadcnt 0x0
	global_store_b64 v[98:99], v[100:101], off
.LBB246_55:                             ;   in Loop: Header=BB246_21 Depth=1
	s_wait_xcnt 0x0
	s_or_b32 exec_lo, exec_lo, s6
	v_add_nc_u64_e32 v[98:99], v[48:49], v[58:59]
	v_add_nc_u64_e32 v[100:101], s[26:27], v[14:15]
	s_and_saveexec_b32 s6, s61
	s_cbranch_execnz .LBB246_113
; %bb.56:                               ;   in Loop: Header=BB246_21 Depth=1
	s_or_b32 exec_lo, exec_lo, s6
	s_and_saveexec_b32 s6, s62
	s_cbranch_execnz .LBB246_114
.LBB246_57:                             ;   in Loop: Header=BB246_21 Depth=1
	s_or_b32 exec_lo, exec_lo, s6
	s_and_saveexec_b32 s6, s63
	s_cbranch_execnz .LBB246_115
.LBB246_58:                             ;   in Loop: Header=BB246_21 Depth=1
	s_or_b32 exec_lo, exec_lo, s6
	s_and_saveexec_b32 s6, s64
	s_cbranch_execnz .LBB246_116
.LBB246_59:                             ;   in Loop: Header=BB246_21 Depth=1
	s_or_b32 exec_lo, exec_lo, s6
	s_and_saveexec_b32 s6, s65
	s_cbranch_execnz .LBB246_117
.LBB246_60:                             ;   in Loop: Header=BB246_21 Depth=1
	s_or_b32 exec_lo, exec_lo, s6
	s_and_saveexec_b32 s6, s66
	s_cbranch_execnz .LBB246_118
.LBB246_61:                             ;   in Loop: Header=BB246_21 Depth=1
	s_or_b32 exec_lo, exec_lo, s6
	s_and_saveexec_b32 s6, s67
	s_cbranch_execnz .LBB246_119
.LBB246_62:                             ;   in Loop: Header=BB246_21 Depth=1
	s_or_b32 exec_lo, exec_lo, s6
	s_and_saveexec_b32 s6, s68
	s_cbranch_execz .LBB246_64
.LBB246_63:                             ;   in Loop: Header=BB246_21 Depth=1
	v_add_nc_u64_e32 v[100:101], 0x700, v[100:101]
	v_add_nc_u64_e32 v[102:103], 0x300, v[96:97]
	v_add_nc_u32_e32 v99, 0xe0, v99
	s_delay_alu instid0(VALU_DEP_1) | instskip(NEXT) | instid1(VALU_DEP_3)
	v_ashrrev_i64 v[98:99], 29, v[98:99]
	v_dual_cndmask_b32 v101, v103, v101 :: v_dual_cndmask_b32 v100, v102, v100
	global_load_b64 v[100:101], v[100:101], off
	v_add_nc_u64_e32 v[102:103], s[28:29], v[98:99]
	v_add_nc_u64_e32 v[98:99], s[24:25], v[98:99]
	global_store_b64 v[102:103], v[80:81], off
	s_wait_loadcnt 0x0
	global_store_b64 v[98:99], v[100:101], off
.LBB246_64:                             ;   in Loop: Header=BB246_21 Depth=1
	s_wait_xcnt 0x0
	s_or_b32 exec_lo, exec_lo, s6
	v_add_nc_u64_e32 v[98:99], v[48:49], v[56:57]
	v_add_nc_u64_e32 v[100:101], s[26:27], v[12:13]
	s_and_saveexec_b32 s6, s69
	s_cbranch_execnz .LBB246_120
; %bb.65:                               ;   in Loop: Header=BB246_21 Depth=1
	s_or_b32 exec_lo, exec_lo, s6
	s_and_saveexec_b32 s6, s70
	s_cbranch_execnz .LBB246_121
.LBB246_66:                             ;   in Loop: Header=BB246_21 Depth=1
	s_or_b32 exec_lo, exec_lo, s6
	s_and_saveexec_b32 s6, s71
	s_cbranch_execnz .LBB246_122
.LBB246_67:                             ;   in Loop: Header=BB246_21 Depth=1
	s_or_b32 exec_lo, exec_lo, s6
	s_and_saveexec_b32 s6, s72
	s_cbranch_execnz .LBB246_123
.LBB246_68:                             ;   in Loop: Header=BB246_21 Depth=1
	s_or_b32 exec_lo, exec_lo, s6
	s_and_saveexec_b32 s6, s73
	s_cbranch_execnz .LBB246_124
.LBB246_69:                             ;   in Loop: Header=BB246_21 Depth=1
	s_or_b32 exec_lo, exec_lo, s6
	s_and_saveexec_b32 s6, s74
	s_cbranch_execnz .LBB246_125
.LBB246_70:                             ;   in Loop: Header=BB246_21 Depth=1
	s_or_b32 exec_lo, exec_lo, s6
	s_and_saveexec_b32 s6, s75
	s_cbranch_execnz .LBB246_126
.LBB246_71:                             ;   in Loop: Header=BB246_21 Depth=1
	s_or_b32 exec_lo, exec_lo, s6
	s_and_saveexec_b32 s6, s76
	s_cbranch_execz .LBB246_73
.LBB246_72:                             ;   in Loop: Header=BB246_21 Depth=1
	v_add_nc_u64_e32 v[100:101], 0x700, v[100:101]
	v_add_nc_u64_e32 v[102:103], 0x400, v[96:97]
	v_add_nc_u32_e32 v99, 0xe0, v99
	s_delay_alu instid0(VALU_DEP_1) | instskip(NEXT) | instid1(VALU_DEP_3)
	v_ashrrev_i64 v[98:99], 29, v[98:99]
	v_dual_cndmask_b32 v101, v103, v101 :: v_dual_cndmask_b32 v100, v102, v100
	global_load_b64 v[100:101], v[100:101], off
	v_add_nc_u64_e32 v[102:103], s[28:29], v[98:99]
	v_add_nc_u64_e32 v[98:99], s[24:25], v[98:99]
	global_store_b64 v[102:103], v[80:81], off
	s_wait_loadcnt 0x0
	global_store_b64 v[98:99], v[100:101], off
.LBB246_73:                             ;   in Loop: Header=BB246_21 Depth=1
	s_wait_xcnt 0x0
	s_or_b32 exec_lo, exec_lo, s6
	v_add_nc_u64_e32 v[98:99], v[48:49], v[54:55]
	v_add_nc_u64_e32 v[100:101], s[26:27], v[10:11]
	s_and_saveexec_b32 s6, s77
	s_cbranch_execnz .LBB246_127
; %bb.74:                               ;   in Loop: Header=BB246_21 Depth=1
	s_or_b32 exec_lo, exec_lo, s6
	s_and_saveexec_b32 s6, s78
	s_cbranch_execnz .LBB246_128
.LBB246_75:                             ;   in Loop: Header=BB246_21 Depth=1
	s_or_b32 exec_lo, exec_lo, s6
	s_and_saveexec_b32 s6, s79
	s_cbranch_execnz .LBB246_129
.LBB246_76:                             ;   in Loop: Header=BB246_21 Depth=1
	s_or_b32 exec_lo, exec_lo, s6
	s_and_saveexec_b32 s6, s80
	s_cbranch_execnz .LBB246_130
.LBB246_77:                             ;   in Loop: Header=BB246_21 Depth=1
	s_or_b32 exec_lo, exec_lo, s6
	s_and_saveexec_b32 s6, s81
	s_cbranch_execnz .LBB246_131
.LBB246_78:                             ;   in Loop: Header=BB246_21 Depth=1
	s_or_b32 exec_lo, exec_lo, s6
	s_and_saveexec_b32 s6, s82
	s_cbranch_execnz .LBB246_132
.LBB246_79:                             ;   in Loop: Header=BB246_21 Depth=1
	s_or_b32 exec_lo, exec_lo, s6
	s_and_saveexec_b32 s6, s83
	s_cbranch_execnz .LBB246_133
.LBB246_80:                             ;   in Loop: Header=BB246_21 Depth=1
	s_or_b32 exec_lo, exec_lo, s6
	s_and_saveexec_b32 s6, s84
	s_cbranch_execz .LBB246_82
.LBB246_81:                             ;   in Loop: Header=BB246_21 Depth=1
	v_add_nc_u64_e32 v[100:101], 0x700, v[100:101]
	v_add_nc_u64_e32 v[102:103], 0x500, v[96:97]
	v_add_nc_u32_e32 v99, 0xe0, v99
	s_delay_alu instid0(VALU_DEP_1) | instskip(NEXT) | instid1(VALU_DEP_3)
	v_ashrrev_i64 v[98:99], 29, v[98:99]
	v_dual_cndmask_b32 v101, v103, v101 :: v_dual_cndmask_b32 v100, v102, v100
	global_load_b64 v[100:101], v[100:101], off
	v_add_nc_u64_e32 v[102:103], s[28:29], v[98:99]
	v_add_nc_u64_e32 v[98:99], s[24:25], v[98:99]
	global_store_b64 v[102:103], v[80:81], off
	s_wait_loadcnt 0x0
	global_store_b64 v[98:99], v[100:101], off
.LBB246_82:                             ;   in Loop: Header=BB246_21 Depth=1
	s_wait_xcnt 0x0
	s_or_b32 exec_lo, exec_lo, s6
	v_add_nc_u64_e32 v[98:99], v[48:49], v[52:53]
	v_add_nc_u64_e32 v[100:101], s[26:27], v[8:9]
	s_and_saveexec_b32 s6, s85
	s_cbranch_execnz .LBB246_134
; %bb.83:                               ;   in Loop: Header=BB246_21 Depth=1
	s_or_b32 exec_lo, exec_lo, s6
	s_and_saveexec_b32 s6, s86
	s_cbranch_execnz .LBB246_135
.LBB246_84:                             ;   in Loop: Header=BB246_21 Depth=1
	s_or_b32 exec_lo, exec_lo, s6
	s_and_saveexec_b32 s6, s87
	s_cbranch_execnz .LBB246_136
.LBB246_85:                             ;   in Loop: Header=BB246_21 Depth=1
	s_or_b32 exec_lo, exec_lo, s6
	s_and_saveexec_b32 s6, s88
	s_cbranch_execnz .LBB246_137
.LBB246_86:                             ;   in Loop: Header=BB246_21 Depth=1
	s_or_b32 exec_lo, exec_lo, s6
	s_and_saveexec_b32 s6, s89
	s_cbranch_execnz .LBB246_138
.LBB246_87:                             ;   in Loop: Header=BB246_21 Depth=1
	s_or_b32 exec_lo, exec_lo, s6
	s_and_saveexec_b32 s6, s90
	s_cbranch_execnz .LBB246_139
.LBB246_88:                             ;   in Loop: Header=BB246_21 Depth=1
	s_or_b32 exec_lo, exec_lo, s6
	s_and_saveexec_b32 s6, s91
	s_cbranch_execnz .LBB246_140
.LBB246_89:                             ;   in Loop: Header=BB246_21 Depth=1
	s_or_b32 exec_lo, exec_lo, s6
	s_and_saveexec_b32 s6, s8
	s_cbranch_execz .LBB246_91
.LBB246_90:                             ;   in Loop: Header=BB246_21 Depth=1
	v_add_nc_u64_e32 v[100:101], 0x700, v[100:101]
	v_add_nc_u64_e32 v[102:103], 0x600, v[96:97]
	v_add_nc_u32_e32 v99, 0xe0, v99
	s_delay_alu instid0(VALU_DEP_1) | instskip(NEXT) | instid1(VALU_DEP_3)
	v_ashrrev_i64 v[98:99], 29, v[98:99]
	v_dual_cndmask_b32 v101, v103, v101 :: v_dual_cndmask_b32 v100, v102, v100
	global_load_b64 v[100:101], v[100:101], off
	v_add_nc_u64_e32 v[102:103], s[28:29], v[98:99]
	v_add_nc_u64_e32 v[98:99], s[24:25], v[98:99]
	global_store_b64 v[102:103], v[80:81], off
	s_wait_loadcnt 0x0
	global_store_b64 v[98:99], v[100:101], off
.LBB246_91:                             ;   in Loop: Header=BB246_21 Depth=1
	s_wait_xcnt 0x0
	s_or_b32 exec_lo, exec_lo, s6
	v_add_nc_u64_e32 v[98:99], v[48:49], v[50:51]
	v_add_nc_u64_e32 v[100:101], s[26:27], v[6:7]
	s_and_saveexec_b32 s6, s92
	s_cbranch_execnz .LBB246_141
; %bb.92:                               ;   in Loop: Header=BB246_21 Depth=1
	s_or_b32 exec_lo, exec_lo, s6
	s_and_saveexec_b32 s6, s93
	s_cbranch_execnz .LBB246_142
.LBB246_93:                             ;   in Loop: Header=BB246_21 Depth=1
	s_or_b32 exec_lo, exec_lo, s6
	s_and_saveexec_b32 s6, s10
	s_cbranch_execnz .LBB246_143
.LBB246_94:                             ;   in Loop: Header=BB246_21 Depth=1
	s_or_b32 exec_lo, exec_lo, s6
	s_and_saveexec_b32 s6, s11
	s_cbranch_execnz .LBB246_144
.LBB246_95:                             ;   in Loop: Header=BB246_21 Depth=1
	s_or_b32 exec_lo, exec_lo, s6
	s_and_saveexec_b32 s6, s12
	s_cbranch_execnz .LBB246_145
.LBB246_96:                             ;   in Loop: Header=BB246_21 Depth=1
	s_or_b32 exec_lo, exec_lo, s6
	s_and_saveexec_b32 s6, s13
	s_cbranch_execnz .LBB246_146
.LBB246_97:                             ;   in Loop: Header=BB246_21 Depth=1
	s_or_b32 exec_lo, exec_lo, s6
	s_and_saveexec_b32 s6, s14
	s_cbranch_execnz .LBB246_147
.LBB246_98:                             ;   in Loop: Header=BB246_21 Depth=1
	s_or_b32 exec_lo, exec_lo, s6
	s_and_saveexec_b32 s6, s9
	s_cbranch_execz .LBB246_20
	s_branch .LBB246_148
.LBB246_99:                             ;   in Loop: Header=BB246_21 Depth=1
	v_add_nc_u64_e32 v[102:103], 0x100, v[90:91]
	s_delay_alu instid0(VALU_DEP_3) | instskip(NEXT) | instid1(VALU_DEP_2)
	v_ashrrev_i64 v[104:105], 29, v[98:99]
	v_dual_cndmask_b32 v103, v103, v101 :: v_dual_cndmask_b32 v102, v102, v100
	s_delay_alu instid0(VALU_DEP_2)
	v_add_nc_u64_e32 v[106:107], s[28:29], v[104:105]
	v_add_nc_u64_e32 v[104:105], s[24:25], v[104:105]
	global_load_b64 v[102:103], v[102:103], off
	global_store_b64 v[106:107], v[76:77], off
	s_wait_loadcnt 0x0
	global_store_b64 v[104:105], v[102:103], off
	s_wait_xcnt 0x0
	s_or_b32 exec_lo, exec_lo, s6
	s_and_saveexec_b32 s6, s46
	s_cbranch_execz .LBB246_39
.LBB246_100:                            ;   in Loop: Header=BB246_21 Depth=1
	s_delay_alu instid0(VALU_DEP_1) | instskip(SKIP_3) | instid1(VALU_DEP_1)
	v_dual_cndmask_b32 v103, v83, v101 :: v_dual_cndmask_b32 v102, v82, v100
	v_dual_mov_b32 v104, v98 :: v_dual_add_nc_u32 v105, 32, v99
	global_load_b64 v[102:103], v[102:103], off offset:256
	v_ashrrev_i64 v[104:105], 29, v[104:105]
	v_add_nc_u64_e32 v[106:107], s[28:29], v[104:105]
	v_add_nc_u64_e32 v[104:105], s[24:25], v[104:105]
	global_store_b64 v[106:107], v[66:67], off
	s_wait_loadcnt 0x0
	global_store_b64 v[104:105], v[102:103], off
	s_wait_xcnt 0x0
	s_or_b32 exec_lo, exec_lo, s6
	s_and_saveexec_b32 s6, s47
	s_cbranch_execz .LBB246_40
.LBB246_101:                            ;   in Loop: Header=BB246_21 Depth=1
	v_add_nc_u64_e32 v[102:103], 0x200, v[100:101]
	v_add_nc_u64_e32 v[104:105], 0x100, v[84:85]
	s_delay_alu instid0(VALU_DEP_1) | instskip(SKIP_3) | instid1(VALU_DEP_1)
	v_dual_cndmask_b32 v103, v105, v103 :: v_dual_cndmask_b32 v102, v104, v102
	v_dual_mov_b32 v104, v98 :: v_dual_add_nc_u32 v105, 64, v99
	global_load_b64 v[102:103], v[102:103], off
	v_ashrrev_i64 v[104:105], 29, v[104:105]
	v_add_nc_u64_e32 v[106:107], s[28:29], v[104:105]
	v_add_nc_u64_e32 v[104:105], s[24:25], v[104:105]
	global_store_b64 v[106:107], v[68:69], off
	s_wait_loadcnt 0x0
	global_store_b64 v[104:105], v[102:103], off
	s_wait_xcnt 0x0
	s_or_b32 exec_lo, exec_lo, s6
	s_and_saveexec_b32 s6, s48
	s_cbranch_execz .LBB246_41
.LBB246_102:                            ;   in Loop: Header=BB246_21 Depth=1
	v_add_nc_u64_e32 v[102:103], 0x300, v[100:101]
	v_add_nc_u64_e32 v[104:105], 0x100, v[86:87]
	s_delay_alu instid0(VALU_DEP_1) | instskip(SKIP_3) | instid1(VALU_DEP_1)
	v_dual_cndmask_b32 v103, v105, v103 :: v_dual_cndmask_b32 v102, v104, v102
	v_dual_mov_b32 v104, v98 :: v_dual_add_nc_u32 v105, 0x60, v99
	global_load_b64 v[102:103], v[102:103], off
	v_ashrrev_i64 v[104:105], 29, v[104:105]
	v_add_nc_u64_e32 v[106:107], s[28:29], v[104:105]
	v_add_nc_u64_e32 v[104:105], s[24:25], v[104:105]
	global_store_b64 v[106:107], v[70:71], off
	s_wait_loadcnt 0x0
	global_store_b64 v[104:105], v[102:103], off
	s_wait_xcnt 0x0
	s_or_b32 exec_lo, exec_lo, s6
	s_and_saveexec_b32 s6, s49
	s_cbranch_execz .LBB246_42
.LBB246_103:                            ;   in Loop: Header=BB246_21 Depth=1
	v_add_nc_u64_e32 v[102:103], 0x400, v[100:101]
	v_add_nc_u64_e32 v[104:105], 0x100, v[88:89]
	s_delay_alu instid0(VALU_DEP_1) | instskip(SKIP_3) | instid1(VALU_DEP_1)
	v_dual_cndmask_b32 v103, v105, v103 :: v_dual_cndmask_b32 v102, v104, v102
	v_dual_mov_b32 v104, v98 :: v_dual_add_nc_u32 v105, 0x80, v99
	global_load_b64 v[102:103], v[102:103], off
	v_ashrrev_i64 v[104:105], 29, v[104:105]
	v_add_nc_u64_e32 v[106:107], s[28:29], v[104:105]
	v_add_nc_u64_e32 v[104:105], s[24:25], v[104:105]
	global_store_b64 v[106:107], v[72:73], off
	s_wait_loadcnt 0x0
	global_store_b64 v[104:105], v[102:103], off
	s_wait_xcnt 0x0
	s_or_b32 exec_lo, exec_lo, s6
	s_and_saveexec_b32 s6, s50
	s_cbranch_execz .LBB246_43
.LBB246_104:                            ;   in Loop: Header=BB246_21 Depth=1
	v_add_nc_u64_e32 v[102:103], 0x500, v[100:101]
	v_add_nc_u64_e32 v[104:105], 0x100, v[92:93]
	s_delay_alu instid0(VALU_DEP_1) | instskip(SKIP_3) | instid1(VALU_DEP_1)
	v_dual_cndmask_b32 v103, v105, v103 :: v_dual_cndmask_b32 v102, v104, v102
	v_dual_mov_b32 v104, v98 :: v_dual_add_nc_u32 v105, 0xa0, v99
	global_load_b64 v[102:103], v[102:103], off
	v_ashrrev_i64 v[104:105], 29, v[104:105]
	v_add_nc_u64_e32 v[106:107], s[28:29], v[104:105]
	v_add_nc_u64_e32 v[104:105], s[24:25], v[104:105]
	global_store_b64 v[106:107], v[74:75], off
	s_wait_loadcnt 0x0
	global_store_b64 v[104:105], v[102:103], off
	s_wait_xcnt 0x0
	s_or_b32 exec_lo, exec_lo, s6
	s_and_saveexec_b32 s6, s51
	s_cbranch_execz .LBB246_44
.LBB246_105:                            ;   in Loop: Header=BB246_21 Depth=1
	v_add_nc_u64_e32 v[102:103], 0x600, v[100:101]
	v_add_nc_u64_e32 v[104:105], 0x100, v[94:95]
	s_delay_alu instid0(VALU_DEP_1) | instskip(SKIP_3) | instid1(VALU_DEP_1)
	v_dual_cndmask_b32 v103, v105, v103 :: v_dual_cndmask_b32 v102, v104, v102
	v_dual_mov_b32 v104, v98 :: v_dual_add_nc_u32 v105, 0xc0, v99
	global_load_b64 v[102:103], v[102:103], off
	v_ashrrev_i64 v[104:105], 29, v[104:105]
	v_add_nc_u64_e32 v[106:107], s[28:29], v[104:105]
	v_add_nc_u64_e32 v[104:105], s[24:25], v[104:105]
	global_store_b64 v[106:107], v[78:79], off
	s_wait_loadcnt 0x0
	global_store_b64 v[104:105], v[102:103], off
	s_wait_xcnt 0x0
	s_or_b32 exec_lo, exec_lo, s6
	s_and_saveexec_b32 s6, s52
	s_cbranch_execnz .LBB246_45
	s_branch .LBB246_46
.LBB246_106:                            ;   in Loop: Header=BB246_21 Depth=1
	v_add_nc_u64_e32 v[102:103], 0x200, v[90:91]
	s_delay_alu instid0(VALU_DEP_3) | instskip(NEXT) | instid1(VALU_DEP_2)
	v_ashrrev_i64 v[104:105], 29, v[98:99]
	v_dual_cndmask_b32 v103, v103, v101 :: v_dual_cndmask_b32 v102, v102, v100
	s_delay_alu instid0(VALU_DEP_2)
	v_add_nc_u64_e32 v[106:107], s[28:29], v[104:105]
	v_add_nc_u64_e32 v[104:105], s[24:25], v[104:105]
	global_load_b64 v[102:103], v[102:103], off
	global_store_b64 v[106:107], v[76:77], off
	s_wait_loadcnt 0x0
	global_store_b64 v[104:105], v[102:103], off
	s_wait_xcnt 0x0
	s_or_b32 exec_lo, exec_lo, s6
	s_and_saveexec_b32 s6, s54
	s_cbranch_execz .LBB246_48
.LBB246_107:                            ;   in Loop: Header=BB246_21 Depth=1
	s_delay_alu instid0(VALU_DEP_1) | instskip(SKIP_1) | instid1(VALU_DEP_1)
	v_add_nc_u64_e32 v[102:103], 0x100, v[100:101]
	v_add_nc_u64_e32 v[104:105], 0x200, v[82:83]
	v_dual_cndmask_b32 v103, v105, v103 :: v_dual_cndmask_b32 v102, v104, v102
	v_dual_mov_b32 v104, v98 :: v_dual_add_nc_u32 v105, 32, v99
	global_load_b64 v[102:103], v[102:103], off
	v_ashrrev_i64 v[104:105], 29, v[104:105]
	s_delay_alu instid0(VALU_DEP_1)
	v_add_nc_u64_e32 v[106:107], s[28:29], v[104:105]
	v_add_nc_u64_e32 v[104:105], s[24:25], v[104:105]
	global_store_b64 v[106:107], v[66:67], off
	s_wait_loadcnt 0x0
	global_store_b64 v[104:105], v[102:103], off
	s_wait_xcnt 0x0
	s_or_b32 exec_lo, exec_lo, s6
	s_and_saveexec_b32 s6, s55
	s_cbranch_execz .LBB246_49
.LBB246_108:                            ;   in Loop: Header=BB246_21 Depth=1
	v_dual_cndmask_b32 v103, v85, v101 :: v_dual_cndmask_b32 v102, v84, v100
	v_dual_mov_b32 v104, v98 :: v_dual_add_nc_u32 v105, 64, v99
	global_load_b64 v[102:103], v[102:103], off offset:512
	v_ashrrev_i64 v[104:105], 29, v[104:105]
	s_delay_alu instid0(VALU_DEP_1)
	v_add_nc_u64_e32 v[106:107], s[28:29], v[104:105]
	v_add_nc_u64_e32 v[104:105], s[24:25], v[104:105]
	global_store_b64 v[106:107], v[68:69], off
	s_wait_loadcnt 0x0
	global_store_b64 v[104:105], v[102:103], off
	s_wait_xcnt 0x0
	s_or_b32 exec_lo, exec_lo, s6
	s_and_saveexec_b32 s6, s56
	s_cbranch_execz .LBB246_50
.LBB246_109:                            ;   in Loop: Header=BB246_21 Depth=1
	v_add_nc_u64_e32 v[102:103], 0x300, v[100:101]
	v_add_nc_u64_e32 v[104:105], 0x200, v[86:87]
	s_delay_alu instid0(VALU_DEP_1) | instskip(SKIP_3) | instid1(VALU_DEP_1)
	v_dual_cndmask_b32 v103, v105, v103 :: v_dual_cndmask_b32 v102, v104, v102
	v_dual_mov_b32 v104, v98 :: v_dual_add_nc_u32 v105, 0x60, v99
	global_load_b64 v[102:103], v[102:103], off
	v_ashrrev_i64 v[104:105], 29, v[104:105]
	v_add_nc_u64_e32 v[106:107], s[28:29], v[104:105]
	v_add_nc_u64_e32 v[104:105], s[24:25], v[104:105]
	global_store_b64 v[106:107], v[70:71], off
	s_wait_loadcnt 0x0
	global_store_b64 v[104:105], v[102:103], off
	s_wait_xcnt 0x0
	s_or_b32 exec_lo, exec_lo, s6
	s_and_saveexec_b32 s6, s57
	s_cbranch_execz .LBB246_51
.LBB246_110:                            ;   in Loop: Header=BB246_21 Depth=1
	v_add_nc_u64_e32 v[102:103], 0x400, v[100:101]
	v_add_nc_u64_e32 v[104:105], 0x200, v[88:89]
	s_delay_alu instid0(VALU_DEP_1) | instskip(SKIP_3) | instid1(VALU_DEP_1)
	v_dual_cndmask_b32 v103, v105, v103 :: v_dual_cndmask_b32 v102, v104, v102
	v_dual_mov_b32 v104, v98 :: v_dual_add_nc_u32 v105, 0x80, v99
	global_load_b64 v[102:103], v[102:103], off
	v_ashrrev_i64 v[104:105], 29, v[104:105]
	v_add_nc_u64_e32 v[106:107], s[28:29], v[104:105]
	v_add_nc_u64_e32 v[104:105], s[24:25], v[104:105]
	global_store_b64 v[106:107], v[72:73], off
	s_wait_loadcnt 0x0
	global_store_b64 v[104:105], v[102:103], off
	s_wait_xcnt 0x0
	s_or_b32 exec_lo, exec_lo, s6
	s_and_saveexec_b32 s6, s58
	s_cbranch_execz .LBB246_52
.LBB246_111:                            ;   in Loop: Header=BB246_21 Depth=1
	v_add_nc_u64_e32 v[102:103], 0x500, v[100:101]
	v_add_nc_u64_e32 v[104:105], 0x200, v[92:93]
	s_delay_alu instid0(VALU_DEP_1) | instskip(SKIP_3) | instid1(VALU_DEP_1)
	v_dual_cndmask_b32 v103, v105, v103 :: v_dual_cndmask_b32 v102, v104, v102
	v_dual_mov_b32 v104, v98 :: v_dual_add_nc_u32 v105, 0xa0, v99
	global_load_b64 v[102:103], v[102:103], off
	v_ashrrev_i64 v[104:105], 29, v[104:105]
	v_add_nc_u64_e32 v[106:107], s[28:29], v[104:105]
	v_add_nc_u64_e32 v[104:105], s[24:25], v[104:105]
	global_store_b64 v[106:107], v[74:75], off
	s_wait_loadcnt 0x0
	global_store_b64 v[104:105], v[102:103], off
	s_wait_xcnt 0x0
	s_or_b32 exec_lo, exec_lo, s6
	s_and_saveexec_b32 s6, s59
	s_cbranch_execz .LBB246_53
.LBB246_112:                            ;   in Loop: Header=BB246_21 Depth=1
	v_add_nc_u64_e32 v[102:103], 0x600, v[100:101]
	v_add_nc_u64_e32 v[104:105], 0x200, v[94:95]
	s_delay_alu instid0(VALU_DEP_1) | instskip(SKIP_3) | instid1(VALU_DEP_1)
	v_dual_cndmask_b32 v103, v105, v103 :: v_dual_cndmask_b32 v102, v104, v102
	v_dual_mov_b32 v104, v98 :: v_dual_add_nc_u32 v105, 0xc0, v99
	global_load_b64 v[102:103], v[102:103], off
	v_ashrrev_i64 v[104:105], 29, v[104:105]
	v_add_nc_u64_e32 v[106:107], s[28:29], v[104:105]
	v_add_nc_u64_e32 v[104:105], s[24:25], v[104:105]
	global_store_b64 v[106:107], v[78:79], off
	s_wait_loadcnt 0x0
	global_store_b64 v[104:105], v[102:103], off
	s_wait_xcnt 0x0
	s_or_b32 exec_lo, exec_lo, s6
	s_and_saveexec_b32 s6, s60
	s_cbranch_execnz .LBB246_54
	s_branch .LBB246_55
.LBB246_113:                            ;   in Loop: Header=BB246_21 Depth=1
	v_add_nc_u64_e32 v[102:103], 0x300, v[90:91]
	s_delay_alu instid0(VALU_DEP_3) | instskip(NEXT) | instid1(VALU_DEP_2)
	v_ashrrev_i64 v[104:105], 29, v[98:99]
	v_dual_cndmask_b32 v103, v103, v101 :: v_dual_cndmask_b32 v102, v102, v100
	s_delay_alu instid0(VALU_DEP_2)
	v_add_nc_u64_e32 v[106:107], s[28:29], v[104:105]
	v_add_nc_u64_e32 v[104:105], s[24:25], v[104:105]
	global_load_b64 v[102:103], v[102:103], off
	global_store_b64 v[106:107], v[76:77], off
	s_wait_loadcnt 0x0
	global_store_b64 v[104:105], v[102:103], off
	s_wait_xcnt 0x0
	s_or_b32 exec_lo, exec_lo, s6
	s_and_saveexec_b32 s6, s62
	s_cbranch_execz .LBB246_57
.LBB246_114:                            ;   in Loop: Header=BB246_21 Depth=1
	s_delay_alu instid0(VALU_DEP_1) | instskip(SKIP_1) | instid1(VALU_DEP_1)
	v_add_nc_u64_e32 v[102:103], 0x100, v[100:101]
	v_add_nc_u64_e32 v[104:105], 0x300, v[82:83]
	v_dual_cndmask_b32 v103, v105, v103 :: v_dual_cndmask_b32 v102, v104, v102
	v_dual_mov_b32 v104, v98 :: v_dual_add_nc_u32 v105, 32, v99
	global_load_b64 v[102:103], v[102:103], off
	v_ashrrev_i64 v[104:105], 29, v[104:105]
	s_delay_alu instid0(VALU_DEP_1)
	v_add_nc_u64_e32 v[106:107], s[28:29], v[104:105]
	v_add_nc_u64_e32 v[104:105], s[24:25], v[104:105]
	global_store_b64 v[106:107], v[66:67], off
	s_wait_loadcnt 0x0
	global_store_b64 v[104:105], v[102:103], off
	s_wait_xcnt 0x0
	s_or_b32 exec_lo, exec_lo, s6
	s_and_saveexec_b32 s6, s63
	s_cbranch_execz .LBB246_58
.LBB246_115:                            ;   in Loop: Header=BB246_21 Depth=1
	v_add_nc_u64_e32 v[102:103], 0x200, v[100:101]
	v_add_nc_u64_e32 v[104:105], 0x300, v[84:85]
	s_delay_alu instid0(VALU_DEP_1) | instskip(SKIP_3) | instid1(VALU_DEP_1)
	v_dual_cndmask_b32 v103, v105, v103 :: v_dual_cndmask_b32 v102, v104, v102
	v_dual_mov_b32 v104, v98 :: v_dual_add_nc_u32 v105, 64, v99
	global_load_b64 v[102:103], v[102:103], off
	v_ashrrev_i64 v[104:105], 29, v[104:105]
	v_add_nc_u64_e32 v[106:107], s[28:29], v[104:105]
	v_add_nc_u64_e32 v[104:105], s[24:25], v[104:105]
	global_store_b64 v[106:107], v[68:69], off
	s_wait_loadcnt 0x0
	global_store_b64 v[104:105], v[102:103], off
	s_wait_xcnt 0x0
	s_or_b32 exec_lo, exec_lo, s6
	s_and_saveexec_b32 s6, s64
	s_cbranch_execz .LBB246_59
.LBB246_116:                            ;   in Loop: Header=BB246_21 Depth=1
	v_dual_cndmask_b32 v103, v87, v101 :: v_dual_cndmask_b32 v102, v86, v100
	v_dual_mov_b32 v104, v98 :: v_dual_add_nc_u32 v105, 0x60, v99
	global_load_b64 v[102:103], v[102:103], off offset:768
	v_ashrrev_i64 v[104:105], 29, v[104:105]
	s_delay_alu instid0(VALU_DEP_1)
	v_add_nc_u64_e32 v[106:107], s[28:29], v[104:105]
	v_add_nc_u64_e32 v[104:105], s[24:25], v[104:105]
	global_store_b64 v[106:107], v[70:71], off
	s_wait_loadcnt 0x0
	global_store_b64 v[104:105], v[102:103], off
	s_wait_xcnt 0x0
	s_or_b32 exec_lo, exec_lo, s6
	s_and_saveexec_b32 s6, s65
	s_cbranch_execz .LBB246_60
.LBB246_117:                            ;   in Loop: Header=BB246_21 Depth=1
	v_add_nc_u64_e32 v[102:103], 0x400, v[100:101]
	v_add_nc_u64_e32 v[104:105], 0x300, v[88:89]
	s_delay_alu instid0(VALU_DEP_1) | instskip(SKIP_3) | instid1(VALU_DEP_1)
	v_dual_cndmask_b32 v103, v105, v103 :: v_dual_cndmask_b32 v102, v104, v102
	v_dual_mov_b32 v104, v98 :: v_dual_add_nc_u32 v105, 0x80, v99
	global_load_b64 v[102:103], v[102:103], off
	v_ashrrev_i64 v[104:105], 29, v[104:105]
	v_add_nc_u64_e32 v[106:107], s[28:29], v[104:105]
	v_add_nc_u64_e32 v[104:105], s[24:25], v[104:105]
	global_store_b64 v[106:107], v[72:73], off
	s_wait_loadcnt 0x0
	global_store_b64 v[104:105], v[102:103], off
	s_wait_xcnt 0x0
	s_or_b32 exec_lo, exec_lo, s6
	s_and_saveexec_b32 s6, s66
	s_cbranch_execz .LBB246_61
.LBB246_118:                            ;   in Loop: Header=BB246_21 Depth=1
	v_add_nc_u64_e32 v[102:103], 0x500, v[100:101]
	v_add_nc_u64_e32 v[104:105], 0x300, v[92:93]
	s_delay_alu instid0(VALU_DEP_1) | instskip(SKIP_3) | instid1(VALU_DEP_1)
	v_dual_cndmask_b32 v103, v105, v103 :: v_dual_cndmask_b32 v102, v104, v102
	v_dual_mov_b32 v104, v98 :: v_dual_add_nc_u32 v105, 0xa0, v99
	global_load_b64 v[102:103], v[102:103], off
	v_ashrrev_i64 v[104:105], 29, v[104:105]
	v_add_nc_u64_e32 v[106:107], s[28:29], v[104:105]
	v_add_nc_u64_e32 v[104:105], s[24:25], v[104:105]
	global_store_b64 v[106:107], v[74:75], off
	s_wait_loadcnt 0x0
	global_store_b64 v[104:105], v[102:103], off
	s_wait_xcnt 0x0
	s_or_b32 exec_lo, exec_lo, s6
	s_and_saveexec_b32 s6, s67
	s_cbranch_execz .LBB246_62
.LBB246_119:                            ;   in Loop: Header=BB246_21 Depth=1
	v_add_nc_u64_e32 v[102:103], 0x600, v[100:101]
	v_add_nc_u64_e32 v[104:105], 0x300, v[94:95]
	s_delay_alu instid0(VALU_DEP_1) | instskip(SKIP_3) | instid1(VALU_DEP_1)
	v_dual_cndmask_b32 v103, v105, v103 :: v_dual_cndmask_b32 v102, v104, v102
	v_dual_mov_b32 v104, v98 :: v_dual_add_nc_u32 v105, 0xc0, v99
	global_load_b64 v[102:103], v[102:103], off
	v_ashrrev_i64 v[104:105], 29, v[104:105]
	v_add_nc_u64_e32 v[106:107], s[28:29], v[104:105]
	v_add_nc_u64_e32 v[104:105], s[24:25], v[104:105]
	global_store_b64 v[106:107], v[78:79], off
	s_wait_loadcnt 0x0
	global_store_b64 v[104:105], v[102:103], off
	s_wait_xcnt 0x0
	s_or_b32 exec_lo, exec_lo, s6
	s_and_saveexec_b32 s6, s68
	s_cbranch_execnz .LBB246_63
	s_branch .LBB246_64
.LBB246_120:                            ;   in Loop: Header=BB246_21 Depth=1
	v_add_nc_u64_e32 v[102:103], 0x400, v[90:91]
	s_delay_alu instid0(VALU_DEP_3) | instskip(NEXT) | instid1(VALU_DEP_2)
	v_ashrrev_i64 v[104:105], 29, v[98:99]
	v_dual_cndmask_b32 v103, v103, v101 :: v_dual_cndmask_b32 v102, v102, v100
	s_delay_alu instid0(VALU_DEP_2)
	v_add_nc_u64_e32 v[106:107], s[28:29], v[104:105]
	v_add_nc_u64_e32 v[104:105], s[24:25], v[104:105]
	global_load_b64 v[102:103], v[102:103], off
	global_store_b64 v[106:107], v[76:77], off
	s_wait_loadcnt 0x0
	global_store_b64 v[104:105], v[102:103], off
	s_wait_xcnt 0x0
	s_or_b32 exec_lo, exec_lo, s6
	s_and_saveexec_b32 s6, s70
	s_cbranch_execz .LBB246_66
.LBB246_121:                            ;   in Loop: Header=BB246_21 Depth=1
	s_delay_alu instid0(VALU_DEP_1) | instskip(SKIP_1) | instid1(VALU_DEP_1)
	v_add_nc_u64_e32 v[102:103], 0x100, v[100:101]
	v_add_nc_u64_e32 v[104:105], 0x400, v[82:83]
	v_dual_cndmask_b32 v103, v105, v103 :: v_dual_cndmask_b32 v102, v104, v102
	v_dual_mov_b32 v104, v98 :: v_dual_add_nc_u32 v105, 32, v99
	global_load_b64 v[102:103], v[102:103], off
	v_ashrrev_i64 v[104:105], 29, v[104:105]
	s_delay_alu instid0(VALU_DEP_1)
	v_add_nc_u64_e32 v[106:107], s[28:29], v[104:105]
	v_add_nc_u64_e32 v[104:105], s[24:25], v[104:105]
	global_store_b64 v[106:107], v[66:67], off
	s_wait_loadcnt 0x0
	global_store_b64 v[104:105], v[102:103], off
	s_wait_xcnt 0x0
	s_or_b32 exec_lo, exec_lo, s6
	s_and_saveexec_b32 s6, s71
	s_cbranch_execz .LBB246_67
.LBB246_122:                            ;   in Loop: Header=BB246_21 Depth=1
	v_add_nc_u64_e32 v[102:103], 0x200, v[100:101]
	v_add_nc_u64_e32 v[104:105], 0x400, v[84:85]
	s_delay_alu instid0(VALU_DEP_1) | instskip(SKIP_3) | instid1(VALU_DEP_1)
	v_dual_cndmask_b32 v103, v105, v103 :: v_dual_cndmask_b32 v102, v104, v102
	v_dual_mov_b32 v104, v98 :: v_dual_add_nc_u32 v105, 64, v99
	global_load_b64 v[102:103], v[102:103], off
	v_ashrrev_i64 v[104:105], 29, v[104:105]
	v_add_nc_u64_e32 v[106:107], s[28:29], v[104:105]
	v_add_nc_u64_e32 v[104:105], s[24:25], v[104:105]
	global_store_b64 v[106:107], v[68:69], off
	s_wait_loadcnt 0x0
	global_store_b64 v[104:105], v[102:103], off
	s_wait_xcnt 0x0
	s_or_b32 exec_lo, exec_lo, s6
	s_and_saveexec_b32 s6, s72
	s_cbranch_execz .LBB246_68
.LBB246_123:                            ;   in Loop: Header=BB246_21 Depth=1
	v_add_nc_u64_e32 v[102:103], 0x300, v[100:101]
	v_add_nc_u64_e32 v[104:105], 0x400, v[86:87]
	s_delay_alu instid0(VALU_DEP_1) | instskip(SKIP_3) | instid1(VALU_DEP_1)
	v_dual_cndmask_b32 v103, v105, v103 :: v_dual_cndmask_b32 v102, v104, v102
	v_dual_mov_b32 v104, v98 :: v_dual_add_nc_u32 v105, 0x60, v99
	global_load_b64 v[102:103], v[102:103], off
	v_ashrrev_i64 v[104:105], 29, v[104:105]
	v_add_nc_u64_e32 v[106:107], s[28:29], v[104:105]
	v_add_nc_u64_e32 v[104:105], s[24:25], v[104:105]
	global_store_b64 v[106:107], v[70:71], off
	s_wait_loadcnt 0x0
	global_store_b64 v[104:105], v[102:103], off
	s_wait_xcnt 0x0
	s_or_b32 exec_lo, exec_lo, s6
	s_and_saveexec_b32 s6, s73
	s_cbranch_execz .LBB246_69
.LBB246_124:                            ;   in Loop: Header=BB246_21 Depth=1
	v_dual_cndmask_b32 v103, v89, v101 :: v_dual_cndmask_b32 v102, v88, v100
	v_dual_mov_b32 v104, v98 :: v_dual_add_nc_u32 v105, 0x80, v99
	global_load_b64 v[102:103], v[102:103], off offset:1024
	v_ashrrev_i64 v[104:105], 29, v[104:105]
	s_delay_alu instid0(VALU_DEP_1)
	v_add_nc_u64_e32 v[106:107], s[28:29], v[104:105]
	v_add_nc_u64_e32 v[104:105], s[24:25], v[104:105]
	global_store_b64 v[106:107], v[72:73], off
	s_wait_loadcnt 0x0
	global_store_b64 v[104:105], v[102:103], off
	s_wait_xcnt 0x0
	s_or_b32 exec_lo, exec_lo, s6
	s_and_saveexec_b32 s6, s74
	s_cbranch_execz .LBB246_70
.LBB246_125:                            ;   in Loop: Header=BB246_21 Depth=1
	v_add_nc_u64_e32 v[102:103], 0x500, v[100:101]
	v_add_nc_u64_e32 v[104:105], 0x400, v[92:93]
	s_delay_alu instid0(VALU_DEP_1) | instskip(SKIP_3) | instid1(VALU_DEP_1)
	v_dual_cndmask_b32 v103, v105, v103 :: v_dual_cndmask_b32 v102, v104, v102
	v_dual_mov_b32 v104, v98 :: v_dual_add_nc_u32 v105, 0xa0, v99
	global_load_b64 v[102:103], v[102:103], off
	v_ashrrev_i64 v[104:105], 29, v[104:105]
	v_add_nc_u64_e32 v[106:107], s[28:29], v[104:105]
	v_add_nc_u64_e32 v[104:105], s[24:25], v[104:105]
	global_store_b64 v[106:107], v[74:75], off
	s_wait_loadcnt 0x0
	global_store_b64 v[104:105], v[102:103], off
	s_wait_xcnt 0x0
	s_or_b32 exec_lo, exec_lo, s6
	s_and_saveexec_b32 s6, s75
	s_cbranch_execz .LBB246_71
.LBB246_126:                            ;   in Loop: Header=BB246_21 Depth=1
	v_add_nc_u64_e32 v[102:103], 0x600, v[100:101]
	v_add_nc_u64_e32 v[104:105], 0x400, v[94:95]
	s_delay_alu instid0(VALU_DEP_1) | instskip(SKIP_3) | instid1(VALU_DEP_1)
	v_dual_cndmask_b32 v103, v105, v103 :: v_dual_cndmask_b32 v102, v104, v102
	v_dual_mov_b32 v104, v98 :: v_dual_add_nc_u32 v105, 0xc0, v99
	global_load_b64 v[102:103], v[102:103], off
	v_ashrrev_i64 v[104:105], 29, v[104:105]
	v_add_nc_u64_e32 v[106:107], s[28:29], v[104:105]
	v_add_nc_u64_e32 v[104:105], s[24:25], v[104:105]
	global_store_b64 v[106:107], v[78:79], off
	s_wait_loadcnt 0x0
	global_store_b64 v[104:105], v[102:103], off
	s_wait_xcnt 0x0
	s_or_b32 exec_lo, exec_lo, s6
	s_and_saveexec_b32 s6, s76
	s_cbranch_execnz .LBB246_72
	s_branch .LBB246_73
.LBB246_127:                            ;   in Loop: Header=BB246_21 Depth=1
	v_add_nc_u64_e32 v[102:103], 0x500, v[90:91]
	s_delay_alu instid0(VALU_DEP_3) | instskip(NEXT) | instid1(VALU_DEP_2)
	v_ashrrev_i64 v[104:105], 29, v[98:99]
	v_dual_cndmask_b32 v103, v103, v101 :: v_dual_cndmask_b32 v102, v102, v100
	s_delay_alu instid0(VALU_DEP_2)
	v_add_nc_u64_e32 v[106:107], s[28:29], v[104:105]
	v_add_nc_u64_e32 v[104:105], s[24:25], v[104:105]
	global_load_b64 v[102:103], v[102:103], off
	global_store_b64 v[106:107], v[76:77], off
	s_wait_loadcnt 0x0
	global_store_b64 v[104:105], v[102:103], off
	s_wait_xcnt 0x0
	s_or_b32 exec_lo, exec_lo, s6
	s_and_saveexec_b32 s6, s78
	s_cbranch_execz .LBB246_75
.LBB246_128:                            ;   in Loop: Header=BB246_21 Depth=1
	s_delay_alu instid0(VALU_DEP_1) | instskip(SKIP_1) | instid1(VALU_DEP_1)
	v_add_nc_u64_e32 v[102:103], 0x100, v[100:101]
	v_add_nc_u64_e32 v[104:105], 0x500, v[82:83]
	v_dual_cndmask_b32 v103, v105, v103 :: v_dual_cndmask_b32 v102, v104, v102
	v_dual_mov_b32 v104, v98 :: v_dual_add_nc_u32 v105, 32, v99
	global_load_b64 v[102:103], v[102:103], off
	v_ashrrev_i64 v[104:105], 29, v[104:105]
	s_delay_alu instid0(VALU_DEP_1)
	v_add_nc_u64_e32 v[106:107], s[28:29], v[104:105]
	v_add_nc_u64_e32 v[104:105], s[24:25], v[104:105]
	global_store_b64 v[106:107], v[66:67], off
	s_wait_loadcnt 0x0
	global_store_b64 v[104:105], v[102:103], off
	s_wait_xcnt 0x0
	s_or_b32 exec_lo, exec_lo, s6
	s_and_saveexec_b32 s6, s79
	s_cbranch_execz .LBB246_76
.LBB246_129:                            ;   in Loop: Header=BB246_21 Depth=1
	v_add_nc_u64_e32 v[102:103], 0x200, v[100:101]
	v_add_nc_u64_e32 v[104:105], 0x500, v[84:85]
	s_delay_alu instid0(VALU_DEP_1) | instskip(SKIP_3) | instid1(VALU_DEP_1)
	v_dual_cndmask_b32 v103, v105, v103 :: v_dual_cndmask_b32 v102, v104, v102
	v_dual_mov_b32 v104, v98 :: v_dual_add_nc_u32 v105, 64, v99
	global_load_b64 v[102:103], v[102:103], off
	v_ashrrev_i64 v[104:105], 29, v[104:105]
	v_add_nc_u64_e32 v[106:107], s[28:29], v[104:105]
	v_add_nc_u64_e32 v[104:105], s[24:25], v[104:105]
	global_store_b64 v[106:107], v[68:69], off
	s_wait_loadcnt 0x0
	global_store_b64 v[104:105], v[102:103], off
	s_wait_xcnt 0x0
	s_or_b32 exec_lo, exec_lo, s6
	s_and_saveexec_b32 s6, s80
	s_cbranch_execz .LBB246_77
.LBB246_130:                            ;   in Loop: Header=BB246_21 Depth=1
	v_add_nc_u64_e32 v[102:103], 0x300, v[100:101]
	v_add_nc_u64_e32 v[104:105], 0x500, v[86:87]
	s_delay_alu instid0(VALU_DEP_1) | instskip(SKIP_3) | instid1(VALU_DEP_1)
	v_dual_cndmask_b32 v103, v105, v103 :: v_dual_cndmask_b32 v102, v104, v102
	v_dual_mov_b32 v104, v98 :: v_dual_add_nc_u32 v105, 0x60, v99
	global_load_b64 v[102:103], v[102:103], off
	v_ashrrev_i64 v[104:105], 29, v[104:105]
	v_add_nc_u64_e32 v[106:107], s[28:29], v[104:105]
	v_add_nc_u64_e32 v[104:105], s[24:25], v[104:105]
	global_store_b64 v[106:107], v[70:71], off
	s_wait_loadcnt 0x0
	global_store_b64 v[104:105], v[102:103], off
	s_wait_xcnt 0x0
	s_or_b32 exec_lo, exec_lo, s6
	s_and_saveexec_b32 s6, s81
	s_cbranch_execz .LBB246_78
.LBB246_131:                            ;   in Loop: Header=BB246_21 Depth=1
	v_add_nc_u64_e32 v[102:103], 0x400, v[100:101]
	v_add_nc_u64_e32 v[104:105], 0x500, v[88:89]
	s_delay_alu instid0(VALU_DEP_1) | instskip(SKIP_3) | instid1(VALU_DEP_1)
	v_dual_cndmask_b32 v103, v105, v103 :: v_dual_cndmask_b32 v102, v104, v102
	v_dual_mov_b32 v104, v98 :: v_dual_add_nc_u32 v105, 0x80, v99
	global_load_b64 v[102:103], v[102:103], off
	v_ashrrev_i64 v[104:105], 29, v[104:105]
	v_add_nc_u64_e32 v[106:107], s[28:29], v[104:105]
	v_add_nc_u64_e32 v[104:105], s[24:25], v[104:105]
	global_store_b64 v[106:107], v[72:73], off
	s_wait_loadcnt 0x0
	global_store_b64 v[104:105], v[102:103], off
	s_wait_xcnt 0x0
	s_or_b32 exec_lo, exec_lo, s6
	s_and_saveexec_b32 s6, s82
	s_cbranch_execz .LBB246_79
.LBB246_132:                            ;   in Loop: Header=BB246_21 Depth=1
	v_dual_cndmask_b32 v103, v93, v101 :: v_dual_cndmask_b32 v102, v92, v100
	v_dual_mov_b32 v104, v98 :: v_dual_add_nc_u32 v105, 0xa0, v99
	global_load_b64 v[102:103], v[102:103], off offset:1280
	v_ashrrev_i64 v[104:105], 29, v[104:105]
	s_delay_alu instid0(VALU_DEP_1)
	v_add_nc_u64_e32 v[106:107], s[28:29], v[104:105]
	v_add_nc_u64_e32 v[104:105], s[24:25], v[104:105]
	global_store_b64 v[106:107], v[74:75], off
	s_wait_loadcnt 0x0
	global_store_b64 v[104:105], v[102:103], off
	s_wait_xcnt 0x0
	s_or_b32 exec_lo, exec_lo, s6
	s_and_saveexec_b32 s6, s83
	s_cbranch_execz .LBB246_80
.LBB246_133:                            ;   in Loop: Header=BB246_21 Depth=1
	v_add_nc_u64_e32 v[102:103], 0x600, v[100:101]
	v_add_nc_u64_e32 v[104:105], 0x500, v[94:95]
	s_delay_alu instid0(VALU_DEP_1) | instskip(SKIP_3) | instid1(VALU_DEP_1)
	v_dual_cndmask_b32 v103, v105, v103 :: v_dual_cndmask_b32 v102, v104, v102
	v_dual_mov_b32 v104, v98 :: v_dual_add_nc_u32 v105, 0xc0, v99
	global_load_b64 v[102:103], v[102:103], off
	v_ashrrev_i64 v[104:105], 29, v[104:105]
	v_add_nc_u64_e32 v[106:107], s[28:29], v[104:105]
	v_add_nc_u64_e32 v[104:105], s[24:25], v[104:105]
	global_store_b64 v[106:107], v[78:79], off
	s_wait_loadcnt 0x0
	global_store_b64 v[104:105], v[102:103], off
	s_wait_xcnt 0x0
	s_or_b32 exec_lo, exec_lo, s6
	s_and_saveexec_b32 s6, s84
	s_cbranch_execnz .LBB246_81
	s_branch .LBB246_82
.LBB246_134:                            ;   in Loop: Header=BB246_21 Depth=1
	v_add_nc_u64_e32 v[102:103], 0x600, v[90:91]
	s_delay_alu instid0(VALU_DEP_3) | instskip(NEXT) | instid1(VALU_DEP_2)
	v_ashrrev_i64 v[104:105], 29, v[98:99]
	v_dual_cndmask_b32 v103, v103, v101 :: v_dual_cndmask_b32 v102, v102, v100
	s_delay_alu instid0(VALU_DEP_2)
	v_add_nc_u64_e32 v[106:107], s[28:29], v[104:105]
	v_add_nc_u64_e32 v[104:105], s[24:25], v[104:105]
	global_load_b64 v[102:103], v[102:103], off
	global_store_b64 v[106:107], v[76:77], off
	s_wait_loadcnt 0x0
	global_store_b64 v[104:105], v[102:103], off
	s_wait_xcnt 0x0
	s_or_b32 exec_lo, exec_lo, s6
	s_and_saveexec_b32 s6, s86
	s_cbranch_execz .LBB246_84
.LBB246_135:                            ;   in Loop: Header=BB246_21 Depth=1
	s_delay_alu instid0(VALU_DEP_1) | instskip(SKIP_1) | instid1(VALU_DEP_1)
	v_add_nc_u64_e32 v[102:103], 0x100, v[100:101]
	v_add_nc_u64_e32 v[104:105], 0x600, v[82:83]
	v_dual_cndmask_b32 v103, v105, v103 :: v_dual_cndmask_b32 v102, v104, v102
	v_dual_mov_b32 v104, v98 :: v_dual_add_nc_u32 v105, 32, v99
	global_load_b64 v[102:103], v[102:103], off
	v_ashrrev_i64 v[104:105], 29, v[104:105]
	s_delay_alu instid0(VALU_DEP_1)
	v_add_nc_u64_e32 v[106:107], s[28:29], v[104:105]
	v_add_nc_u64_e32 v[104:105], s[24:25], v[104:105]
	global_store_b64 v[106:107], v[66:67], off
	s_wait_loadcnt 0x0
	global_store_b64 v[104:105], v[102:103], off
	s_wait_xcnt 0x0
	s_or_b32 exec_lo, exec_lo, s6
	s_and_saveexec_b32 s6, s87
	s_cbranch_execz .LBB246_85
.LBB246_136:                            ;   in Loop: Header=BB246_21 Depth=1
	v_add_nc_u64_e32 v[102:103], 0x200, v[100:101]
	v_add_nc_u64_e32 v[104:105], 0x600, v[84:85]
	s_delay_alu instid0(VALU_DEP_1) | instskip(SKIP_3) | instid1(VALU_DEP_1)
	v_dual_cndmask_b32 v103, v105, v103 :: v_dual_cndmask_b32 v102, v104, v102
	v_dual_mov_b32 v104, v98 :: v_dual_add_nc_u32 v105, 64, v99
	global_load_b64 v[102:103], v[102:103], off
	v_ashrrev_i64 v[104:105], 29, v[104:105]
	v_add_nc_u64_e32 v[106:107], s[28:29], v[104:105]
	v_add_nc_u64_e32 v[104:105], s[24:25], v[104:105]
	global_store_b64 v[106:107], v[68:69], off
	s_wait_loadcnt 0x0
	global_store_b64 v[104:105], v[102:103], off
	s_wait_xcnt 0x0
	s_or_b32 exec_lo, exec_lo, s6
	s_and_saveexec_b32 s6, s88
	s_cbranch_execz .LBB246_86
.LBB246_137:                            ;   in Loop: Header=BB246_21 Depth=1
	v_add_nc_u64_e32 v[102:103], 0x300, v[100:101]
	v_add_nc_u64_e32 v[104:105], 0x600, v[86:87]
	s_delay_alu instid0(VALU_DEP_1) | instskip(SKIP_3) | instid1(VALU_DEP_1)
	v_dual_cndmask_b32 v103, v105, v103 :: v_dual_cndmask_b32 v102, v104, v102
	v_dual_mov_b32 v104, v98 :: v_dual_add_nc_u32 v105, 0x60, v99
	global_load_b64 v[102:103], v[102:103], off
	v_ashrrev_i64 v[104:105], 29, v[104:105]
	v_add_nc_u64_e32 v[106:107], s[28:29], v[104:105]
	v_add_nc_u64_e32 v[104:105], s[24:25], v[104:105]
	global_store_b64 v[106:107], v[70:71], off
	s_wait_loadcnt 0x0
	global_store_b64 v[104:105], v[102:103], off
	s_wait_xcnt 0x0
	s_or_b32 exec_lo, exec_lo, s6
	s_and_saveexec_b32 s6, s89
	s_cbranch_execz .LBB246_87
.LBB246_138:                            ;   in Loop: Header=BB246_21 Depth=1
	v_add_nc_u64_e32 v[102:103], 0x400, v[100:101]
	v_add_nc_u64_e32 v[104:105], 0x600, v[88:89]
	s_delay_alu instid0(VALU_DEP_1) | instskip(SKIP_3) | instid1(VALU_DEP_1)
	v_dual_cndmask_b32 v103, v105, v103 :: v_dual_cndmask_b32 v102, v104, v102
	v_dual_mov_b32 v104, v98 :: v_dual_add_nc_u32 v105, 0x80, v99
	global_load_b64 v[102:103], v[102:103], off
	v_ashrrev_i64 v[104:105], 29, v[104:105]
	v_add_nc_u64_e32 v[106:107], s[28:29], v[104:105]
	v_add_nc_u64_e32 v[104:105], s[24:25], v[104:105]
	global_store_b64 v[106:107], v[72:73], off
	s_wait_loadcnt 0x0
	global_store_b64 v[104:105], v[102:103], off
	s_wait_xcnt 0x0
	s_or_b32 exec_lo, exec_lo, s6
	s_and_saveexec_b32 s6, s90
	s_cbranch_execz .LBB246_88
.LBB246_139:                            ;   in Loop: Header=BB246_21 Depth=1
	v_add_nc_u64_e32 v[102:103], 0x500, v[100:101]
	v_add_nc_u64_e32 v[104:105], 0x600, v[92:93]
	s_delay_alu instid0(VALU_DEP_1) | instskip(SKIP_3) | instid1(VALU_DEP_1)
	v_dual_cndmask_b32 v103, v105, v103 :: v_dual_cndmask_b32 v102, v104, v102
	v_dual_mov_b32 v104, v98 :: v_dual_add_nc_u32 v105, 0xa0, v99
	global_load_b64 v[102:103], v[102:103], off
	v_ashrrev_i64 v[104:105], 29, v[104:105]
	v_add_nc_u64_e32 v[106:107], s[28:29], v[104:105]
	v_add_nc_u64_e32 v[104:105], s[24:25], v[104:105]
	global_store_b64 v[106:107], v[74:75], off
	s_wait_loadcnt 0x0
	global_store_b64 v[104:105], v[102:103], off
	s_wait_xcnt 0x0
	s_or_b32 exec_lo, exec_lo, s6
	s_and_saveexec_b32 s6, s91
	s_cbranch_execz .LBB246_89
.LBB246_140:                            ;   in Loop: Header=BB246_21 Depth=1
	v_dual_cndmask_b32 v103, v95, v101 :: v_dual_cndmask_b32 v102, v94, v100
	v_dual_mov_b32 v104, v98 :: v_dual_add_nc_u32 v105, 0xc0, v99
	global_load_b64 v[102:103], v[102:103], off offset:1536
	v_ashrrev_i64 v[104:105], 29, v[104:105]
	s_delay_alu instid0(VALU_DEP_1)
	v_add_nc_u64_e32 v[106:107], s[28:29], v[104:105]
	v_add_nc_u64_e32 v[104:105], s[24:25], v[104:105]
	global_store_b64 v[106:107], v[78:79], off
	s_wait_loadcnt 0x0
	global_store_b64 v[104:105], v[102:103], off
	s_wait_xcnt 0x0
	s_or_b32 exec_lo, exec_lo, s6
	s_and_saveexec_b32 s6, s8
	s_cbranch_execnz .LBB246_90
	s_branch .LBB246_91
.LBB246_141:                            ;   in Loop: Header=BB246_21 Depth=1
	v_add_nc_u64_e32 v[90:91], 0x700, v[90:91]
	s_delay_alu instid0(VALU_DEP_3) | instskip(NEXT) | instid1(VALU_DEP_2)
	v_ashrrev_i64 v[102:103], 29, v[98:99]
	v_dual_cndmask_b32 v91, v91, v101 :: v_dual_cndmask_b32 v90, v90, v100
	s_delay_alu instid0(VALU_DEP_2)
	v_add_nc_u64_e32 v[104:105], s[28:29], v[102:103]
	v_add_nc_u64_e32 v[102:103], s[24:25], v[102:103]
	global_load_b64 v[90:91], v[90:91], off
	global_store_b64 v[104:105], v[76:77], off
	s_wait_loadcnt 0x0
	global_store_b64 v[102:103], v[90:91], off
	s_wait_xcnt 0x0
	s_or_b32 exec_lo, exec_lo, s6
	s_and_saveexec_b32 s6, s93
	s_cbranch_execz .LBB246_93
.LBB246_142:                            ;   in Loop: Header=BB246_21 Depth=1
	s_delay_alu instid0(VALU_DEP_1) | instskip(SKIP_1) | instid1(VALU_DEP_1)
	v_add_nc_u64_e32 v[76:77], 0x100, v[100:101]
	v_add_nc_u64_e32 v[82:83], 0x700, v[82:83]
	v_dual_cndmask_b32 v77, v83, v77 :: v_dual_cndmask_b32 v76, v82, v76
	v_dual_mov_b32 v82, v98 :: v_dual_add_nc_u32 v83, 32, v99
	global_load_b64 v[76:77], v[76:77], off
	v_ashrrev_i64 v[82:83], 29, v[82:83]
	s_delay_alu instid0(VALU_DEP_1)
	v_add_nc_u64_e32 v[90:91], s[28:29], v[82:83]
	v_add_nc_u64_e32 v[82:83], s[24:25], v[82:83]
	global_store_b64 v[90:91], v[66:67], off
	s_wait_loadcnt 0x0
	global_store_b64 v[82:83], v[76:77], off
	s_wait_xcnt 0x0
	s_or_b32 exec_lo, exec_lo, s6
	s_and_saveexec_b32 s6, s10
	s_cbranch_execz .LBB246_94
.LBB246_143:                            ;   in Loop: Header=BB246_21 Depth=1
	v_add_nc_u64_e32 v[66:67], 0x200, v[100:101]
	v_add_nc_u64_e32 v[76:77], 0x700, v[84:85]
	s_delay_alu instid0(VALU_DEP_1) | instskip(SKIP_3) | instid1(VALU_DEP_1)
	v_dual_cndmask_b32 v67, v77, v67 :: v_dual_cndmask_b32 v66, v76, v66
	v_dual_mov_b32 v76, v98 :: v_dual_add_nc_u32 v77, 64, v99
	global_load_b64 v[66:67], v[66:67], off
	v_ashrrev_i64 v[76:77], 29, v[76:77]
	v_add_nc_u64_e32 v[82:83], s[28:29], v[76:77]
	v_add_nc_u64_e32 v[76:77], s[24:25], v[76:77]
	global_store_b64 v[82:83], v[68:69], off
	s_wait_loadcnt 0x0
	global_store_b64 v[76:77], v[66:67], off
	s_wait_xcnt 0x0
	s_or_b32 exec_lo, exec_lo, s6
	s_and_saveexec_b32 s6, s11
	s_cbranch_execz .LBB246_95
.LBB246_144:                            ;   in Loop: Header=BB246_21 Depth=1
	v_add_nc_u64_e32 v[66:67], 0x300, v[100:101]
	v_add_nc_u64_e32 v[68:69], 0x700, v[86:87]
	s_delay_alu instid0(VALU_DEP_1) | instskip(SKIP_3) | instid1(VALU_DEP_1)
	v_dual_cndmask_b32 v67, v69, v67 :: v_dual_cndmask_b32 v66, v68, v66
	v_dual_mov_b32 v68, v98 :: v_dual_add_nc_u32 v69, 0x60, v99
	global_load_b64 v[66:67], v[66:67], off
	v_ashrrev_i64 v[68:69], 29, v[68:69]
	v_add_nc_u64_e32 v[76:77], s[28:29], v[68:69]
	v_add_nc_u64_e32 v[68:69], s[24:25], v[68:69]
	global_store_b64 v[76:77], v[70:71], off
	s_wait_loadcnt 0x0
	global_store_b64 v[68:69], v[66:67], off
	s_wait_xcnt 0x0
	s_or_b32 exec_lo, exec_lo, s6
	s_and_saveexec_b32 s6, s12
	s_cbranch_execz .LBB246_96
.LBB246_145:                            ;   in Loop: Header=BB246_21 Depth=1
	v_add_nc_u64_e32 v[66:67], 0x400, v[100:101]
	v_add_nc_u64_e32 v[68:69], 0x700, v[88:89]
	s_delay_alu instid0(VALU_DEP_1) | instskip(SKIP_3) | instid1(VALU_DEP_1)
	v_dual_cndmask_b32 v67, v69, v67 :: v_dual_cndmask_b32 v66, v68, v66
	v_dual_mov_b32 v68, v98 :: v_dual_add_nc_u32 v69, 0x80, v99
	global_load_b64 v[66:67], v[66:67], off
	v_ashrrev_i64 v[68:69], 29, v[68:69]
	v_add_nc_u64_e32 v[70:71], s[28:29], v[68:69]
	v_add_nc_u64_e32 v[68:69], s[24:25], v[68:69]
	global_store_b64 v[70:71], v[72:73], off
	s_wait_loadcnt 0x0
	global_store_b64 v[68:69], v[66:67], off
	s_wait_xcnt 0x0
	s_or_b32 exec_lo, exec_lo, s6
	s_and_saveexec_b32 s6, s13
	s_cbranch_execz .LBB246_97
.LBB246_146:                            ;   in Loop: Header=BB246_21 Depth=1
	v_add_nc_u64_e32 v[66:67], 0x500, v[100:101]
	v_add_nc_u64_e32 v[68:69], 0x700, v[92:93]
	s_delay_alu instid0(VALU_DEP_1) | instskip(SKIP_3) | instid1(VALU_DEP_1)
	v_dual_cndmask_b32 v67, v69, v67 :: v_dual_cndmask_b32 v66, v68, v66
	v_dual_mov_b32 v68, v98 :: v_dual_add_nc_u32 v69, 0xa0, v99
	global_load_b64 v[66:67], v[66:67], off
	v_ashrrev_i64 v[68:69], 29, v[68:69]
	v_add_nc_u64_e32 v[70:71], s[28:29], v[68:69]
	v_add_nc_u64_e32 v[68:69], s[24:25], v[68:69]
	global_store_b64 v[70:71], v[74:75], off
	s_wait_loadcnt 0x0
	global_store_b64 v[68:69], v[66:67], off
	s_wait_xcnt 0x0
	s_or_b32 exec_lo, exec_lo, s6
	s_and_saveexec_b32 s6, s14
	s_cbranch_execz .LBB246_98
.LBB246_147:                            ;   in Loop: Header=BB246_21 Depth=1
	v_add_nc_u64_e32 v[66:67], 0x600, v[100:101]
	v_add_nc_u64_e32 v[68:69], 0x700, v[94:95]
	s_delay_alu instid0(VALU_DEP_1) | instskip(SKIP_3) | instid1(VALU_DEP_1)
	v_dual_cndmask_b32 v67, v69, v67 :: v_dual_cndmask_b32 v66, v68, v66
	v_dual_mov_b32 v68, v98 :: v_dual_add_nc_u32 v69, 0xc0, v99
	global_load_b64 v[66:67], v[66:67], off
	v_ashrrev_i64 v[68:69], 29, v[68:69]
	v_add_nc_u64_e32 v[70:71], s[28:29], v[68:69]
	v_add_nc_u64_e32 v[68:69], s[24:25], v[68:69]
	global_store_b64 v[70:71], v[78:79], off
	s_wait_loadcnt 0x0
	global_store_b64 v[68:69], v[66:67], off
	s_wait_xcnt 0x0
	s_or_b32 exec_lo, exec_lo, s6
	s_and_saveexec_b32 s6, s9
	s_cbranch_execz .LBB246_20
.LBB246_148:                            ;   in Loop: Header=BB246_21 Depth=1
	v_dual_cndmask_b32 v67, v97, v101 :: v_dual_cndmask_b32 v66, v96, v100
	v_add_nc_u32_e32 v99, 0xe0, v99
	global_load_b64 v[66:67], v[66:67], off offset:1792
	v_ashrrev_i64 v[68:69], 29, v[98:99]
	s_delay_alu instid0(VALU_DEP_1)
	v_add_nc_u64_e32 v[70:71], s[28:29], v[68:69]
	v_add_nc_u64_e32 v[68:69], s[24:25], v[68:69]
	global_store_b64 v[70:71], v[80:81], off
	s_wait_loadcnt 0x0
	global_store_b64 v[68:69], v[66:67], off
	s_branch .LBB246_20
.LBB246_149:
	s_sendmsg sendmsg(MSG_DEALLOC_VGPRS)
	s_endpgm
	.section	.rodata,"a",@progbits
	.p2align	6, 0x0
	.amdhsa_kernel _ZN9rocsparseL35bsr2csr_block_per_row_33_256_kernelILj1024ELj256ELj32EdilEEv20rocsparse_direction_T4_S2_21rocsparse_index_base_PKT2_PKT3_PKS2_S2_S3_PS4_PS7_PS2_
		.amdhsa_group_segment_fixed_size 0
		.amdhsa_private_segment_fixed_size 0
		.amdhsa_kernarg_size 96
		.amdhsa_user_sgpr_count 2
		.amdhsa_user_sgpr_dispatch_ptr 0
		.amdhsa_user_sgpr_queue_ptr 0
		.amdhsa_user_sgpr_kernarg_segment_ptr 1
		.amdhsa_user_sgpr_dispatch_id 0
		.amdhsa_user_sgpr_kernarg_preload_length 0
		.amdhsa_user_sgpr_kernarg_preload_offset 0
		.amdhsa_user_sgpr_private_segment_size 0
		.amdhsa_wavefront_size32 1
		.amdhsa_uses_dynamic_stack 0
		.amdhsa_enable_private_segment 0
		.amdhsa_system_sgpr_workgroup_id_x 1
		.amdhsa_system_sgpr_workgroup_id_y 0
		.amdhsa_system_sgpr_workgroup_id_z 0
		.amdhsa_system_sgpr_workgroup_info 0
		.amdhsa_system_vgpr_workitem_id 0
		.amdhsa_next_free_vgpr 108
		.amdhsa_next_free_sgpr 95
		.amdhsa_named_barrier_count 0
		.amdhsa_reserve_vcc 1
		.amdhsa_float_round_mode_32 0
		.amdhsa_float_round_mode_16_64 0
		.amdhsa_float_denorm_mode_32 3
		.amdhsa_float_denorm_mode_16_64 3
		.amdhsa_fp16_overflow 0
		.amdhsa_memory_ordered 1
		.amdhsa_forward_progress 1
		.amdhsa_inst_pref_size 76
		.amdhsa_round_robin_scheduling 0
		.amdhsa_exception_fp_ieee_invalid_op 0
		.amdhsa_exception_fp_denorm_src 0
		.amdhsa_exception_fp_ieee_div_zero 0
		.amdhsa_exception_fp_ieee_overflow 0
		.amdhsa_exception_fp_ieee_underflow 0
		.amdhsa_exception_fp_ieee_inexact 0
		.amdhsa_exception_int_div_zero 0
	.end_amdhsa_kernel
	.section	.text._ZN9rocsparseL35bsr2csr_block_per_row_33_256_kernelILj1024ELj256ELj32EdilEEv20rocsparse_direction_T4_S2_21rocsparse_index_base_PKT2_PKT3_PKS2_S2_S3_PS4_PS7_PS2_,"axG",@progbits,_ZN9rocsparseL35bsr2csr_block_per_row_33_256_kernelILj1024ELj256ELj32EdilEEv20rocsparse_direction_T4_S2_21rocsparse_index_base_PKT2_PKT3_PKS2_S2_S3_PS4_PS7_PS2_,comdat
.Lfunc_end246:
	.size	_ZN9rocsparseL35bsr2csr_block_per_row_33_256_kernelILj1024ELj256ELj32EdilEEv20rocsparse_direction_T4_S2_21rocsparse_index_base_PKT2_PKT3_PKS2_S2_S3_PS4_PS7_PS2_, .Lfunc_end246-_ZN9rocsparseL35bsr2csr_block_per_row_33_256_kernelILj1024ELj256ELj32EdilEEv20rocsparse_direction_T4_S2_21rocsparse_index_base_PKT2_PKT3_PKS2_S2_S3_PS4_PS7_PS2_
                                        ; -- End function
	.set _ZN9rocsparseL35bsr2csr_block_per_row_33_256_kernelILj1024ELj256ELj32EdilEEv20rocsparse_direction_T4_S2_21rocsparse_index_base_PKT2_PKT3_PKS2_S2_S3_PS4_PS7_PS2_.num_vgpr, 108
	.set _ZN9rocsparseL35bsr2csr_block_per_row_33_256_kernelILj1024ELj256ELj32EdilEEv20rocsparse_direction_T4_S2_21rocsparse_index_base_PKT2_PKT3_PKS2_S2_S3_PS4_PS7_PS2_.num_agpr, 0
	.set _ZN9rocsparseL35bsr2csr_block_per_row_33_256_kernelILj1024ELj256ELj32EdilEEv20rocsparse_direction_T4_S2_21rocsparse_index_base_PKT2_PKT3_PKS2_S2_S3_PS4_PS7_PS2_.numbered_sgpr, 95
	.set _ZN9rocsparseL35bsr2csr_block_per_row_33_256_kernelILj1024ELj256ELj32EdilEEv20rocsparse_direction_T4_S2_21rocsparse_index_base_PKT2_PKT3_PKS2_S2_S3_PS4_PS7_PS2_.num_named_barrier, 0
	.set _ZN9rocsparseL35bsr2csr_block_per_row_33_256_kernelILj1024ELj256ELj32EdilEEv20rocsparse_direction_T4_S2_21rocsparse_index_base_PKT2_PKT3_PKS2_S2_S3_PS4_PS7_PS2_.private_seg_size, 0
	.set _ZN9rocsparseL35bsr2csr_block_per_row_33_256_kernelILj1024ELj256ELj32EdilEEv20rocsparse_direction_T4_S2_21rocsparse_index_base_PKT2_PKT3_PKS2_S2_S3_PS4_PS7_PS2_.uses_vcc, 1
	.set _ZN9rocsparseL35bsr2csr_block_per_row_33_256_kernelILj1024ELj256ELj32EdilEEv20rocsparse_direction_T4_S2_21rocsparse_index_base_PKT2_PKT3_PKS2_S2_S3_PS4_PS7_PS2_.uses_flat_scratch, 0
	.set _ZN9rocsparseL35bsr2csr_block_per_row_33_256_kernelILj1024ELj256ELj32EdilEEv20rocsparse_direction_T4_S2_21rocsparse_index_base_PKT2_PKT3_PKS2_S2_S3_PS4_PS7_PS2_.has_dyn_sized_stack, 0
	.set _ZN9rocsparseL35bsr2csr_block_per_row_33_256_kernelILj1024ELj256ELj32EdilEEv20rocsparse_direction_T4_S2_21rocsparse_index_base_PKT2_PKT3_PKS2_S2_S3_PS4_PS7_PS2_.has_recursion, 0
	.set _ZN9rocsparseL35bsr2csr_block_per_row_33_256_kernelILj1024ELj256ELj32EdilEEv20rocsparse_direction_T4_S2_21rocsparse_index_base_PKT2_PKT3_PKS2_S2_S3_PS4_PS7_PS2_.has_indirect_call, 0
	.section	.AMDGPU.csdata,"",@progbits
; Kernel info:
; codeLenInByte = 9616
; TotalNumSgprs: 97
; NumVgprs: 108
; ScratchSize: 0
; MemoryBound: 0
; FloatMode: 240
; IeeeMode: 1
; LDSByteSize: 0 bytes/workgroup (compile time only)
; SGPRBlocks: 0
; VGPRBlocks: 6
; NumSGPRsForWavesPerEU: 97
; NumVGPRsForWavesPerEU: 108
; NamedBarCnt: 0
; Occupancy: 9
; WaveLimiterHint : 1
; COMPUTE_PGM_RSRC2:SCRATCH_EN: 0
; COMPUTE_PGM_RSRC2:USER_SGPR: 2
; COMPUTE_PGM_RSRC2:TRAP_HANDLER: 0
; COMPUTE_PGM_RSRC2:TGID_X_EN: 1
; COMPUTE_PGM_RSRC2:TGID_Y_EN: 0
; COMPUTE_PGM_RSRC2:TGID_Z_EN: 0
; COMPUTE_PGM_RSRC2:TIDIG_COMP_CNT: 0
	.section	.text._ZN9rocsparseL35bsr2csr_block_dim_equals_one_kernelILj1024EdllEEvT2_S1_21rocsparse_index_base_PKT0_PKT1_PKS1_S2_PS3_PS6_PS1_,"axG",@progbits,_ZN9rocsparseL35bsr2csr_block_dim_equals_one_kernelILj1024EdllEEvT2_S1_21rocsparse_index_base_PKT0_PKT1_PKS1_S2_PS3_PS6_PS1_,comdat
	.globl	_ZN9rocsparseL35bsr2csr_block_dim_equals_one_kernelILj1024EdllEEvT2_S1_21rocsparse_index_base_PKT0_PKT1_PKS1_S2_PS3_PS6_PS1_ ; -- Begin function _ZN9rocsparseL35bsr2csr_block_dim_equals_one_kernelILj1024EdllEEvT2_S1_21rocsparse_index_base_PKT0_PKT1_PKS1_S2_PS3_PS6_PS1_
	.p2align	8
	.type	_ZN9rocsparseL35bsr2csr_block_dim_equals_one_kernelILj1024EdllEEvT2_S1_21rocsparse_index_base_PKT0_PKT1_PKS1_S2_PS3_PS6_PS1_,@function
_ZN9rocsparseL35bsr2csr_block_dim_equals_one_kernelILj1024EdllEEvT2_S1_21rocsparse_index_base_PKT0_PKT1_PKS1_S2_PS3_PS6_PS1_: ; @_ZN9rocsparseL35bsr2csr_block_dim_equals_one_kernelILj1024EdllEEvT2_S1_21rocsparse_index_base_PKT0_PKT1_PKS1_S2_PS3_PS6_PS1_
; %bb.0:
	s_clause 0x3
	s_load_b32 s2, s[0:1], 0x10
	s_load_b64 s[8:9], s[0:1], 0x20
	s_load_b32 s4, s[0:1], 0x30
	s_load_b64 s[6:7], s[0:1], 0x0
	s_bfe_u32 s3, ttmp6, 0x4000c
	s_and_b32 s5, ttmp6, 15
	s_add_co_i32 s3, s3, 1
	s_getreg_b32 s10, hwreg(HW_REG_IB_STS2, 6, 4)
	s_mul_i32 s3, ttmp9, s3
	v_mov_b32_e32 v1, 0
	s_add_co_i32 s5, s5, s3
	s_cmp_eq_u32 s10, 0
	s_mov_b32 s14, exec_lo
	s_cselect_b32 s3, ttmp9, s5
	s_delay_alu instid0(SALU_CYCLE_1) | instskip(SKIP_1) | instid1(VALU_DEP_1)
	v_lshl_or_b32 v0, s3, 10, v0
	s_wait_kmcnt 0x0
	v_cmpx_gt_i64_e64 s[6:7], v[0:1]
	s_cbranch_execz .LBB247_6
; %bb.1:
                                        ; implicit-def: $sgpr12_sgpr13
	s_mov_b32 s3, exec_lo
	v_cmpx_ne_u32_e32 0, v0
	s_xor_b32 s10, exec_lo, s3
; %bb.2:
	s_mov_b32 s3, 0
	s_delay_alu instid0(SALU_CYCLE_1) | instskip(NEXT) | instid1(SALU_CYCLE_1)
	s_mov_b32 s5, s3
	s_sub_nc_u64 s[12:13], s[4:5], s[2:3]
; %bb.3:
	s_or_saveexec_b32 s15, s10
	s_load_b64 s[10:11], s[0:1], 0x40
	v_mov_b64_e32 v[2:3], s[12:13]
	s_xor_b32 exec_lo, exec_lo, s15
	s_cbranch_execz .LBB247_5
; %bb.4:
	s_load_b64 s[12:13], s[8:9], 0x0
	s_mov_b32 s5, 0
	v_mov_b32_e32 v6, 0
	s_mov_b32 s3, s5
	s_delay_alu instid0(SALU_CYCLE_1) | instskip(NEXT) | instid1(SALU_CYCLE_1)
	s_sub_nc_u64 s[16:17], s[4:5], s[2:3]
	v_mov_b64_e32 v[2:3], s[16:17]
	s_wait_kmcnt 0x0
	s_add_nc_u64 s[12:13], s[16:17], s[12:13]
	s_delay_alu instid0(SALU_CYCLE_1)
	v_mov_b64_e32 v[4:5], s[12:13]
	global_store_b64 v6, v[4:5], s[10:11]
.LBB247_5:
	s_wait_xcnt 0x0
	s_or_b32 exec_lo, exec_lo, s15
	v_lshlrev_b64_e32 v[4:5], 3, v[0:1]
	s_delay_alu instid0(VALU_DEP_1)
	v_add_nc_u64_e32 v[6:7], s[8:9], v[4:5]
	s_wait_kmcnt 0x0
	v_add_nc_u64_e32 v[4:5], s[10:11], v[4:5]
	global_load_b64 v[6:7], v[6:7], off offset:8
	s_wait_loadcnt 0x0
	v_add_nc_u64_e32 v[2:3], v[2:3], v[6:7]
	global_store_b64 v[4:5], v[2:3], off offset:8
.LBB247_6:
	s_wait_xcnt 0x0
	s_or_b32 exec_lo, exec_lo, s14
	s_lshl_b64 s[6:7], s[6:7], 3
	s_clause 0x3
	s_load_b64 s[10:11], s[0:1], 0x48
	s_load_b64 s[12:13], s[0:1], 0x18
	;; [unrolled: 1-line block ×4, first 2 shown]
	s_add_nc_u64 s[6:7], s[8:9], s[6:7]
	s_mov_b32 s3, exec_lo
	s_clause 0x1
	s_load_b64 s[18:19], s[6:7], 0x0
	s_load_b64 s[20:21], s[8:9], 0x0
	s_wait_kmcnt 0x0
	s_sub_nc_u64 s[6:7], s[18:19], s[20:21]
	s_delay_alu instid0(SALU_CYCLE_1)
	v_cmpx_gt_i64_e64 s[6:7], v[0:1]
	s_cbranch_execz .LBB247_9
; %bb.7:
	s_load_b32 s8, s[0:1], 0x50
	s_mov_b32 s3, 0
	v_lshlrev_b64_e32 v[2:3], 3, v[0:1]
	s_mov_b32 s5, s3
	s_wait_xcnt 0x0
	s_sub_nc_u64 s[0:1], s[4:5], s[2:3]
	s_wait_kmcnt 0x0
	s_lshl_b32 s2, s8, 10
	s_mov_b32 s8, s3
	s_lshl_b64 s[4:5], s[2:3], 3
.LBB247_8:                              ; =>This Inner Loop Header: Depth=1
	v_add_nc_u64_e32 v[4:5], s[14:15], v[2:3]
	v_add_nc_u64_e32 v[6:7], s[12:13], v[2:3]
	;; [unrolled: 1-line block ×3, first 2 shown]
	global_load_b64 v[8:9], v[4:5], off
	global_load_b64 v[10:11], v[6:7], off
	s_wait_xcnt 0x1
	v_add_nc_u64_e32 v[4:5], s[10:11], v[2:3]
	v_cmp_le_i64_e32 vcc_lo, s[6:7], v[0:1]
	s_wait_xcnt 0x0
	v_add_nc_u64_e32 v[6:7], s[16:17], v[2:3]
	v_add_nc_u64_e32 v[2:3], s[4:5], v[2:3]
	s_or_b32 s8, vcc_lo, s8
	s_wait_loadcnt 0x1
	v_add_nc_u64_e32 v[8:9], s[0:1], v[8:9]
	s_wait_loadcnt 0x0
	global_store_b64 v[6:7], v[10:11], off
	global_store_b64 v[4:5], v[8:9], off
	s_wait_xcnt 0x0
	s_and_not1_b32 exec_lo, exec_lo, s8
	s_cbranch_execnz .LBB247_8
.LBB247_9:
	s_endpgm
	.section	.rodata,"a",@progbits
	.p2align	6, 0x0
	.amdhsa_kernel _ZN9rocsparseL35bsr2csr_block_dim_equals_one_kernelILj1024EdllEEvT2_S1_21rocsparse_index_base_PKT0_PKT1_PKS1_S2_PS3_PS6_PS1_
		.amdhsa_group_segment_fixed_size 0
		.amdhsa_private_segment_fixed_size 0
		.amdhsa_kernarg_size 336
		.amdhsa_user_sgpr_count 2
		.amdhsa_user_sgpr_dispatch_ptr 0
		.amdhsa_user_sgpr_queue_ptr 0
		.amdhsa_user_sgpr_kernarg_segment_ptr 1
		.amdhsa_user_sgpr_dispatch_id 0
		.amdhsa_user_sgpr_kernarg_preload_length 0
		.amdhsa_user_sgpr_kernarg_preload_offset 0
		.amdhsa_user_sgpr_private_segment_size 0
		.amdhsa_wavefront_size32 1
		.amdhsa_uses_dynamic_stack 0
		.amdhsa_enable_private_segment 0
		.amdhsa_system_sgpr_workgroup_id_x 1
		.amdhsa_system_sgpr_workgroup_id_y 0
		.amdhsa_system_sgpr_workgroup_id_z 0
		.amdhsa_system_sgpr_workgroup_info 0
		.amdhsa_system_vgpr_workitem_id 0
		.amdhsa_next_free_vgpr 12
		.amdhsa_next_free_sgpr 22
		.amdhsa_named_barrier_count 0
		.amdhsa_reserve_vcc 1
		.amdhsa_float_round_mode_32 0
		.amdhsa_float_round_mode_16_64 0
		.amdhsa_float_denorm_mode_32 3
		.amdhsa_float_denorm_mode_16_64 3
		.amdhsa_fp16_overflow 0
		.amdhsa_memory_ordered 1
		.amdhsa_forward_progress 1
		.amdhsa_inst_pref_size 5
		.amdhsa_round_robin_scheduling 0
		.amdhsa_exception_fp_ieee_invalid_op 0
		.amdhsa_exception_fp_denorm_src 0
		.amdhsa_exception_fp_ieee_div_zero 0
		.amdhsa_exception_fp_ieee_overflow 0
		.amdhsa_exception_fp_ieee_underflow 0
		.amdhsa_exception_fp_ieee_inexact 0
		.amdhsa_exception_int_div_zero 0
	.end_amdhsa_kernel
	.section	.text._ZN9rocsparseL35bsr2csr_block_dim_equals_one_kernelILj1024EdllEEvT2_S1_21rocsparse_index_base_PKT0_PKT1_PKS1_S2_PS3_PS6_PS1_,"axG",@progbits,_ZN9rocsparseL35bsr2csr_block_dim_equals_one_kernelILj1024EdllEEvT2_S1_21rocsparse_index_base_PKT0_PKT1_PKS1_S2_PS3_PS6_PS1_,comdat
.Lfunc_end247:
	.size	_ZN9rocsparseL35bsr2csr_block_dim_equals_one_kernelILj1024EdllEEvT2_S1_21rocsparse_index_base_PKT0_PKT1_PKS1_S2_PS3_PS6_PS1_, .Lfunc_end247-_ZN9rocsparseL35bsr2csr_block_dim_equals_one_kernelILj1024EdllEEvT2_S1_21rocsparse_index_base_PKT0_PKT1_PKS1_S2_PS3_PS6_PS1_
                                        ; -- End function
	.set _ZN9rocsparseL35bsr2csr_block_dim_equals_one_kernelILj1024EdllEEvT2_S1_21rocsparse_index_base_PKT0_PKT1_PKS1_S2_PS3_PS6_PS1_.num_vgpr, 12
	.set _ZN9rocsparseL35bsr2csr_block_dim_equals_one_kernelILj1024EdllEEvT2_S1_21rocsparse_index_base_PKT0_PKT1_PKS1_S2_PS3_PS6_PS1_.num_agpr, 0
	.set _ZN9rocsparseL35bsr2csr_block_dim_equals_one_kernelILj1024EdllEEvT2_S1_21rocsparse_index_base_PKT0_PKT1_PKS1_S2_PS3_PS6_PS1_.numbered_sgpr, 22
	.set _ZN9rocsparseL35bsr2csr_block_dim_equals_one_kernelILj1024EdllEEvT2_S1_21rocsparse_index_base_PKT0_PKT1_PKS1_S2_PS3_PS6_PS1_.num_named_barrier, 0
	.set _ZN9rocsparseL35bsr2csr_block_dim_equals_one_kernelILj1024EdllEEvT2_S1_21rocsparse_index_base_PKT0_PKT1_PKS1_S2_PS3_PS6_PS1_.private_seg_size, 0
	.set _ZN9rocsparseL35bsr2csr_block_dim_equals_one_kernelILj1024EdllEEvT2_S1_21rocsparse_index_base_PKT0_PKT1_PKS1_S2_PS3_PS6_PS1_.uses_vcc, 1
	.set _ZN9rocsparseL35bsr2csr_block_dim_equals_one_kernelILj1024EdllEEvT2_S1_21rocsparse_index_base_PKT0_PKT1_PKS1_S2_PS3_PS6_PS1_.uses_flat_scratch, 0
	.set _ZN9rocsparseL35bsr2csr_block_dim_equals_one_kernelILj1024EdllEEvT2_S1_21rocsparse_index_base_PKT0_PKT1_PKS1_S2_PS3_PS6_PS1_.has_dyn_sized_stack, 0
	.set _ZN9rocsparseL35bsr2csr_block_dim_equals_one_kernelILj1024EdllEEvT2_S1_21rocsparse_index_base_PKT0_PKT1_PKS1_S2_PS3_PS6_PS1_.has_recursion, 0
	.set _ZN9rocsparseL35bsr2csr_block_dim_equals_one_kernelILj1024EdllEEvT2_S1_21rocsparse_index_base_PKT0_PKT1_PKS1_S2_PS3_PS6_PS1_.has_indirect_call, 0
	.section	.AMDGPU.csdata,"",@progbits
; Kernel info:
; codeLenInByte = 540
; TotalNumSgprs: 24
; NumVgprs: 12
; ScratchSize: 0
; MemoryBound: 0
; FloatMode: 240
; IeeeMode: 1
; LDSByteSize: 0 bytes/workgroup (compile time only)
; SGPRBlocks: 0
; VGPRBlocks: 0
; NumSGPRsForWavesPerEU: 24
; NumVGPRsForWavesPerEU: 12
; NamedBarCnt: 0
; Occupancy: 16
; WaveLimiterHint : 0
; COMPUTE_PGM_RSRC2:SCRATCH_EN: 0
; COMPUTE_PGM_RSRC2:USER_SGPR: 2
; COMPUTE_PGM_RSRC2:TRAP_HANDLER: 0
; COMPUTE_PGM_RSRC2:TGID_X_EN: 1
; COMPUTE_PGM_RSRC2:TGID_Y_EN: 0
; COMPUTE_PGM_RSRC2:TGID_Z_EN: 0
; COMPUTE_PGM_RSRC2:TIDIG_COMP_CNT: 0
	.section	.text._ZN9rocsparseL32bsr2csr_block_per_row_2_7_kernelILj256ELj2EdllEEv20rocsparse_direction_T3_S2_21rocsparse_index_base_PKT1_PKT2_PKS2_S2_S3_PS4_PS7_PS2_,"axG",@progbits,_ZN9rocsparseL32bsr2csr_block_per_row_2_7_kernelILj256ELj2EdllEEv20rocsparse_direction_T3_S2_21rocsparse_index_base_PKT1_PKT2_PKS2_S2_S3_PS4_PS7_PS2_,comdat
	.globl	_ZN9rocsparseL32bsr2csr_block_per_row_2_7_kernelILj256ELj2EdllEEv20rocsparse_direction_T3_S2_21rocsparse_index_base_PKT1_PKT2_PKS2_S2_S3_PS4_PS7_PS2_ ; -- Begin function _ZN9rocsparseL32bsr2csr_block_per_row_2_7_kernelILj256ELj2EdllEEv20rocsparse_direction_T3_S2_21rocsparse_index_base_PKT1_PKT2_PKS2_S2_S3_PS4_PS7_PS2_
	.p2align	8
	.type	_ZN9rocsparseL32bsr2csr_block_per_row_2_7_kernelILj256ELj2EdllEEv20rocsparse_direction_T3_S2_21rocsparse_index_base_PKT1_PKT2_PKS2_S2_S3_PS4_PS7_PS2_,@function
_ZN9rocsparseL32bsr2csr_block_per_row_2_7_kernelILj256ELj2EdllEEv20rocsparse_direction_T3_S2_21rocsparse_index_base_PKT1_PKT2_PKS2_S2_S3_PS4_PS7_PS2_: ; @_ZN9rocsparseL32bsr2csr_block_per_row_2_7_kernelILj256ELj2EdllEEv20rocsparse_direction_T3_S2_21rocsparse_index_base_PKT1_PKT2_PKS2_S2_S3_PS4_PS7_PS2_
; %bb.0:
	s_load_b64 s[4:5], s[0:1], 0x28
	s_bfe_u32 s2, ttmp6, 0x4000c
	s_and_b32 s3, ttmp6, 15
	s_add_co_i32 s2, s2, 1
	s_getreg_b32 s6, hwreg(HW_REG_IB_STS2, 6, 4)
	s_mul_i32 s2, ttmp9, s2
	s_clause 0x1
	s_load_b32 s8, s[0:1], 0x40
	s_load_b64 s[12:13], s[0:1], 0x50
	s_add_co_i32 s2, s3, s2
	s_cmp_eq_u32 s6, 0
	s_mov_b32 s3, 0
	s_cselect_b32 s10, ttmp9, s2
	s_mov_b32 s11, s3
	v_or_b32_e32 v1, s10, v0
	s_lshl_b64 s[6:7], s[10:11], 3
	s_mov_b32 s9, s3
	s_mov_b32 s2, exec_lo
	s_wait_kmcnt 0x0
	s_add_nc_u64 s[14:15], s[4:5], s[6:7]
	s_load_b128 s[4:7], s[14:15], 0x0
	v_cmpx_eq_u32_e32 0, v1
	s_cbranch_execz .LBB248_2
; %bb.1:
	v_mov_b64_e32 v[2:3], s[8:9]
	v_mov_b32_e32 v1, 0
	global_store_b64 v1, v[2:3], s[12:13]
.LBB248_2:
	s_wait_xcnt 0x0
	s_or_b32 exec_lo, exec_lo, s2
	s_load_b32 s2, s[0:1], 0x18
	v_dual_mov_b32 v3, 0 :: v_dual_bitop2_b32 v2, 1, v0 bitop3:0x40
	v_lshrrev_b32_e32 v6, 1, v0
	s_lshl_b64 s[10:11], s[10:11], 4
	s_delay_alu instid0(SALU_CYCLE_1) | instskip(NEXT) | instid1(VALU_DEP_2)
	s_add_nc_u64 s[10:11], s[12:13], s[10:11]
	v_mov_b32_e32 v7, v3
	s_wait_kmcnt 0x0
	s_sub_nc_u64 s[14:15], s[4:5], s[2:3]
	s_sub_nc_u64 s[6:7], s[6:7], s[2:3]
	s_delay_alu instid0(VALU_DEP_1) | instskip(SKIP_3) | instid1(SALU_CYCLE_1)
	v_add_nc_u64_e32 v[0:1], s[14:15], v[6:7]
	s_sub_nc_u64 s[16:17], s[6:7], s[14:15]
	s_lshl_b64 s[14:15], s[14:15], 2
	s_lshl_b64 s[16:17], s[16:17], 1
	v_mul_u64_e32 v[4:5], s[16:17], v[2:3]
	s_add_nc_u64 s[16:17], s[16:17], s[8:9]
	s_delay_alu instid0(SALU_CYCLE_1)
	s_add_nc_u64 s[14:15], s[16:17], s[14:15]
	s_delay_alu instid0(VALU_DEP_1) | instid1(SALU_CYCLE_1)
	v_add_nc_u64_e32 v[8:9], s[14:15], v[4:5]
	global_store_b64 v2, v[8:9], s[10:11] offset:8 scale_offset
	s_wait_xcnt 0x0
	s_mov_b32 s10, exec_lo
	v_cmpx_gt_i64_e64 s[6:7], v[0:1]
	s_cbranch_execz .LBB248_5
; %bb.3:
	s_clause 0x2
	s_load_b64 s[10:11], s[0:1], 0x30
	s_load_b64 s[12:13], s[0:1], 0x48
	s_load_b32 s16, s[0:1], 0x0
	v_lshl_add_u64 v[4:5], s[4:5], 2, v[4:5]
	v_dual_mov_b32 v7, v3 :: v_dual_lshlrev_b32 v6, 1, v6
	s_clause 0x1
	s_load_b64 s[4:5], s[0:1], 0x20
	s_load_b64 s[14:15], s[0:1], 0x58
	s_delay_alu instid0(VALU_DEP_1)
	v_add_nc_u64_e32 v[4:5], v[4:5], v[6:7]
	v_lshlrev_b64_e32 v[6:7], 5, v[0:1]
	s_wait_kmcnt 0x0
	v_lshl_add_u64 v[12:13], v[0:1], 3, s[10:11]
	s_cmp_eq_u32 s16, 0
	s_cselect_b32 vcc_lo, -1, 0
	s_lshl_b64 s[0:1], s[2:3], 2
	s_delay_alu instid0(VALU_DEP_2) | instskip(SKIP_2) | instid1(VALU_DEP_1)
	v_add_nc_u64_e32 v[6:7], s[4:5], v[6:7]
	v_sub_nc_u64_e64 v[4:5], v[4:5], s[0:1]
	s_mov_b32 s1, 0
	v_lshl_add_u64 v[10:11], v[4:5], 3, 8
	v_dual_mov_b32 v5, v3 :: v_dual_lshlrev_b32 v4, 3, v2
	v_lshlrev_b32_e32 v2, 4, v2
	s_delay_alu instid0(VALU_DEP_3)
	v_add_nc_u64_e32 v[8:9], s[12:13], v[10:11]
	v_add_nc_u64_e32 v[10:11], s[14:15], v[10:11]
.LBB248_4:                              ; =>This Inner Loop Header: Depth=1
	global_load_b64 v[18:19], v[12:13], off
	v_add_nc_u64_e32 v[14:15], v[6:7], v[2:3]
	v_add_nc_u64_e32 v[16:17], v[6:7], v[4:5]
	;; [unrolled: 1-line block ×3, first 2 shown]
	s_wait_xcnt 0x0
	v_add_nc_u64_e32 v[12:13], 0x400, v[12:13]
	v_add_nc_u64_e32 v[6:7], 0x1000, v[6:7]
	v_add_nc_u64_e32 v[20:21], 8, v[14:15]
	v_add_nc_u64_e32 v[22:23], 16, v[16:17]
	v_dual_cndmask_b32 v25, v17, v15 :: v_dual_cndmask_b32 v24, v16, v14
	v_cmp_le_i64_e64 s0, s[6:7], v[0:1]
	s_delay_alu instid0(VALU_DEP_3)
	v_dual_cndmask_b32 v21, v23, v21 :: v_dual_cndmask_b32 v20, v22, v20
	global_load_b64 v[14:15], v[24:25], off
	global_load_b64 v[16:17], v[20:21], off
	s_or_b32 s1, s0, s1
	s_wait_loadcnt 0x2
	v_sub_nc_u64_e64 v[18:19], v[18:19], s[2:3]
	s_delay_alu instid0(VALU_DEP_1) | instskip(SKIP_1) | instid1(VALU_DEP_1)
	v_lshl_add_u64 v[18:19], v[18:19], 1, s[8:9]
	s_wait_xcnt 0x0
	v_add_nc_u64_e32 v[20:21], 1, v[18:19]
	global_store_b128 v[10:11], v[18:21], off offset:-8
	s_wait_loadcnt 0x0
	global_store_b128 v[8:9], v[14:17], off offset:-8
	s_wait_xcnt 0x0
	v_add_nc_u64_e32 v[8:9], 0x800, v[8:9]
	v_add_nc_u64_e32 v[10:11], 0x800, v[10:11]
	s_and_not1_b32 exec_lo, exec_lo, s1
	s_cbranch_execnz .LBB248_4
.LBB248_5:
	s_endpgm
	.section	.rodata,"a",@progbits
	.p2align	6, 0x0
	.amdhsa_kernel _ZN9rocsparseL32bsr2csr_block_per_row_2_7_kernelILj256ELj2EdllEEv20rocsparse_direction_T3_S2_21rocsparse_index_base_PKT1_PKT2_PKS2_S2_S3_PS4_PS7_PS2_
		.amdhsa_group_segment_fixed_size 0
		.amdhsa_private_segment_fixed_size 0
		.amdhsa_kernarg_size 96
		.amdhsa_user_sgpr_count 2
		.amdhsa_user_sgpr_dispatch_ptr 0
		.amdhsa_user_sgpr_queue_ptr 0
		.amdhsa_user_sgpr_kernarg_segment_ptr 1
		.amdhsa_user_sgpr_dispatch_id 0
		.amdhsa_user_sgpr_kernarg_preload_length 0
		.amdhsa_user_sgpr_kernarg_preload_offset 0
		.amdhsa_user_sgpr_private_segment_size 0
		.amdhsa_wavefront_size32 1
		.amdhsa_uses_dynamic_stack 0
		.amdhsa_enable_private_segment 0
		.amdhsa_system_sgpr_workgroup_id_x 1
		.amdhsa_system_sgpr_workgroup_id_y 0
		.amdhsa_system_sgpr_workgroup_id_z 0
		.amdhsa_system_sgpr_workgroup_info 0
		.amdhsa_system_vgpr_workitem_id 0
		.amdhsa_next_free_vgpr 26
		.amdhsa_next_free_sgpr 18
		.amdhsa_named_barrier_count 0
		.amdhsa_reserve_vcc 1
		.amdhsa_float_round_mode_32 0
		.amdhsa_float_round_mode_16_64 0
		.amdhsa_float_denorm_mode_32 3
		.amdhsa_float_denorm_mode_16_64 3
		.amdhsa_fp16_overflow 0
		.amdhsa_memory_ordered 1
		.amdhsa_forward_progress 1
		.amdhsa_inst_pref_size 5
		.amdhsa_round_robin_scheduling 0
		.amdhsa_exception_fp_ieee_invalid_op 0
		.amdhsa_exception_fp_denorm_src 0
		.amdhsa_exception_fp_ieee_div_zero 0
		.amdhsa_exception_fp_ieee_overflow 0
		.amdhsa_exception_fp_ieee_underflow 0
		.amdhsa_exception_fp_ieee_inexact 0
		.amdhsa_exception_int_div_zero 0
	.end_amdhsa_kernel
	.section	.text._ZN9rocsparseL32bsr2csr_block_per_row_2_7_kernelILj256ELj2EdllEEv20rocsparse_direction_T3_S2_21rocsparse_index_base_PKT1_PKT2_PKS2_S2_S3_PS4_PS7_PS2_,"axG",@progbits,_ZN9rocsparseL32bsr2csr_block_per_row_2_7_kernelILj256ELj2EdllEEv20rocsparse_direction_T3_S2_21rocsparse_index_base_PKT1_PKT2_PKS2_S2_S3_PS4_PS7_PS2_,comdat
.Lfunc_end248:
	.size	_ZN9rocsparseL32bsr2csr_block_per_row_2_7_kernelILj256ELj2EdllEEv20rocsparse_direction_T3_S2_21rocsparse_index_base_PKT1_PKT2_PKS2_S2_S3_PS4_PS7_PS2_, .Lfunc_end248-_ZN9rocsparseL32bsr2csr_block_per_row_2_7_kernelILj256ELj2EdllEEv20rocsparse_direction_T3_S2_21rocsparse_index_base_PKT1_PKT2_PKS2_S2_S3_PS4_PS7_PS2_
                                        ; -- End function
	.set _ZN9rocsparseL32bsr2csr_block_per_row_2_7_kernelILj256ELj2EdllEEv20rocsparse_direction_T3_S2_21rocsparse_index_base_PKT1_PKT2_PKS2_S2_S3_PS4_PS7_PS2_.num_vgpr, 26
	.set _ZN9rocsparseL32bsr2csr_block_per_row_2_7_kernelILj256ELj2EdllEEv20rocsparse_direction_T3_S2_21rocsparse_index_base_PKT1_PKT2_PKS2_S2_S3_PS4_PS7_PS2_.num_agpr, 0
	.set _ZN9rocsparseL32bsr2csr_block_per_row_2_7_kernelILj256ELj2EdllEEv20rocsparse_direction_T3_S2_21rocsparse_index_base_PKT1_PKT2_PKS2_S2_S3_PS4_PS7_PS2_.numbered_sgpr, 18
	.set _ZN9rocsparseL32bsr2csr_block_per_row_2_7_kernelILj256ELj2EdllEEv20rocsparse_direction_T3_S2_21rocsparse_index_base_PKT1_PKT2_PKS2_S2_S3_PS4_PS7_PS2_.num_named_barrier, 0
	.set _ZN9rocsparseL32bsr2csr_block_per_row_2_7_kernelILj256ELj2EdllEEv20rocsparse_direction_T3_S2_21rocsparse_index_base_PKT1_PKT2_PKS2_S2_S3_PS4_PS7_PS2_.private_seg_size, 0
	.set _ZN9rocsparseL32bsr2csr_block_per_row_2_7_kernelILj256ELj2EdllEEv20rocsparse_direction_T3_S2_21rocsparse_index_base_PKT1_PKT2_PKS2_S2_S3_PS4_PS7_PS2_.uses_vcc, 1
	.set _ZN9rocsparseL32bsr2csr_block_per_row_2_7_kernelILj256ELj2EdllEEv20rocsparse_direction_T3_S2_21rocsparse_index_base_PKT1_PKT2_PKS2_S2_S3_PS4_PS7_PS2_.uses_flat_scratch, 0
	.set _ZN9rocsparseL32bsr2csr_block_per_row_2_7_kernelILj256ELj2EdllEEv20rocsparse_direction_T3_S2_21rocsparse_index_base_PKT1_PKT2_PKS2_S2_S3_PS4_PS7_PS2_.has_dyn_sized_stack, 0
	.set _ZN9rocsparseL32bsr2csr_block_per_row_2_7_kernelILj256ELj2EdllEEv20rocsparse_direction_T3_S2_21rocsparse_index_base_PKT1_PKT2_PKS2_S2_S3_PS4_PS7_PS2_.has_recursion, 0
	.set _ZN9rocsparseL32bsr2csr_block_per_row_2_7_kernelILj256ELj2EdllEEv20rocsparse_direction_T3_S2_21rocsparse_index_base_PKT1_PKT2_PKS2_S2_S3_PS4_PS7_PS2_.has_indirect_call, 0
	.section	.AMDGPU.csdata,"",@progbits
; Kernel info:
; codeLenInByte = 624
; TotalNumSgprs: 20
; NumVgprs: 26
; ScratchSize: 0
; MemoryBound: 0
; FloatMode: 240
; IeeeMode: 1
; LDSByteSize: 0 bytes/workgroup (compile time only)
; SGPRBlocks: 0
; VGPRBlocks: 1
; NumSGPRsForWavesPerEU: 20
; NumVGPRsForWavesPerEU: 26
; NamedBarCnt: 0
; Occupancy: 16
; WaveLimiterHint : 0
; COMPUTE_PGM_RSRC2:SCRATCH_EN: 0
; COMPUTE_PGM_RSRC2:USER_SGPR: 2
; COMPUTE_PGM_RSRC2:TRAP_HANDLER: 0
; COMPUTE_PGM_RSRC2:TGID_X_EN: 1
; COMPUTE_PGM_RSRC2:TGID_Y_EN: 0
; COMPUTE_PGM_RSRC2:TGID_Z_EN: 0
; COMPUTE_PGM_RSRC2:TIDIG_COMP_CNT: 0
	.section	.text._ZN9rocsparseL32bsr2csr_block_per_row_2_7_kernelILj256ELj3EdllEEv20rocsparse_direction_T3_S2_21rocsparse_index_base_PKT1_PKT2_PKS2_S2_S3_PS4_PS7_PS2_,"axG",@progbits,_ZN9rocsparseL32bsr2csr_block_per_row_2_7_kernelILj256ELj3EdllEEv20rocsparse_direction_T3_S2_21rocsparse_index_base_PKT1_PKT2_PKS2_S2_S3_PS4_PS7_PS2_,comdat
	.globl	_ZN9rocsparseL32bsr2csr_block_per_row_2_7_kernelILj256ELj3EdllEEv20rocsparse_direction_T3_S2_21rocsparse_index_base_PKT1_PKT2_PKS2_S2_S3_PS4_PS7_PS2_ ; -- Begin function _ZN9rocsparseL32bsr2csr_block_per_row_2_7_kernelILj256ELj3EdllEEv20rocsparse_direction_T3_S2_21rocsparse_index_base_PKT1_PKT2_PKS2_S2_S3_PS4_PS7_PS2_
	.p2align	8
	.type	_ZN9rocsparseL32bsr2csr_block_per_row_2_7_kernelILj256ELj3EdllEEv20rocsparse_direction_T3_S2_21rocsparse_index_base_PKT1_PKT2_PKS2_S2_S3_PS4_PS7_PS2_,@function
_ZN9rocsparseL32bsr2csr_block_per_row_2_7_kernelILj256ELj3EdllEEv20rocsparse_direction_T3_S2_21rocsparse_index_base_PKT1_PKT2_PKS2_S2_S3_PS4_PS7_PS2_: ; @_ZN9rocsparseL32bsr2csr_block_per_row_2_7_kernelILj256ELj3EdllEEv20rocsparse_direction_T3_S2_21rocsparse_index_base_PKT1_PKT2_PKS2_S2_S3_PS4_PS7_PS2_
; %bb.0:
	s_clause 0x1
	s_load_b32 s2, s[0:1], 0x40
	s_load_b64 s[10:11], s[0:1], 0x50
	s_bfe_u32 s3, ttmp6, 0x4000c
	s_and_b32 s4, ttmp6, 15
	s_add_co_i32 s3, s3, 1
	s_getreg_b32 s5, hwreg(HW_REG_IB_STS2, 6, 4)
	s_mul_i32 s3, ttmp9, s3
	s_mov_b32 s13, 0
	s_add_co_i32 s4, s4, s3
	s_cmp_eq_u32 s5, 0
	s_mov_b32 s3, exec_lo
	s_cselect_b32 s12, ttmp9, s4
	s_delay_alu instid0(SALU_CYCLE_1) | instskip(NEXT) | instid1(VALU_DEP_1)
	v_or_b32_e32 v1, s12, v0
	v_cmpx_eq_u32_e32 0, v1
	s_cbranch_execz .LBB249_2
; %bb.1:
	s_wait_kmcnt 0x0
	v_dual_mov_b32 v2, s2 :: v_dual_mov_b32 v3, 0
	global_store_b64 v3, v[2:3], s[10:11]
.LBB249_2:
	s_wait_xcnt 0x0
	s_or_b32 exec_lo, exec_lo, s3
	v_and_b32_e32 v4, 3, v0
	s_mov_b32 s3, exec_lo
	s_delay_alu instid0(VALU_DEP_1)
	v_cmpx_ne_u32_e32 3, v4
	s_cbranch_execz .LBB249_6
; %bb.3:
	s_clause 0x1
	s_load_b64 s[4:5], s[0:1], 0x28
	s_load_b32 s8, s[0:1], 0x18
	s_lshl_b64 s[6:7], s[12:13], 3
	s_mov_b32 s9, 0
	v_dual_mov_b32 v5, 0 :: v_dual_lshrrev_b32 v2, 2, v0
	s_mov_b32 s3, s9
	s_mul_u64 s[12:13], s[12:13], 24
	s_delay_alu instid0(VALU_DEP_1)
	v_mov_b32_e32 v3, v5
	s_wait_kmcnt 0x0
	s_add_nc_u64 s[10:11], s[10:11], s[12:13]
	s_add_nc_u64 s[14:15], s[4:5], s[6:7]
	s_load_b128 s[4:7], s[14:15], 0x0
	s_wait_kmcnt 0x0
	s_sub_nc_u64 s[14:15], s[4:5], s[8:9]
	s_sub_nc_u64 s[6:7], s[6:7], s[8:9]
	v_add_nc_u64_e32 v[0:1], s[14:15], v[2:3]
	s_sub_nc_u64 s[16:17], s[6:7], s[14:15]
	s_mul_u64 s[14:15], s[14:15], 9
	s_mul_u64 s[16:17], s[16:17], 3
	s_delay_alu instid0(SALU_CYCLE_1) | instskip(SKIP_1) | instid1(VALU_DEP_2)
	v_mul_u64_e32 v[6:7], s[16:17], v[4:5]
	s_add_nc_u64 s[16:17], s[16:17], s[2:3]
	v_cmp_gt_i64_e32 vcc_lo, s[6:7], v[0:1]
	s_add_nc_u64 s[14:15], s[16:17], s[14:15]
	s_delay_alu instid0(VALU_DEP_2) | instid1(SALU_CYCLE_1)
	v_add_nc_u64_e32 v[8:9], s[14:15], v[6:7]
	global_store_b64 v4, v[8:9], s[10:11] offset:8 scale_offset
	s_wait_xcnt 0x0
	s_and_b32 exec_lo, exec_lo, vcc_lo
	s_cbranch_execz .LBB249_6
; %bb.4:
	v_mad_nc_u64_u32 v[6:7], s4, 9, v[6:7]
	s_clause 0x3
	s_load_b64 s[10:11], s[0:1], 0x30
	s_load_b64 s[12:13], s[0:1], 0x48
	s_load_b32 s16, s[0:1], 0x0
	s_load_b64 s[14:15], s[0:1], 0x58
	s_delay_alu instid0(VALU_DEP_1)
	v_mad_u32 v7, s5, 9, v7
	s_load_b64 s[4:5], s[0:1], 0x20
	s_wait_xcnt 0x0
	s_mul_u64 s[0:1], s[8:9], 9
	s_wait_kmcnt 0x0
	s_cmp_eq_u32 s16, 0
	s_cselect_b32 vcc_lo, -1, 0
	s_delay_alu instid0(VALU_DEP_1) | instskip(SKIP_1) | instid1(VALU_DEP_2)
	v_mad_nc_u64_u32 v[6:7], v2, 3, v[6:7]
	v_mad_nc_u64_u32 v[2:3], 0x48, v0, s[4:5]
	v_sub_nc_u64_e64 v[8:9], v[6:7], s[0:1]
	v_dual_mov_b32 v7, v5 :: v_dual_lshlrev_b32 v6, 3, v4
	v_mul_hi_u32_u24_e32 v5, 24, v4
	v_mul_u32_u24_e32 v4, 24, v4
	s_mov_b32 s1, s9
	s_delay_alu instid0(VALU_DEP_4) | instskip(SKIP_2) | instid1(VALU_DEP_3)
	v_lshl_add_u64 v[12:13], v[8:9], 3, 8
	v_lshl_add_u64 v[8:9], v[0:1], 3, s[10:11]
	v_mad_u32 v3, 0x48, v1, v3
	v_add_nc_u64_e32 v[10:11], s[12:13], v[12:13]
	v_add_nc_u64_e32 v[12:13], s[14:15], v[12:13]
.LBB249_5:                              ; =>This Inner Loop Header: Depth=1
	global_load_b64 v[18:19], v[8:9], off
	v_add_nc_u64_e32 v[14:15], v[2:3], v[6:7]
	v_add_nc_u64_e32 v[16:17], v[2:3], v[4:5]
	;; [unrolled: 1-line block ×3, first 2 shown]
	s_wait_xcnt 0x0
	v_add_nc_u64_e32 v[8:9], 0x200, v[8:9]
	v_add_nc_u64_e32 v[2:3], 0x1200, v[2:3]
	;; [unrolled: 1-line block ×4, first 2 shown]
	v_dual_cndmask_b32 v21, v15, v17 :: v_dual_cndmask_b32 v20, v14, v16
	v_add_nc_u64_e32 v[16:17], 16, v[16:17]
	v_add_nc_u64_e32 v[26:27], 48, v[14:15]
	v_cmp_le_i64_e64 s0, s[6:7], v[0:1]
	global_load_b64 v[14:15], v[20:21], off
	s_wait_xcnt 0x0
	v_dual_cndmask_b32 v21, v25, v23 :: v_dual_cndmask_b32 v20, v24, v22
	v_dual_cndmask_b32 v23, v27, v17 :: v_dual_cndmask_b32 v22, v26, v16
	global_load_b64 v[16:17], v[20:21], off
	global_load_b64 v[24:25], v[22:23], off
	s_or_b32 s1, s0, s1
	s_wait_loadcnt 0x1
	global_store_b128 v[10:11], v[14:17], off offset:-8
	s_wait_loadcnt 0x0
	global_store_b64 v[10:11], v[24:25], off offset:8
	s_wait_xcnt 0x3
	v_sub_nc_u64_e64 v[20:21], v[18:19], s[8:9]
	s_wait_xcnt 0x0
	v_add_nc_u64_e32 v[10:11], 0x600, v[10:11]
	s_delay_alu instid0(VALU_DEP_2) | instskip(NEXT) | instid1(VALU_DEP_1)
	v_mad_nc_u64_u32 v[18:19], v20, 3, s[2:3]
	v_mad_u32 v19, v21, 3, v19
	s_delay_alu instid0(VALU_DEP_1)
	v_add_nc_u64_e32 v[20:21], 1, v[18:19]
	v_add_nc_u64_e32 v[22:23], 2, v[18:19]
	s_clause 0x1
	global_store_b128 v[12:13], v[18:21], off offset:-8
	global_store_b64 v[12:13], v[22:23], off offset:8
	s_wait_xcnt 0x0
	v_add_nc_u64_e32 v[12:13], 0x600, v[12:13]
	s_and_not1_b32 exec_lo, exec_lo, s1
	s_cbranch_execnz .LBB249_5
.LBB249_6:
	s_endpgm
	.section	.rodata,"a",@progbits
	.p2align	6, 0x0
	.amdhsa_kernel _ZN9rocsparseL32bsr2csr_block_per_row_2_7_kernelILj256ELj3EdllEEv20rocsparse_direction_T3_S2_21rocsparse_index_base_PKT1_PKT2_PKS2_S2_S3_PS4_PS7_PS2_
		.amdhsa_group_segment_fixed_size 0
		.amdhsa_private_segment_fixed_size 0
		.amdhsa_kernarg_size 96
		.amdhsa_user_sgpr_count 2
		.amdhsa_user_sgpr_dispatch_ptr 0
		.amdhsa_user_sgpr_queue_ptr 0
		.amdhsa_user_sgpr_kernarg_segment_ptr 1
		.amdhsa_user_sgpr_dispatch_id 0
		.amdhsa_user_sgpr_kernarg_preload_length 0
		.amdhsa_user_sgpr_kernarg_preload_offset 0
		.amdhsa_user_sgpr_private_segment_size 0
		.amdhsa_wavefront_size32 1
		.amdhsa_uses_dynamic_stack 0
		.amdhsa_enable_private_segment 0
		.amdhsa_system_sgpr_workgroup_id_x 1
		.amdhsa_system_sgpr_workgroup_id_y 0
		.amdhsa_system_sgpr_workgroup_id_z 0
		.amdhsa_system_sgpr_workgroup_info 0
		.amdhsa_system_vgpr_workitem_id 0
		.amdhsa_next_free_vgpr 28
		.amdhsa_next_free_sgpr 18
		.amdhsa_named_barrier_count 0
		.amdhsa_reserve_vcc 1
		.amdhsa_float_round_mode_32 0
		.amdhsa_float_round_mode_16_64 0
		.amdhsa_float_denorm_mode_32 3
		.amdhsa_float_denorm_mode_16_64 3
		.amdhsa_fp16_overflow 0
		.amdhsa_memory_ordered 1
		.amdhsa_forward_progress 1
		.amdhsa_inst_pref_size 6
		.amdhsa_round_robin_scheduling 0
		.amdhsa_exception_fp_ieee_invalid_op 0
		.amdhsa_exception_fp_denorm_src 0
		.amdhsa_exception_fp_ieee_div_zero 0
		.amdhsa_exception_fp_ieee_overflow 0
		.amdhsa_exception_fp_ieee_underflow 0
		.amdhsa_exception_fp_ieee_inexact 0
		.amdhsa_exception_int_div_zero 0
	.end_amdhsa_kernel
	.section	.text._ZN9rocsparseL32bsr2csr_block_per_row_2_7_kernelILj256ELj3EdllEEv20rocsparse_direction_T3_S2_21rocsparse_index_base_PKT1_PKT2_PKS2_S2_S3_PS4_PS7_PS2_,"axG",@progbits,_ZN9rocsparseL32bsr2csr_block_per_row_2_7_kernelILj256ELj3EdllEEv20rocsparse_direction_T3_S2_21rocsparse_index_base_PKT1_PKT2_PKS2_S2_S3_PS4_PS7_PS2_,comdat
.Lfunc_end249:
	.size	_ZN9rocsparseL32bsr2csr_block_per_row_2_7_kernelILj256ELj3EdllEEv20rocsparse_direction_T3_S2_21rocsparse_index_base_PKT1_PKT2_PKS2_S2_S3_PS4_PS7_PS2_, .Lfunc_end249-_ZN9rocsparseL32bsr2csr_block_per_row_2_7_kernelILj256ELj3EdllEEv20rocsparse_direction_T3_S2_21rocsparse_index_base_PKT1_PKT2_PKS2_S2_S3_PS4_PS7_PS2_
                                        ; -- End function
	.set _ZN9rocsparseL32bsr2csr_block_per_row_2_7_kernelILj256ELj3EdllEEv20rocsparse_direction_T3_S2_21rocsparse_index_base_PKT1_PKT2_PKS2_S2_S3_PS4_PS7_PS2_.num_vgpr, 28
	.set _ZN9rocsparseL32bsr2csr_block_per_row_2_7_kernelILj256ELj3EdllEEv20rocsparse_direction_T3_S2_21rocsparse_index_base_PKT1_PKT2_PKS2_S2_S3_PS4_PS7_PS2_.num_agpr, 0
	.set _ZN9rocsparseL32bsr2csr_block_per_row_2_7_kernelILj256ELj3EdllEEv20rocsparse_direction_T3_S2_21rocsparse_index_base_PKT1_PKT2_PKS2_S2_S3_PS4_PS7_PS2_.numbered_sgpr, 18
	.set _ZN9rocsparseL32bsr2csr_block_per_row_2_7_kernelILj256ELj3EdllEEv20rocsparse_direction_T3_S2_21rocsparse_index_base_PKT1_PKT2_PKS2_S2_S3_PS4_PS7_PS2_.num_named_barrier, 0
	.set _ZN9rocsparseL32bsr2csr_block_per_row_2_7_kernelILj256ELj3EdllEEv20rocsparse_direction_T3_S2_21rocsparse_index_base_PKT1_PKT2_PKS2_S2_S3_PS4_PS7_PS2_.private_seg_size, 0
	.set _ZN9rocsparseL32bsr2csr_block_per_row_2_7_kernelILj256ELj3EdllEEv20rocsparse_direction_T3_S2_21rocsparse_index_base_PKT1_PKT2_PKS2_S2_S3_PS4_PS7_PS2_.uses_vcc, 1
	.set _ZN9rocsparseL32bsr2csr_block_per_row_2_7_kernelILj256ELj3EdllEEv20rocsparse_direction_T3_S2_21rocsparse_index_base_PKT1_PKT2_PKS2_S2_S3_PS4_PS7_PS2_.uses_flat_scratch, 0
	.set _ZN9rocsparseL32bsr2csr_block_per_row_2_7_kernelILj256ELj3EdllEEv20rocsparse_direction_T3_S2_21rocsparse_index_base_PKT1_PKT2_PKS2_S2_S3_PS4_PS7_PS2_.has_dyn_sized_stack, 0
	.set _ZN9rocsparseL32bsr2csr_block_per_row_2_7_kernelILj256ELj3EdllEEv20rocsparse_direction_T3_S2_21rocsparse_index_base_PKT1_PKT2_PKS2_S2_S3_PS4_PS7_PS2_.has_recursion, 0
	.set _ZN9rocsparseL32bsr2csr_block_per_row_2_7_kernelILj256ELj3EdllEEv20rocsparse_direction_T3_S2_21rocsparse_index_base_PKT1_PKT2_PKS2_S2_S3_PS4_PS7_PS2_.has_indirect_call, 0
	.section	.AMDGPU.csdata,"",@progbits
; Kernel info:
; codeLenInByte = 736
; TotalNumSgprs: 20
; NumVgprs: 28
; ScratchSize: 0
; MemoryBound: 0
; FloatMode: 240
; IeeeMode: 1
; LDSByteSize: 0 bytes/workgroup (compile time only)
; SGPRBlocks: 0
; VGPRBlocks: 1
; NumSGPRsForWavesPerEU: 20
; NumVGPRsForWavesPerEU: 28
; NamedBarCnt: 0
; Occupancy: 16
; WaveLimiterHint : 0
; COMPUTE_PGM_RSRC2:SCRATCH_EN: 0
; COMPUTE_PGM_RSRC2:USER_SGPR: 2
; COMPUTE_PGM_RSRC2:TRAP_HANDLER: 0
; COMPUTE_PGM_RSRC2:TGID_X_EN: 1
; COMPUTE_PGM_RSRC2:TGID_Y_EN: 0
; COMPUTE_PGM_RSRC2:TGID_Z_EN: 0
; COMPUTE_PGM_RSRC2:TIDIG_COMP_CNT: 0
	.section	.text._ZN9rocsparseL32bsr2csr_block_per_row_2_7_kernelILj256ELj4EdllEEv20rocsparse_direction_T3_S2_21rocsparse_index_base_PKT1_PKT2_PKS2_S2_S3_PS4_PS7_PS2_,"axG",@progbits,_ZN9rocsparseL32bsr2csr_block_per_row_2_7_kernelILj256ELj4EdllEEv20rocsparse_direction_T3_S2_21rocsparse_index_base_PKT1_PKT2_PKS2_S2_S3_PS4_PS7_PS2_,comdat
	.globl	_ZN9rocsparseL32bsr2csr_block_per_row_2_7_kernelILj256ELj4EdllEEv20rocsparse_direction_T3_S2_21rocsparse_index_base_PKT1_PKT2_PKS2_S2_S3_PS4_PS7_PS2_ ; -- Begin function _ZN9rocsparseL32bsr2csr_block_per_row_2_7_kernelILj256ELj4EdllEEv20rocsparse_direction_T3_S2_21rocsparse_index_base_PKT1_PKT2_PKS2_S2_S3_PS4_PS7_PS2_
	.p2align	8
	.type	_ZN9rocsparseL32bsr2csr_block_per_row_2_7_kernelILj256ELj4EdllEEv20rocsparse_direction_T3_S2_21rocsparse_index_base_PKT1_PKT2_PKS2_S2_S3_PS4_PS7_PS2_,@function
_ZN9rocsparseL32bsr2csr_block_per_row_2_7_kernelILj256ELj4EdllEEv20rocsparse_direction_T3_S2_21rocsparse_index_base_PKT1_PKT2_PKS2_S2_S3_PS4_PS7_PS2_: ; @_ZN9rocsparseL32bsr2csr_block_per_row_2_7_kernelILj256ELj4EdllEEv20rocsparse_direction_T3_S2_21rocsparse_index_base_PKT1_PKT2_PKS2_S2_S3_PS4_PS7_PS2_
; %bb.0:
	s_load_b64 s[4:5], s[0:1], 0x28
	s_bfe_u32 s2, ttmp6, 0x4000c
	s_and_b32 s3, ttmp6, 15
	s_add_co_i32 s2, s2, 1
	s_getreg_b32 s6, hwreg(HW_REG_IB_STS2, 6, 4)
	s_mul_i32 s2, ttmp9, s2
	s_clause 0x1
	s_load_b32 s8, s[0:1], 0x40
	s_load_b64 s[12:13], s[0:1], 0x50
	s_add_co_i32 s2, s3, s2
	s_cmp_eq_u32 s6, 0
	s_mov_b32 s3, 0
	s_cselect_b32 s10, ttmp9, s2
	s_mov_b32 s11, s3
	v_or_b32_e32 v1, s10, v0
	s_lshl_b64 s[6:7], s[10:11], 3
	s_mov_b32 s9, s3
	s_mov_b32 s2, exec_lo
	s_wait_kmcnt 0x0
	s_add_nc_u64 s[14:15], s[4:5], s[6:7]
	s_load_b128 s[4:7], s[14:15], 0x0
	v_cmpx_eq_u32_e32 0, v1
	s_cbranch_execz .LBB250_2
; %bb.1:
	v_mov_b64_e32 v[2:3], s[8:9]
	v_mov_b32_e32 v1, 0
	global_store_b64 v1, v[2:3], s[12:13]
.LBB250_2:
	s_wait_xcnt 0x0
	s_or_b32 exec_lo, exec_lo, s2
	s_load_b32 s2, s[0:1], 0x18
	v_dual_mov_b32 v5, 0 :: v_dual_bitop2_b32 v4, 3, v0 bitop3:0x40
	v_lshrrev_b32_e32 v6, 2, v0
	s_lshl_b64 s[10:11], s[10:11], 5
	s_delay_alu instid0(SALU_CYCLE_1) | instskip(NEXT) | instid1(VALU_DEP_2)
	s_add_nc_u64 s[10:11], s[12:13], s[10:11]
	v_mov_b32_e32 v7, v5
	s_wait_kmcnt 0x0
	s_sub_nc_u64 s[14:15], s[4:5], s[2:3]
	s_sub_nc_u64 s[6:7], s[6:7], s[2:3]
	s_delay_alu instid0(VALU_DEP_1) | instskip(SKIP_3) | instid1(SALU_CYCLE_1)
	v_add_nc_u64_e32 v[0:1], s[14:15], v[6:7]
	s_sub_nc_u64 s[16:17], s[6:7], s[14:15]
	s_lshl_b64 s[14:15], s[14:15], 4
	s_lshl_b64 s[16:17], s[16:17], 2
	v_mul_u64_e32 v[8:9], s[16:17], v[4:5]
	s_add_nc_u64 s[16:17], s[16:17], s[8:9]
	s_delay_alu instid0(SALU_CYCLE_1)
	s_add_nc_u64 s[14:15], s[16:17], s[14:15]
	s_delay_alu instid0(VALU_DEP_1) | instid1(SALU_CYCLE_1)
	v_add_nc_u64_e32 v[2:3], s[14:15], v[8:9]
	global_store_b64 v4, v[2:3], s[10:11] offset:8 scale_offset
	s_wait_xcnt 0x0
	s_mov_b32 s10, exec_lo
	v_cmpx_gt_i64_e64 s[6:7], v[0:1]
	s_cbranch_execz .LBB250_5
; %bb.3:
	s_clause 0x2
	s_load_b64 s[10:11], s[0:1], 0x30
	s_load_b64 s[12:13], s[0:1], 0x48
	s_load_b32 s16, s[0:1], 0x0
	v_lshlrev_b64_e32 v[10:11], 7, v[0:1]
	v_mul_hi_u32_u24_e32 v3, 24, v4
	v_mul_u32_u24_e32 v2, 24, v4
	v_lshl_add_u64 v[8:9], s[4:5], 4, v[8:9]
	s_clause 0x1
	s_load_b64 s[4:5], s[0:1], 0x20
	s_load_b64 s[14:15], s[0:1], 0x58
	v_lshl_or_b32 v10, v4, 3, v10
	v_lshlrev_b32_e32 v4, 2, v6
	s_delay_alu instid0(VALU_DEP_1)
	v_add_nc_u64_e32 v[4:5], v[8:9], v[4:5]
	s_wait_kmcnt 0x0
	s_cmp_eq_u32 s16, 0
	s_cselect_b32 vcc_lo, -1, 0
	s_lshl_b64 s[0:1], s[2:3], 4
	s_delay_alu instid0(VALU_DEP_1) | instid1(SALU_CYCLE_1)
	v_sub_nc_u64_e64 v[4:5], v[4:5], s[0:1]
	s_mov_b32 s1, 0
	s_delay_alu instid0(VALU_DEP_1) | instskip(SKIP_2) | instid1(VALU_DEP_3)
	v_lshl_add_u64 v[8:9], v[4:5], 3, 16
	v_add_nc_u64_e32 v[4:5], s[4:5], v[10:11]
	v_lshl_add_u64 v[10:11], v[0:1], 3, s[10:11]
	v_add_nc_u64_e32 v[6:7], s[12:13], v[8:9]
	v_add_nc_u64_e32 v[8:9], s[14:15], v[8:9]
.LBB250_4:                              ; =>This Inner Loop Header: Depth=1
	s_delay_alu instid0(VALU_DEP_4)
	v_add_nc_u64_e32 v[12:13], v[4:5], v[2:3]
	global_load_b64 v[20:21], v[10:11], off
	v_add_nc_u64_e32 v[14:15], 32, v[4:5]
	v_add_nc_u64_e32 v[16:17], 64, v[4:5]
	;; [unrolled: 1-line block ×4, first 2 shown]
	s_wait_xcnt 0x0
	v_add_nc_u64_e32 v[10:11], 0x200, v[10:11]
	v_add_nc_u64_e32 v[24:25], 8, v[12:13]
	;; [unrolled: 1-line block ×3, first 2 shown]
	v_dual_cndmask_b32 v23, v5, v13 :: v_dual_cndmask_b32 v22, v4, v12
	v_add_nc_u64_e32 v[28:29], 24, v[12:13]
	v_cmp_le_i64_e64 s0, s[6:7], v[0:1]
	v_add_nc_u64_e32 v[4:5], 0x2000, v[4:5]
	global_load_b64 v[12:13], v[22:23], off
	s_wait_xcnt 0x0
	v_dual_cndmask_b32 v23, v15, v25 :: v_dual_cndmask_b32 v22, v14, v24
	v_dual_cndmask_b32 v25, v17, v27 :: v_dual_cndmask_b32 v24, v16, v26
	;; [unrolled: 1-line block ×3, first 2 shown]
	global_load_b64 v[14:15], v[22:23], off
	global_load_b64 v[16:17], v[24:25], off
	;; [unrolled: 1-line block ×3, first 2 shown]
	s_or_b32 s1, s0, s1
	s_wait_loadcnt 0x4
	v_sub_nc_u64_e64 v[20:21], v[20:21], s[2:3]
	s_delay_alu instid0(VALU_DEP_1) | instskip(SKIP_1) | instid1(VALU_DEP_1)
	v_lshl_add_u64 v[20:21], v[20:21], 2, s[8:9]
	s_wait_xcnt 0x2
	v_add_nc_u64_e32 v[22:23], 1, v[20:21]
	s_wait_xcnt 0x1
	v_add_nc_u64_e32 v[24:25], 2, v[20:21]
	;; [unrolled: 2-line block ×3, first 2 shown]
	s_clause 0x1
	global_store_b128 v[8:9], v[20:23], off offset:-16
	global_store_b128 v[8:9], v[24:27], off
	s_wait_loadcnt 0x2
	global_store_b128 v[6:7], v[12:15], off offset:-16
	s_wait_loadcnt 0x0
	global_store_b128 v[6:7], v[16:19], off
	s_wait_xcnt 0x0
	v_add_nc_u64_e32 v[6:7], 0x800, v[6:7]
	v_add_nc_u64_e32 v[8:9], 0x800, v[8:9]
	s_and_not1_b32 exec_lo, exec_lo, s1
	s_cbranch_execnz .LBB250_4
.LBB250_5:
	s_endpgm
	.section	.rodata,"a",@progbits
	.p2align	6, 0x0
	.amdhsa_kernel _ZN9rocsparseL32bsr2csr_block_per_row_2_7_kernelILj256ELj4EdllEEv20rocsparse_direction_T3_S2_21rocsparse_index_base_PKT1_PKT2_PKS2_S2_S3_PS4_PS7_PS2_
		.amdhsa_group_segment_fixed_size 0
		.amdhsa_private_segment_fixed_size 0
		.amdhsa_kernarg_size 96
		.amdhsa_user_sgpr_count 2
		.amdhsa_user_sgpr_dispatch_ptr 0
		.amdhsa_user_sgpr_queue_ptr 0
		.amdhsa_user_sgpr_kernarg_segment_ptr 1
		.amdhsa_user_sgpr_dispatch_id 0
		.amdhsa_user_sgpr_kernarg_preload_length 0
		.amdhsa_user_sgpr_kernarg_preload_offset 0
		.amdhsa_user_sgpr_private_segment_size 0
		.amdhsa_wavefront_size32 1
		.amdhsa_uses_dynamic_stack 0
		.amdhsa_enable_private_segment 0
		.amdhsa_system_sgpr_workgroup_id_x 1
		.amdhsa_system_sgpr_workgroup_id_y 0
		.amdhsa_system_sgpr_workgroup_id_z 0
		.amdhsa_system_sgpr_workgroup_info 0
		.amdhsa_system_vgpr_workitem_id 0
		.amdhsa_next_free_vgpr 30
		.amdhsa_next_free_sgpr 18
		.amdhsa_named_barrier_count 0
		.amdhsa_reserve_vcc 1
		.amdhsa_float_round_mode_32 0
		.amdhsa_float_round_mode_16_64 0
		.amdhsa_float_denorm_mode_32 3
		.amdhsa_float_denorm_mode_16_64 3
		.amdhsa_fp16_overflow 0
		.amdhsa_memory_ordered 1
		.amdhsa_forward_progress 1
		.amdhsa_inst_pref_size 6
		.amdhsa_round_robin_scheduling 0
		.amdhsa_exception_fp_ieee_invalid_op 0
		.amdhsa_exception_fp_denorm_src 0
		.amdhsa_exception_fp_ieee_div_zero 0
		.amdhsa_exception_fp_ieee_overflow 0
		.amdhsa_exception_fp_ieee_underflow 0
		.amdhsa_exception_fp_ieee_inexact 0
		.amdhsa_exception_int_div_zero 0
	.end_amdhsa_kernel
	.section	.text._ZN9rocsparseL32bsr2csr_block_per_row_2_7_kernelILj256ELj4EdllEEv20rocsparse_direction_T3_S2_21rocsparse_index_base_PKT1_PKT2_PKS2_S2_S3_PS4_PS7_PS2_,"axG",@progbits,_ZN9rocsparseL32bsr2csr_block_per_row_2_7_kernelILj256ELj4EdllEEv20rocsparse_direction_T3_S2_21rocsparse_index_base_PKT1_PKT2_PKS2_S2_S3_PS4_PS7_PS2_,comdat
.Lfunc_end250:
	.size	_ZN9rocsparseL32bsr2csr_block_per_row_2_7_kernelILj256ELj4EdllEEv20rocsparse_direction_T3_S2_21rocsparse_index_base_PKT1_PKT2_PKS2_S2_S3_PS4_PS7_PS2_, .Lfunc_end250-_ZN9rocsparseL32bsr2csr_block_per_row_2_7_kernelILj256ELj4EdllEEv20rocsparse_direction_T3_S2_21rocsparse_index_base_PKT1_PKT2_PKS2_S2_S3_PS4_PS7_PS2_
                                        ; -- End function
	.set _ZN9rocsparseL32bsr2csr_block_per_row_2_7_kernelILj256ELj4EdllEEv20rocsparse_direction_T3_S2_21rocsparse_index_base_PKT1_PKT2_PKS2_S2_S3_PS4_PS7_PS2_.num_vgpr, 30
	.set _ZN9rocsparseL32bsr2csr_block_per_row_2_7_kernelILj256ELj4EdllEEv20rocsparse_direction_T3_S2_21rocsparse_index_base_PKT1_PKT2_PKS2_S2_S3_PS4_PS7_PS2_.num_agpr, 0
	.set _ZN9rocsparseL32bsr2csr_block_per_row_2_7_kernelILj256ELj4EdllEEv20rocsparse_direction_T3_S2_21rocsparse_index_base_PKT1_PKT2_PKS2_S2_S3_PS4_PS7_PS2_.numbered_sgpr, 18
	.set _ZN9rocsparseL32bsr2csr_block_per_row_2_7_kernelILj256ELj4EdllEEv20rocsparse_direction_T3_S2_21rocsparse_index_base_PKT1_PKT2_PKS2_S2_S3_PS4_PS7_PS2_.num_named_barrier, 0
	.set _ZN9rocsparseL32bsr2csr_block_per_row_2_7_kernelILj256ELj4EdllEEv20rocsparse_direction_T3_S2_21rocsparse_index_base_PKT1_PKT2_PKS2_S2_S3_PS4_PS7_PS2_.private_seg_size, 0
	.set _ZN9rocsparseL32bsr2csr_block_per_row_2_7_kernelILj256ELj4EdllEEv20rocsparse_direction_T3_S2_21rocsparse_index_base_PKT1_PKT2_PKS2_S2_S3_PS4_PS7_PS2_.uses_vcc, 1
	.set _ZN9rocsparseL32bsr2csr_block_per_row_2_7_kernelILj256ELj4EdllEEv20rocsparse_direction_T3_S2_21rocsparse_index_base_PKT1_PKT2_PKS2_S2_S3_PS4_PS7_PS2_.uses_flat_scratch, 0
	.set _ZN9rocsparseL32bsr2csr_block_per_row_2_7_kernelILj256ELj4EdllEEv20rocsparse_direction_T3_S2_21rocsparse_index_base_PKT1_PKT2_PKS2_S2_S3_PS4_PS7_PS2_.has_dyn_sized_stack, 0
	.set _ZN9rocsparseL32bsr2csr_block_per_row_2_7_kernelILj256ELj4EdllEEv20rocsparse_direction_T3_S2_21rocsparse_index_base_PKT1_PKT2_PKS2_S2_S3_PS4_PS7_PS2_.has_recursion, 0
	.set _ZN9rocsparseL32bsr2csr_block_per_row_2_7_kernelILj256ELj4EdllEEv20rocsparse_direction_T3_S2_21rocsparse_index_base_PKT1_PKT2_PKS2_S2_S3_PS4_PS7_PS2_.has_indirect_call, 0
	.section	.AMDGPU.csdata,"",@progbits
; Kernel info:
; codeLenInByte = 728
; TotalNumSgprs: 20
; NumVgprs: 30
; ScratchSize: 0
; MemoryBound: 0
; FloatMode: 240
; IeeeMode: 1
; LDSByteSize: 0 bytes/workgroup (compile time only)
; SGPRBlocks: 0
; VGPRBlocks: 1
; NumSGPRsForWavesPerEU: 20
; NumVGPRsForWavesPerEU: 30
; NamedBarCnt: 0
; Occupancy: 16
; WaveLimiterHint : 0
; COMPUTE_PGM_RSRC2:SCRATCH_EN: 0
; COMPUTE_PGM_RSRC2:USER_SGPR: 2
; COMPUTE_PGM_RSRC2:TRAP_HANDLER: 0
; COMPUTE_PGM_RSRC2:TGID_X_EN: 1
; COMPUTE_PGM_RSRC2:TGID_Y_EN: 0
; COMPUTE_PGM_RSRC2:TGID_Z_EN: 0
; COMPUTE_PGM_RSRC2:TIDIG_COMP_CNT: 0
	.section	.text._ZN9rocsparseL32bsr2csr_block_per_row_2_7_kernelILj256ELj5EdllEEv20rocsparse_direction_T3_S2_21rocsparse_index_base_PKT1_PKT2_PKS2_S2_S3_PS4_PS7_PS2_,"axG",@progbits,_ZN9rocsparseL32bsr2csr_block_per_row_2_7_kernelILj256ELj5EdllEEv20rocsparse_direction_T3_S2_21rocsparse_index_base_PKT1_PKT2_PKS2_S2_S3_PS4_PS7_PS2_,comdat
	.globl	_ZN9rocsparseL32bsr2csr_block_per_row_2_7_kernelILj256ELj5EdllEEv20rocsparse_direction_T3_S2_21rocsparse_index_base_PKT1_PKT2_PKS2_S2_S3_PS4_PS7_PS2_ ; -- Begin function _ZN9rocsparseL32bsr2csr_block_per_row_2_7_kernelILj256ELj5EdllEEv20rocsparse_direction_T3_S2_21rocsparse_index_base_PKT1_PKT2_PKS2_S2_S3_PS4_PS7_PS2_
	.p2align	8
	.type	_ZN9rocsparseL32bsr2csr_block_per_row_2_7_kernelILj256ELj5EdllEEv20rocsparse_direction_T3_S2_21rocsparse_index_base_PKT1_PKT2_PKS2_S2_S3_PS4_PS7_PS2_,@function
_ZN9rocsparseL32bsr2csr_block_per_row_2_7_kernelILj256ELj5EdllEEv20rocsparse_direction_T3_S2_21rocsparse_index_base_PKT1_PKT2_PKS2_S2_S3_PS4_PS7_PS2_: ; @_ZN9rocsparseL32bsr2csr_block_per_row_2_7_kernelILj256ELj5EdllEEv20rocsparse_direction_T3_S2_21rocsparse_index_base_PKT1_PKT2_PKS2_S2_S3_PS4_PS7_PS2_
; %bb.0:
	s_clause 0x1
	s_load_b32 s2, s[0:1], 0x40
	s_load_b64 s[10:11], s[0:1], 0x50
	s_bfe_u32 s3, ttmp6, 0x4000c
	s_and_b32 s4, ttmp6, 15
	s_add_co_i32 s3, s3, 1
	s_getreg_b32 s5, hwreg(HW_REG_IB_STS2, 6, 4)
	s_mul_i32 s3, ttmp9, s3
	s_mov_b32 s13, 0
	s_add_co_i32 s4, s4, s3
	s_cmp_eq_u32 s5, 0
	s_mov_b32 s3, exec_lo
	s_cselect_b32 s12, ttmp9, s4
	s_delay_alu instid0(SALU_CYCLE_1) | instskip(NEXT) | instid1(VALU_DEP_1)
	v_or_b32_e32 v1, s12, v0
	v_cmpx_eq_u32_e32 0, v1
	s_cbranch_execz .LBB251_2
; %bb.1:
	s_wait_kmcnt 0x0
	v_dual_mov_b32 v2, s2 :: v_dual_mov_b32 v3, 0
	global_store_b64 v3, v[2:3], s[10:11]
.LBB251_2:
	s_wait_xcnt 0x0
	s_or_b32 exec_lo, exec_lo, s3
	v_and_b32_e32 v12, 7, v0
	s_mov_b32 s3, exec_lo
	s_delay_alu instid0(VALU_DEP_1)
	v_cmpx_gt_u32_e32 5, v12
	s_cbranch_execz .LBB251_6
; %bb.3:
	s_clause 0x1
	s_load_b64 s[4:5], s[0:1], 0x28
	s_load_b32 s8, s[0:1], 0x18
	s_lshl_b64 s[6:7], s[12:13], 3
	s_mov_b32 s9, 0
	v_dual_mov_b32 v13, 0 :: v_dual_lshrrev_b32 v2, 3, v0
	s_mov_b32 s3, s9
	s_mul_u64 s[12:13], s[12:13], 40
	s_delay_alu instid0(VALU_DEP_1)
	v_mov_b32_e32 v3, v13
	s_wait_kmcnt 0x0
	s_add_nc_u64 s[10:11], s[10:11], s[12:13]
	s_add_nc_u64 s[14:15], s[4:5], s[6:7]
	s_load_b128 s[4:7], s[14:15], 0x0
	s_wait_kmcnt 0x0
	s_sub_nc_u64 s[14:15], s[4:5], s[8:9]
	s_sub_nc_u64 s[6:7], s[6:7], s[8:9]
	v_add_nc_u64_e32 v[0:1], s[14:15], v[2:3]
	s_sub_nc_u64 s[16:17], s[6:7], s[14:15]
	s_mul_u64 s[14:15], s[14:15], 25
	s_mul_u64 s[16:17], s[16:17], 5
	s_delay_alu instid0(SALU_CYCLE_1) | instskip(SKIP_1) | instid1(VALU_DEP_2)
	v_mul_u64_e32 v[4:5], s[16:17], v[12:13]
	s_add_nc_u64 s[16:17], s[16:17], s[2:3]
	v_cmp_gt_i64_e32 vcc_lo, s[6:7], v[0:1]
	s_add_nc_u64 s[14:15], s[16:17], s[14:15]
	s_delay_alu instid0(VALU_DEP_2) | instid1(SALU_CYCLE_1)
	v_add_nc_u64_e32 v[6:7], s[14:15], v[4:5]
	global_store_b64 v12, v[6:7], s[10:11] offset:8 scale_offset
	s_wait_xcnt 0x0
	s_and_b32 exec_lo, exec_lo, vcc_lo
	s_cbranch_execz .LBB251_6
; %bb.4:
	v_mad_nc_u64_u32 v[4:5], s4, 25, v[4:5]
	s_clause 0x3
	s_load_b64 s[10:11], s[0:1], 0x30
	s_load_b64 s[12:13], s[0:1], 0x48
	s_load_b32 s16, s[0:1], 0x0
	s_load_b64 s[14:15], s[0:1], 0x58
	s_delay_alu instid0(VALU_DEP_1)
	v_mad_u32 v5, s5, 25, v5
	s_load_b64 s[4:5], s[0:1], 0x20
	s_wait_xcnt 0x0
	s_mul_u64 s[0:1], s[8:9], 25
	s_wait_kmcnt 0x0
	s_cmp_eq_u32 s16, 0
	s_cselect_b32 vcc_lo, -1, 0
	s_delay_alu instid0(VALU_DEP_1) | instskip(SKIP_1) | instid1(VALU_DEP_2)
	v_mad_nc_u64_u32 v[4:5], v2, 5, v[4:5]
	v_mad_nc_u64_u32 v[2:3], 0xc8, v0, s[4:5]
	v_sub_nc_u64_e64 v[6:7], v[4:5], s[0:1]
	v_dual_mov_b32 v5, v13 :: v_dual_lshlrev_b32 v4, 3, v12
	v_mul_hi_u32_u24_e32 v13, 40, v12
	v_mul_u32_u24_e32 v12, 40, v12
	s_mov_b32 s1, s9
	s_delay_alu instid0(VALU_DEP_4) | instskip(SKIP_2) | instid1(VALU_DEP_3)
	v_lshl_add_u64 v[10:11], v[6:7], 3, 16
	v_lshl_add_u64 v[6:7], v[0:1], 3, s[10:11]
	v_mad_u32 v3, 0xc8, v1, v3
	v_add_nc_u64_e32 v[8:9], s[12:13], v[10:11]
	v_add_nc_u64_e32 v[10:11], s[14:15], v[10:11]
.LBB251_5:                              ; =>This Inner Loop Header: Depth=1
	global_load_b64 v[22:23], v[6:7], off
	v_add_nc_u64_e32 v[14:15], v[2:3], v[4:5]
	v_add_nc_u64_e32 v[16:17], v[2:3], v[12:13]
	;; [unrolled: 1-line block ×3, first 2 shown]
	s_wait_xcnt 0x0
	v_add_nc_u64_e32 v[6:7], 0x100, v[6:7]
	v_add_nc_u64_e32 v[2:3], 0x1900, v[2:3]
	;; [unrolled: 1-line block ×8, first 2 shown]
	v_dual_cndmask_b32 v19, v15, v17 :: v_dual_cndmask_b32 v18, v14, v16
	v_add_nc_u64_e32 v[16:17], 32, v[16:17]
	v_add_nc_u64_e32 v[34:35], 0xa0, v[14:15]
	v_dual_cndmask_b32 v25, v25, v21 :: v_dual_cndmask_b32 v24, v24, v20
	v_dual_cndmask_b32 v27, v29, v27 :: v_dual_cndmask_b32 v26, v28, v26
	global_load_b64 v[14:15], v[18:19], off
	v_dual_cndmask_b32 v29, v33, v31 :: v_dual_cndmask_b32 v28, v32, v30
	v_dual_cndmask_b32 v31, v35, v17 :: v_dual_cndmask_b32 v30, v34, v16
	global_load_b64 v[16:17], v[24:25], off
	global_load_b64 v[18:19], v[26:27], off
	;; [unrolled: 1-line block ×4, first 2 shown]
	v_cmp_le_i64_e64 s0, s[6:7], v[0:1]
	s_or_b32 s1, s0, s1
	s_wait_loadcnt 0x5
	s_wait_xcnt 0x3
	v_sub_nc_u64_e64 v[24:25], v[22:23], s[8:9]
	s_delay_alu instid0(VALU_DEP_1) | instskip(NEXT) | instid1(VALU_DEP_1)
	v_mad_nc_u64_u32 v[22:23], v24, 5, s[2:3]
	v_mad_u32 v23, v25, 5, v23
	s_wait_loadcnt 0x3
	global_store_b128 v[8:9], v[14:17], off offset:-16
	s_wait_loadcnt 0x1
	global_store_b128 v[8:9], v[18:21], off
	s_wait_loadcnt 0x0
	global_store_b64 v[8:9], v[32:33], off offset:16
	v_add_nc_u64_e32 v[24:25], 1, v[22:23]
	s_wait_xcnt 0x2
	v_add_nc_u64_e32 v[14:15], 2, v[22:23]
	v_add_nc_u64_e32 v[16:17], 3, v[22:23]
	;; [unrolled: 1-line block ×3, first 2 shown]
	s_wait_xcnt 0x0
	v_add_nc_u64_e32 v[8:9], 0x500, v[8:9]
	s_clause 0x2
	global_store_b128 v[10:11], v[22:25], off offset:-16
	global_store_b128 v[10:11], v[14:17], off
	global_store_b64 v[10:11], v[26:27], off offset:16
	s_wait_xcnt 0x0
	v_add_nc_u64_e32 v[10:11], 0x500, v[10:11]
	s_and_not1_b32 exec_lo, exec_lo, s1
	s_cbranch_execnz .LBB251_5
.LBB251_6:
	s_endpgm
	.section	.rodata,"a",@progbits
	.p2align	6, 0x0
	.amdhsa_kernel _ZN9rocsparseL32bsr2csr_block_per_row_2_7_kernelILj256ELj5EdllEEv20rocsparse_direction_T3_S2_21rocsparse_index_base_PKT1_PKT2_PKS2_S2_S3_PS4_PS7_PS2_
		.amdhsa_group_segment_fixed_size 0
		.amdhsa_private_segment_fixed_size 0
		.amdhsa_kernarg_size 96
		.amdhsa_user_sgpr_count 2
		.amdhsa_user_sgpr_dispatch_ptr 0
		.amdhsa_user_sgpr_queue_ptr 0
		.amdhsa_user_sgpr_kernarg_segment_ptr 1
		.amdhsa_user_sgpr_dispatch_id 0
		.amdhsa_user_sgpr_kernarg_preload_length 0
		.amdhsa_user_sgpr_kernarg_preload_offset 0
		.amdhsa_user_sgpr_private_segment_size 0
		.amdhsa_wavefront_size32 1
		.amdhsa_uses_dynamic_stack 0
		.amdhsa_enable_private_segment 0
		.amdhsa_system_sgpr_workgroup_id_x 1
		.amdhsa_system_sgpr_workgroup_id_y 0
		.amdhsa_system_sgpr_workgroup_id_z 0
		.amdhsa_system_sgpr_workgroup_info 0
		.amdhsa_system_vgpr_workitem_id 0
		.amdhsa_next_free_vgpr 36
		.amdhsa_next_free_sgpr 18
		.amdhsa_named_barrier_count 0
		.amdhsa_reserve_vcc 1
		.amdhsa_float_round_mode_32 0
		.amdhsa_float_round_mode_16_64 0
		.amdhsa_float_denorm_mode_32 3
		.amdhsa_float_denorm_mode_16_64 3
		.amdhsa_fp16_overflow 0
		.amdhsa_memory_ordered 1
		.amdhsa_forward_progress 1
		.amdhsa_inst_pref_size 7
		.amdhsa_round_robin_scheduling 0
		.amdhsa_exception_fp_ieee_invalid_op 0
		.amdhsa_exception_fp_denorm_src 0
		.amdhsa_exception_fp_ieee_div_zero 0
		.amdhsa_exception_fp_ieee_overflow 0
		.amdhsa_exception_fp_ieee_underflow 0
		.amdhsa_exception_fp_ieee_inexact 0
		.amdhsa_exception_int_div_zero 0
	.end_amdhsa_kernel
	.section	.text._ZN9rocsparseL32bsr2csr_block_per_row_2_7_kernelILj256ELj5EdllEEv20rocsparse_direction_T3_S2_21rocsparse_index_base_PKT1_PKT2_PKS2_S2_S3_PS4_PS7_PS2_,"axG",@progbits,_ZN9rocsparseL32bsr2csr_block_per_row_2_7_kernelILj256ELj5EdllEEv20rocsparse_direction_T3_S2_21rocsparse_index_base_PKT1_PKT2_PKS2_S2_S3_PS4_PS7_PS2_,comdat
.Lfunc_end251:
	.size	_ZN9rocsparseL32bsr2csr_block_per_row_2_7_kernelILj256ELj5EdllEEv20rocsparse_direction_T3_S2_21rocsparse_index_base_PKT1_PKT2_PKS2_S2_S3_PS4_PS7_PS2_, .Lfunc_end251-_ZN9rocsparseL32bsr2csr_block_per_row_2_7_kernelILj256ELj5EdllEEv20rocsparse_direction_T3_S2_21rocsparse_index_base_PKT1_PKT2_PKS2_S2_S3_PS4_PS7_PS2_
                                        ; -- End function
	.set _ZN9rocsparseL32bsr2csr_block_per_row_2_7_kernelILj256ELj5EdllEEv20rocsparse_direction_T3_S2_21rocsparse_index_base_PKT1_PKT2_PKS2_S2_S3_PS4_PS7_PS2_.num_vgpr, 36
	.set _ZN9rocsparseL32bsr2csr_block_per_row_2_7_kernelILj256ELj5EdllEEv20rocsparse_direction_T3_S2_21rocsparse_index_base_PKT1_PKT2_PKS2_S2_S3_PS4_PS7_PS2_.num_agpr, 0
	.set _ZN9rocsparseL32bsr2csr_block_per_row_2_7_kernelILj256ELj5EdllEEv20rocsparse_direction_T3_S2_21rocsparse_index_base_PKT1_PKT2_PKS2_S2_S3_PS4_PS7_PS2_.numbered_sgpr, 18
	.set _ZN9rocsparseL32bsr2csr_block_per_row_2_7_kernelILj256ELj5EdllEEv20rocsparse_direction_T3_S2_21rocsparse_index_base_PKT1_PKT2_PKS2_S2_S3_PS4_PS7_PS2_.num_named_barrier, 0
	.set _ZN9rocsparseL32bsr2csr_block_per_row_2_7_kernelILj256ELj5EdllEEv20rocsparse_direction_T3_S2_21rocsparse_index_base_PKT1_PKT2_PKS2_S2_S3_PS4_PS7_PS2_.private_seg_size, 0
	.set _ZN9rocsparseL32bsr2csr_block_per_row_2_7_kernelILj256ELj5EdllEEv20rocsparse_direction_T3_S2_21rocsparse_index_base_PKT1_PKT2_PKS2_S2_S3_PS4_PS7_PS2_.uses_vcc, 1
	.set _ZN9rocsparseL32bsr2csr_block_per_row_2_7_kernelILj256ELj5EdllEEv20rocsparse_direction_T3_S2_21rocsparse_index_base_PKT1_PKT2_PKS2_S2_S3_PS4_PS7_PS2_.uses_flat_scratch, 0
	.set _ZN9rocsparseL32bsr2csr_block_per_row_2_7_kernelILj256ELj5EdllEEv20rocsparse_direction_T3_S2_21rocsparse_index_base_PKT1_PKT2_PKS2_S2_S3_PS4_PS7_PS2_.has_dyn_sized_stack, 0
	.set _ZN9rocsparseL32bsr2csr_block_per_row_2_7_kernelILj256ELj5EdllEEv20rocsparse_direction_T3_S2_21rocsparse_index_base_PKT1_PKT2_PKS2_S2_S3_PS4_PS7_PS2_.has_recursion, 0
	.set _ZN9rocsparseL32bsr2csr_block_per_row_2_7_kernelILj256ELj5EdllEEv20rocsparse_direction_T3_S2_21rocsparse_index_base_PKT1_PKT2_PKS2_S2_S3_PS4_PS7_PS2_.has_indirect_call, 0
	.section	.AMDGPU.csdata,"",@progbits
; Kernel info:
; codeLenInByte = 840
; TotalNumSgprs: 20
; NumVgprs: 36
; ScratchSize: 0
; MemoryBound: 0
; FloatMode: 240
; IeeeMode: 1
; LDSByteSize: 0 bytes/workgroup (compile time only)
; SGPRBlocks: 0
; VGPRBlocks: 2
; NumSGPRsForWavesPerEU: 20
; NumVGPRsForWavesPerEU: 36
; NamedBarCnt: 0
; Occupancy: 16
; WaveLimiterHint : 0
; COMPUTE_PGM_RSRC2:SCRATCH_EN: 0
; COMPUTE_PGM_RSRC2:USER_SGPR: 2
; COMPUTE_PGM_RSRC2:TRAP_HANDLER: 0
; COMPUTE_PGM_RSRC2:TGID_X_EN: 1
; COMPUTE_PGM_RSRC2:TGID_Y_EN: 0
; COMPUTE_PGM_RSRC2:TGID_Z_EN: 0
; COMPUTE_PGM_RSRC2:TIDIG_COMP_CNT: 0
	.section	.text._ZN9rocsparseL32bsr2csr_block_per_row_2_7_kernelILj256ELj6EdllEEv20rocsparse_direction_T3_S2_21rocsparse_index_base_PKT1_PKT2_PKS2_S2_S3_PS4_PS7_PS2_,"axG",@progbits,_ZN9rocsparseL32bsr2csr_block_per_row_2_7_kernelILj256ELj6EdllEEv20rocsparse_direction_T3_S2_21rocsparse_index_base_PKT1_PKT2_PKS2_S2_S3_PS4_PS7_PS2_,comdat
	.globl	_ZN9rocsparseL32bsr2csr_block_per_row_2_7_kernelILj256ELj6EdllEEv20rocsparse_direction_T3_S2_21rocsparse_index_base_PKT1_PKT2_PKS2_S2_S3_PS4_PS7_PS2_ ; -- Begin function _ZN9rocsparseL32bsr2csr_block_per_row_2_7_kernelILj256ELj6EdllEEv20rocsparse_direction_T3_S2_21rocsparse_index_base_PKT1_PKT2_PKS2_S2_S3_PS4_PS7_PS2_
	.p2align	8
	.type	_ZN9rocsparseL32bsr2csr_block_per_row_2_7_kernelILj256ELj6EdllEEv20rocsparse_direction_T3_S2_21rocsparse_index_base_PKT1_PKT2_PKS2_S2_S3_PS4_PS7_PS2_,@function
_ZN9rocsparseL32bsr2csr_block_per_row_2_7_kernelILj256ELj6EdllEEv20rocsparse_direction_T3_S2_21rocsparse_index_base_PKT1_PKT2_PKS2_S2_S3_PS4_PS7_PS2_: ; @_ZN9rocsparseL32bsr2csr_block_per_row_2_7_kernelILj256ELj6EdllEEv20rocsparse_direction_T3_S2_21rocsparse_index_base_PKT1_PKT2_PKS2_S2_S3_PS4_PS7_PS2_
; %bb.0:
	s_clause 0x1
	s_load_b32 s2, s[0:1], 0x40
	s_load_b64 s[10:11], s[0:1], 0x50
	s_bfe_u32 s3, ttmp6, 0x4000c
	s_and_b32 s4, ttmp6, 15
	s_add_co_i32 s3, s3, 1
	s_getreg_b32 s5, hwreg(HW_REG_IB_STS2, 6, 4)
	s_mul_i32 s3, ttmp9, s3
	s_mov_b32 s13, 0
	s_add_co_i32 s4, s4, s3
	s_cmp_eq_u32 s5, 0
	s_mov_b32 s3, exec_lo
	s_cselect_b32 s12, ttmp9, s4
	s_delay_alu instid0(SALU_CYCLE_1) | instskip(NEXT) | instid1(VALU_DEP_1)
	v_or_b32_e32 v1, s12, v0
	v_cmpx_eq_u32_e32 0, v1
	s_cbranch_execz .LBB252_2
; %bb.1:
	s_wait_kmcnt 0x0
	v_dual_mov_b32 v2, s2 :: v_dual_mov_b32 v3, 0
	global_store_b64 v3, v[2:3], s[10:11]
.LBB252_2:
	s_wait_xcnt 0x0
	s_or_b32 exec_lo, exec_lo, s3
	v_and_b32_e32 v4, 7, v0
	s_mov_b32 s3, exec_lo
	s_delay_alu instid0(VALU_DEP_1)
	v_cmpx_gt_u32_e32 6, v4
	s_cbranch_execz .LBB252_6
; %bb.3:
	s_clause 0x1
	s_load_b64 s[4:5], s[0:1], 0x28
	s_load_b32 s8, s[0:1], 0x18
	s_lshl_b64 s[6:7], s[12:13], 3
	s_mov_b32 s9, 0
	v_dual_mov_b32 v5, 0 :: v_dual_lshrrev_b32 v6, 3, v0
	s_mov_b32 s3, s9
	s_mul_u64 s[12:13], s[12:13], 48
	s_delay_alu instid0(VALU_DEP_1)
	v_mov_b32_e32 v7, v5
	s_wait_kmcnt 0x0
	s_add_nc_u64 s[10:11], s[10:11], s[12:13]
	s_add_nc_u64 s[14:15], s[4:5], s[6:7]
	s_load_b128 s[4:7], s[14:15], 0x0
	s_wait_kmcnt 0x0
	s_sub_nc_u64 s[14:15], s[4:5], s[8:9]
	s_sub_nc_u64 s[6:7], s[6:7], s[8:9]
	v_add_nc_u64_e32 v[0:1], s[14:15], v[6:7]
	s_sub_nc_u64 s[16:17], s[6:7], s[14:15]
	s_mul_u64 s[14:15], s[14:15], 36
	s_mul_u64 s[16:17], s[16:17], 6
	s_delay_alu instid0(SALU_CYCLE_1) | instskip(SKIP_1) | instid1(VALU_DEP_2)
	v_mul_u64_e32 v[2:3], s[16:17], v[4:5]
	s_add_nc_u64 s[16:17], s[16:17], s[2:3]
	v_cmp_gt_i64_e32 vcc_lo, s[6:7], v[0:1]
	s_add_nc_u64 s[14:15], s[16:17], s[14:15]
	s_delay_alu instid0(VALU_DEP_2) | instid1(SALU_CYCLE_1)
	v_add_nc_u64_e32 v[8:9], s[14:15], v[2:3]
	global_store_b64 v4, v[8:9], s[10:11] offset:8 scale_offset
	s_wait_xcnt 0x0
	s_and_b32 exec_lo, exec_lo, vcc_lo
	s_cbranch_execz .LBB252_6
; %bb.4:
	v_mad_nc_u64_u32 v[8:9], s4, 36, v[2:3]
	v_mul_hi_u32_u24_e32 v3, 40, v4
	v_mul_u32_u24_e32 v2, 40, v4
	v_lshlrev_b32_e32 v4, 3, v4
	s_delay_alu instid0(VALU_DEP_1)
	v_mad_nc_u64_u32 v[4:5], 0x120, v0, v[4:5]
	v_mad_u32 v9, s5, 36, v9
	s_clause 0x4
	s_load_b64 s[4:5], s[0:1], 0x58
	s_load_b64 s[10:11], s[0:1], 0x20
	;; [unrolled: 1-line block ×4, first 2 shown]
	s_load_b32 s16, s[0:1], 0x0
	s_wait_xcnt 0x0
	s_mul_u64 s[0:1], s[8:9], 36
	s_delay_alu instid0(VALU_DEP_2) | instskip(NEXT) | instid1(VALU_DEP_2)
	v_mad_u32 v5, 0x120, v1, v5
	v_mad_nc_u64_u32 v[6:7], v6, 6, v[8:9]
	s_wait_kmcnt 0x0
	s_delay_alu instid0(VALU_DEP_2) | instskip(SKIP_2) | instid1(VALU_DEP_3)
	v_add_nc_u64_e32 v[4:5], s[10:11], v[4:5]
	v_lshl_add_u64 v[10:11], v[0:1], 3, s[14:15]
	s_cmp_eq_u32 s16, 0
	v_sub_nc_u64_e64 v[6:7], v[6:7], s[0:1]
	s_cselect_b32 vcc_lo, -1, 0
	s_mov_b32 s1, s9
	s_delay_alu instid0(VALU_DEP_1) | instskip(NEXT) | instid1(VALU_DEP_1)
	v_lshl_add_u64 v[8:9], v[6:7], 3, 24
	v_add_nc_u64_e32 v[6:7], s[12:13], v[8:9]
	v_add_nc_u64_e32 v[8:9], s[4:5], v[8:9]
.LBB252_5:                              ; =>This Inner Loop Header: Depth=1
	global_load_b64 v[24:25], v[10:11], off
	v_add_nc_u64_e32 v[12:13], v[4:5], v[2:3]
	v_add_nc_u64_e32 v[14:15], 48, v[4:5]
	;; [unrolled: 1-line block ×9, first 2 shown]
	v_dual_cndmask_b32 v27, v5, v13 :: v_dual_cndmask_b32 v26, v4, v12
	v_add_nc_u64_e32 v[32:33], 24, v[12:13]
	v_add_nc_u64_e32 v[34:35], 32, v[12:13]
	;; [unrolled: 1-line block ×3, first 2 shown]
	v_cmp_le_i64_e64 s0, s[6:7], v[0:1]
	global_load_b64 v[12:13], v[26:27], off
	s_wait_xcnt 0x0
	v_dual_cndmask_b32 v27, v15, v29 :: v_dual_cndmask_b32 v26, v14, v28
	v_dual_cndmask_b32 v29, v17, v31 :: v_dual_cndmask_b32 v28, v16, v30
	;; [unrolled: 1-line block ×5, first 2 shown]
	global_load_b64 v[14:15], v[26:27], off
	global_load_b64 v[16:17], v[28:29], off
	;; [unrolled: 1-line block ×5, first 2 shown]
	v_add_nc_u64_e32 v[10:11], 0x100, v[10:11]
	v_add_nc_u64_e32 v[4:5], 0x2400, v[4:5]
	s_or_b32 s1, s0, s1
	s_wait_loadcnt 0x6
	s_wait_xcnt 0x4
	v_sub_nc_u64_e64 v[26:27], v[24:25], s[8:9]
	s_delay_alu instid0(VALU_DEP_1) | instskip(NEXT) | instid1(VALU_DEP_1)
	v_mad_nc_u64_u32 v[24:25], v26, 6, s[2:3]
	v_mad_u32 v25, v27, 6, v25
	s_wait_loadcnt 0x4
	global_store_b128 v[6:7], v[12:15], off offset:-24
	s_wait_loadcnt 0x2
	global_store_b128 v[6:7], v[16:19], off offset:-8
	s_wait_loadcnt 0x0
	global_store_b128 v[6:7], v[20:23], off offset:8
	s_wait_xcnt 0x0
	v_add_nc_u64_e32 v[6:7], 0x600, v[6:7]
	v_add_nc_u64_e32 v[26:27], 1, v[24:25]
	;; [unrolled: 1-line block ×6, first 2 shown]
	s_clause 0x2
	global_store_b128 v[8:9], v[24:27], off offset:-24
	global_store_b128 v[8:9], v[12:15], off offset:-8
	global_store_b128 v[8:9], v[28:31], off offset:8
	s_wait_xcnt 0x0
	v_add_nc_u64_e32 v[8:9], 0x600, v[8:9]
	s_and_not1_b32 exec_lo, exec_lo, s1
	s_cbranch_execnz .LBB252_5
.LBB252_6:
	s_endpgm
	.section	.rodata,"a",@progbits
	.p2align	6, 0x0
	.amdhsa_kernel _ZN9rocsparseL32bsr2csr_block_per_row_2_7_kernelILj256ELj6EdllEEv20rocsparse_direction_T3_S2_21rocsparse_index_base_PKT1_PKT2_PKS2_S2_S3_PS4_PS7_PS2_
		.amdhsa_group_segment_fixed_size 0
		.amdhsa_private_segment_fixed_size 0
		.amdhsa_kernarg_size 96
		.amdhsa_user_sgpr_count 2
		.amdhsa_user_sgpr_dispatch_ptr 0
		.amdhsa_user_sgpr_queue_ptr 0
		.amdhsa_user_sgpr_kernarg_segment_ptr 1
		.amdhsa_user_sgpr_dispatch_id 0
		.amdhsa_user_sgpr_kernarg_preload_length 0
		.amdhsa_user_sgpr_kernarg_preload_offset 0
		.amdhsa_user_sgpr_private_segment_size 0
		.amdhsa_wavefront_size32 1
		.amdhsa_uses_dynamic_stack 0
		.amdhsa_enable_private_segment 0
		.amdhsa_system_sgpr_workgroup_id_x 1
		.amdhsa_system_sgpr_workgroup_id_y 0
		.amdhsa_system_sgpr_workgroup_id_z 0
		.amdhsa_system_sgpr_workgroup_info 0
		.amdhsa_system_vgpr_workitem_id 0
		.amdhsa_next_free_vgpr 38
		.amdhsa_next_free_sgpr 18
		.amdhsa_named_barrier_count 0
		.amdhsa_reserve_vcc 1
		.amdhsa_float_round_mode_32 0
		.amdhsa_float_round_mode_16_64 0
		.amdhsa_float_denorm_mode_32 3
		.amdhsa_float_denorm_mode_16_64 3
		.amdhsa_fp16_overflow 0
		.amdhsa_memory_ordered 1
		.amdhsa_forward_progress 1
		.amdhsa_inst_pref_size 7
		.amdhsa_round_robin_scheduling 0
		.amdhsa_exception_fp_ieee_invalid_op 0
		.amdhsa_exception_fp_denorm_src 0
		.amdhsa_exception_fp_ieee_div_zero 0
		.amdhsa_exception_fp_ieee_overflow 0
		.amdhsa_exception_fp_ieee_underflow 0
		.amdhsa_exception_fp_ieee_inexact 0
		.amdhsa_exception_int_div_zero 0
	.end_amdhsa_kernel
	.section	.text._ZN9rocsparseL32bsr2csr_block_per_row_2_7_kernelILj256ELj6EdllEEv20rocsparse_direction_T3_S2_21rocsparse_index_base_PKT1_PKT2_PKS2_S2_S3_PS4_PS7_PS2_,"axG",@progbits,_ZN9rocsparseL32bsr2csr_block_per_row_2_7_kernelILj256ELj6EdllEEv20rocsparse_direction_T3_S2_21rocsparse_index_base_PKT1_PKT2_PKS2_S2_S3_PS4_PS7_PS2_,comdat
.Lfunc_end252:
	.size	_ZN9rocsparseL32bsr2csr_block_per_row_2_7_kernelILj256ELj6EdllEEv20rocsparse_direction_T3_S2_21rocsparse_index_base_PKT1_PKT2_PKS2_S2_S3_PS4_PS7_PS2_, .Lfunc_end252-_ZN9rocsparseL32bsr2csr_block_per_row_2_7_kernelILj256ELj6EdllEEv20rocsparse_direction_T3_S2_21rocsparse_index_base_PKT1_PKT2_PKS2_S2_S3_PS4_PS7_PS2_
                                        ; -- End function
	.set _ZN9rocsparseL32bsr2csr_block_per_row_2_7_kernelILj256ELj6EdllEEv20rocsparse_direction_T3_S2_21rocsparse_index_base_PKT1_PKT2_PKS2_S2_S3_PS4_PS7_PS2_.num_vgpr, 38
	.set _ZN9rocsparseL32bsr2csr_block_per_row_2_7_kernelILj256ELj6EdllEEv20rocsparse_direction_T3_S2_21rocsparse_index_base_PKT1_PKT2_PKS2_S2_S3_PS4_PS7_PS2_.num_agpr, 0
	.set _ZN9rocsparseL32bsr2csr_block_per_row_2_7_kernelILj256ELj6EdllEEv20rocsparse_direction_T3_S2_21rocsparse_index_base_PKT1_PKT2_PKS2_S2_S3_PS4_PS7_PS2_.numbered_sgpr, 18
	.set _ZN9rocsparseL32bsr2csr_block_per_row_2_7_kernelILj256ELj6EdllEEv20rocsparse_direction_T3_S2_21rocsparse_index_base_PKT1_PKT2_PKS2_S2_S3_PS4_PS7_PS2_.num_named_barrier, 0
	.set _ZN9rocsparseL32bsr2csr_block_per_row_2_7_kernelILj256ELj6EdllEEv20rocsparse_direction_T3_S2_21rocsparse_index_base_PKT1_PKT2_PKS2_S2_S3_PS4_PS7_PS2_.private_seg_size, 0
	.set _ZN9rocsparseL32bsr2csr_block_per_row_2_7_kernelILj256ELj6EdllEEv20rocsparse_direction_T3_S2_21rocsparse_index_base_PKT1_PKT2_PKS2_S2_S3_PS4_PS7_PS2_.uses_vcc, 1
	.set _ZN9rocsparseL32bsr2csr_block_per_row_2_7_kernelILj256ELj6EdllEEv20rocsparse_direction_T3_S2_21rocsparse_index_base_PKT1_PKT2_PKS2_S2_S3_PS4_PS7_PS2_.uses_flat_scratch, 0
	.set _ZN9rocsparseL32bsr2csr_block_per_row_2_7_kernelILj256ELj6EdllEEv20rocsparse_direction_T3_S2_21rocsparse_index_base_PKT1_PKT2_PKS2_S2_S3_PS4_PS7_PS2_.has_dyn_sized_stack, 0
	.set _ZN9rocsparseL32bsr2csr_block_per_row_2_7_kernelILj256ELj6EdllEEv20rocsparse_direction_T3_S2_21rocsparse_index_base_PKT1_PKT2_PKS2_S2_S3_PS4_PS7_PS2_.has_recursion, 0
	.set _ZN9rocsparseL32bsr2csr_block_per_row_2_7_kernelILj256ELj6EdllEEv20rocsparse_direction_T3_S2_21rocsparse_index_base_PKT1_PKT2_PKS2_S2_S3_PS4_PS7_PS2_.has_indirect_call, 0
	.section	.AMDGPU.csdata,"",@progbits
; Kernel info:
; codeLenInByte = 872
; TotalNumSgprs: 20
; NumVgprs: 38
; ScratchSize: 0
; MemoryBound: 0
; FloatMode: 240
; IeeeMode: 1
; LDSByteSize: 0 bytes/workgroup (compile time only)
; SGPRBlocks: 0
; VGPRBlocks: 2
; NumSGPRsForWavesPerEU: 20
; NumVGPRsForWavesPerEU: 38
; NamedBarCnt: 0
; Occupancy: 16
; WaveLimiterHint : 0
; COMPUTE_PGM_RSRC2:SCRATCH_EN: 0
; COMPUTE_PGM_RSRC2:USER_SGPR: 2
; COMPUTE_PGM_RSRC2:TRAP_HANDLER: 0
; COMPUTE_PGM_RSRC2:TGID_X_EN: 1
; COMPUTE_PGM_RSRC2:TGID_Y_EN: 0
; COMPUTE_PGM_RSRC2:TGID_Z_EN: 0
; COMPUTE_PGM_RSRC2:TIDIG_COMP_CNT: 0
	.section	.text._ZN9rocsparseL32bsr2csr_block_per_row_2_7_kernelILj256ELj7EdllEEv20rocsparse_direction_T3_S2_21rocsparse_index_base_PKT1_PKT2_PKS2_S2_S3_PS4_PS7_PS2_,"axG",@progbits,_ZN9rocsparseL32bsr2csr_block_per_row_2_7_kernelILj256ELj7EdllEEv20rocsparse_direction_T3_S2_21rocsparse_index_base_PKT1_PKT2_PKS2_S2_S3_PS4_PS7_PS2_,comdat
	.globl	_ZN9rocsparseL32bsr2csr_block_per_row_2_7_kernelILj256ELj7EdllEEv20rocsparse_direction_T3_S2_21rocsparse_index_base_PKT1_PKT2_PKS2_S2_S3_PS4_PS7_PS2_ ; -- Begin function _ZN9rocsparseL32bsr2csr_block_per_row_2_7_kernelILj256ELj7EdllEEv20rocsparse_direction_T3_S2_21rocsparse_index_base_PKT1_PKT2_PKS2_S2_S3_PS4_PS7_PS2_
	.p2align	8
	.type	_ZN9rocsparseL32bsr2csr_block_per_row_2_7_kernelILj256ELj7EdllEEv20rocsparse_direction_T3_S2_21rocsparse_index_base_PKT1_PKT2_PKS2_S2_S3_PS4_PS7_PS2_,@function
_ZN9rocsparseL32bsr2csr_block_per_row_2_7_kernelILj256ELj7EdllEEv20rocsparse_direction_T3_S2_21rocsparse_index_base_PKT1_PKT2_PKS2_S2_S3_PS4_PS7_PS2_: ; @_ZN9rocsparseL32bsr2csr_block_per_row_2_7_kernelILj256ELj7EdllEEv20rocsparse_direction_T3_S2_21rocsparse_index_base_PKT1_PKT2_PKS2_S2_S3_PS4_PS7_PS2_
; %bb.0:
	s_clause 0x1
	s_load_b32 s2, s[0:1], 0x40
	s_load_b64 s[10:11], s[0:1], 0x50
	s_bfe_u32 s3, ttmp6, 0x4000c
	s_and_b32 s4, ttmp6, 15
	s_add_co_i32 s3, s3, 1
	s_getreg_b32 s5, hwreg(HW_REG_IB_STS2, 6, 4)
	s_mul_i32 s3, ttmp9, s3
	s_mov_b32 s13, 0
	s_add_co_i32 s4, s4, s3
	s_cmp_eq_u32 s5, 0
	s_mov_b32 s3, exec_lo
	s_cselect_b32 s12, ttmp9, s4
	s_delay_alu instid0(SALU_CYCLE_1) | instskip(NEXT) | instid1(VALU_DEP_1)
	v_or_b32_e32 v1, s12, v0
	v_cmpx_eq_u32_e32 0, v1
	s_cbranch_execz .LBB253_2
; %bb.1:
	s_wait_kmcnt 0x0
	v_dual_mov_b32 v2, s2 :: v_dual_mov_b32 v3, 0
	global_store_b64 v3, v[2:3], s[10:11]
.LBB253_2:
	s_wait_xcnt 0x0
	s_or_b32 exec_lo, exec_lo, s3
	v_and_b32_e32 v4, 7, v0
	s_mov_b32 s3, exec_lo
	s_delay_alu instid0(VALU_DEP_1)
	v_cmpx_ne_u32_e32 7, v4
	s_cbranch_execz .LBB253_6
; %bb.3:
	s_clause 0x1
	s_load_b64 s[4:5], s[0:1], 0x28
	s_load_b32 s8, s[0:1], 0x18
	s_lshl_b64 s[6:7], s[12:13], 3
	s_mov_b32 s9, 0
	v_dual_mov_b32 v5, 0 :: v_dual_lshrrev_b32 v6, 3, v0
	s_mov_b32 s3, s9
	s_mul_u64 s[12:13], s[12:13], 56
	s_delay_alu instid0(VALU_DEP_1)
	v_mov_b32_e32 v7, v5
	s_wait_kmcnt 0x0
	s_add_nc_u64 s[10:11], s[10:11], s[12:13]
	s_add_nc_u64 s[14:15], s[4:5], s[6:7]
	s_load_b128 s[4:7], s[14:15], 0x0
	s_wait_kmcnt 0x0
	s_sub_nc_u64 s[14:15], s[4:5], s[8:9]
	s_sub_nc_u64 s[6:7], s[6:7], s[8:9]
	v_add_nc_u64_e32 v[0:1], s[14:15], v[6:7]
	s_sub_nc_u64 s[16:17], s[6:7], s[14:15]
	s_mul_u64 s[14:15], s[14:15], 49
	s_mul_u64 s[16:17], s[16:17], 7
	s_delay_alu instid0(SALU_CYCLE_1) | instskip(SKIP_1) | instid1(VALU_DEP_2)
	v_mul_u64_e32 v[2:3], s[16:17], v[4:5]
	s_add_nc_u64 s[16:17], s[16:17], s[2:3]
	v_cmp_gt_i64_e32 vcc_lo, s[6:7], v[0:1]
	s_add_nc_u64 s[14:15], s[16:17], s[14:15]
	s_delay_alu instid0(VALU_DEP_2) | instid1(SALU_CYCLE_1)
	v_add_nc_u64_e32 v[8:9], s[14:15], v[2:3]
	global_store_b64 v4, v[8:9], s[10:11] offset:8 scale_offset
	s_wait_xcnt 0x0
	s_and_b32 exec_lo, exec_lo, vcc_lo
	s_cbranch_execz .LBB253_6
; %bb.4:
	v_mad_nc_u64_u32 v[8:9], s4, 49, v[2:3]
	v_mul_hi_u32_u24_e32 v3, 48, v4
	v_mul_u32_u24_e32 v2, 48, v4
	v_lshlrev_b32_e32 v4, 3, v4
	s_delay_alu instid0(VALU_DEP_1)
	v_mad_nc_u64_u32 v[4:5], 0x188, v0, v[4:5]
	v_mad_u32 v9, s5, 49, v9
	s_clause 0x4
	s_load_b64 s[4:5], s[0:1], 0x58
	s_load_b64 s[10:11], s[0:1], 0x20
	;; [unrolled: 1-line block ×4, first 2 shown]
	s_load_b32 s16, s[0:1], 0x0
	s_wait_xcnt 0x0
	s_mul_u64 s[0:1], s[8:9], 49
	s_delay_alu instid0(VALU_DEP_2) | instskip(NEXT) | instid1(VALU_DEP_2)
	v_mad_u32 v5, 0x188, v1, v5
	v_mad_nc_u64_u32 v[6:7], v6, 7, v[8:9]
	s_wait_kmcnt 0x0
	s_delay_alu instid0(VALU_DEP_2) | instskip(SKIP_2) | instid1(VALU_DEP_3)
	v_add_nc_u64_e32 v[4:5], s[10:11], v[4:5]
	v_lshl_add_u64 v[10:11], v[0:1], 3, s[14:15]
	s_cmp_eq_u32 s16, 0
	v_sub_nc_u64_e64 v[6:7], v[6:7], s[0:1]
	s_cselect_b32 vcc_lo, -1, 0
	s_mov_b32 s1, s9
	s_delay_alu instid0(VALU_DEP_1) | instskip(NEXT) | instid1(VALU_DEP_1)
	v_lshl_add_u64 v[8:9], v[6:7], 3, 24
	v_add_nc_u64_e32 v[6:7], s[12:13], v[8:9]
	v_add_nc_u64_e32 v[8:9], s[4:5], v[8:9]
.LBB253_5:                              ; =>This Inner Loop Header: Depth=1
	global_load_b64 v[24:25], v[10:11], off
	v_add_nc_u64_e32 v[12:13], v[4:5], v[2:3]
	v_add_nc_u64_e32 v[14:15], 56, v[4:5]
	;; [unrolled: 1-line block ×9, first 2 shown]
	v_dual_cndmask_b32 v29, v5, v13 :: v_dual_cndmask_b32 v28, v4, v12
	v_add_nc_u64_e32 v[34:35], 24, v[12:13]
	v_add_nc_u64_e32 v[36:37], 32, v[12:13]
	;; [unrolled: 1-line block ×4, first 2 shown]
	global_load_b64 v[12:13], v[28:29], off
	s_wait_xcnt 0x0
	v_dual_cndmask_b32 v29, v15, v31 :: v_dual_cndmask_b32 v28, v14, v30
	v_dual_cndmask_b32 v31, v17, v33 :: v_dual_cndmask_b32 v30, v16, v32
	;; [unrolled: 1-line block ×6, first 2 shown]
	global_load_b64 v[14:15], v[28:29], off
	global_load_b64 v[16:17], v[30:31], off
	;; [unrolled: 1-line block ×6, first 2 shown]
	v_add_nc_u64_e32 v[0:1], 32, v[0:1]
	v_add_nc_u64_e32 v[10:11], 0x100, v[10:11]
	;; [unrolled: 1-line block ×3, first 2 shown]
	s_wait_loadcnt 0x5
	global_store_b128 v[6:7], v[12:15], off offset:-24
	s_wait_loadcnt 0x3
	global_store_b128 v[6:7], v[16:19], off offset:-8
	s_wait_loadcnt 0x1
	global_store_b128 v[6:7], v[20:23], off offset:8
	s_wait_xcnt 0x3
	v_sub_nc_u64_e64 v[26:27], v[24:25], s[8:9]
	v_cmp_le_i64_e64 s0, s[6:7], v[0:1]
	s_wait_loadcnt 0x0
	global_store_b64 v[6:7], v[38:39], off offset:24
	s_wait_xcnt 0x0
	v_add_nc_u64_e32 v[6:7], 0x700, v[6:7]
	v_mad_nc_u64_u32 v[24:25], v26, 7, s[2:3]
	s_or_b32 s1, s0, s1
	s_delay_alu instid0(VALU_DEP_1) | instskip(NEXT) | instid1(VALU_DEP_1)
	v_mad_u32 v25, v27, 7, v25
	v_add_nc_u64_e32 v[26:27], 1, v[24:25]
	v_add_nc_u64_e32 v[12:13], 2, v[24:25]
	;; [unrolled: 1-line block ×6, first 2 shown]
	s_clause 0x3
	global_store_b128 v[8:9], v[24:27], off offset:-24
	global_store_b128 v[8:9], v[12:15], off offset:-8
	global_store_b128 v[8:9], v[16:19], off offset:8
	global_store_b64 v[8:9], v[20:21], off offset:24
	s_wait_xcnt 0x0
	v_add_nc_u64_e32 v[8:9], 0x700, v[8:9]
	s_and_not1_b32 exec_lo, exec_lo, s1
	s_cbranch_execnz .LBB253_5
.LBB253_6:
	s_endpgm
	.section	.rodata,"a",@progbits
	.p2align	6, 0x0
	.amdhsa_kernel _ZN9rocsparseL32bsr2csr_block_per_row_2_7_kernelILj256ELj7EdllEEv20rocsparse_direction_T3_S2_21rocsparse_index_base_PKT1_PKT2_PKS2_S2_S3_PS4_PS7_PS2_
		.amdhsa_group_segment_fixed_size 0
		.amdhsa_private_segment_fixed_size 0
		.amdhsa_kernarg_size 96
		.amdhsa_user_sgpr_count 2
		.amdhsa_user_sgpr_dispatch_ptr 0
		.amdhsa_user_sgpr_queue_ptr 0
		.amdhsa_user_sgpr_kernarg_segment_ptr 1
		.amdhsa_user_sgpr_dispatch_id 0
		.amdhsa_user_sgpr_kernarg_preload_length 0
		.amdhsa_user_sgpr_kernarg_preload_offset 0
		.amdhsa_user_sgpr_private_segment_size 0
		.amdhsa_wavefront_size32 1
		.amdhsa_uses_dynamic_stack 0
		.amdhsa_enable_private_segment 0
		.amdhsa_system_sgpr_workgroup_id_x 1
		.amdhsa_system_sgpr_workgroup_id_y 0
		.amdhsa_system_sgpr_workgroup_id_z 0
		.amdhsa_system_sgpr_workgroup_info 0
		.amdhsa_system_vgpr_workitem_id 0
		.amdhsa_next_free_vgpr 42
		.amdhsa_next_free_sgpr 18
		.amdhsa_named_barrier_count 0
		.amdhsa_reserve_vcc 1
		.amdhsa_float_round_mode_32 0
		.amdhsa_float_round_mode_16_64 0
		.amdhsa_float_denorm_mode_32 3
		.amdhsa_float_denorm_mode_16_64 3
		.amdhsa_fp16_overflow 0
		.amdhsa_memory_ordered 1
		.amdhsa_forward_progress 1
		.amdhsa_inst_pref_size 8
		.amdhsa_round_robin_scheduling 0
		.amdhsa_exception_fp_ieee_invalid_op 0
		.amdhsa_exception_fp_denorm_src 0
		.amdhsa_exception_fp_ieee_div_zero 0
		.amdhsa_exception_fp_ieee_overflow 0
		.amdhsa_exception_fp_ieee_underflow 0
		.amdhsa_exception_fp_ieee_inexact 0
		.amdhsa_exception_int_div_zero 0
	.end_amdhsa_kernel
	.section	.text._ZN9rocsparseL32bsr2csr_block_per_row_2_7_kernelILj256ELj7EdllEEv20rocsparse_direction_T3_S2_21rocsparse_index_base_PKT1_PKT2_PKS2_S2_S3_PS4_PS7_PS2_,"axG",@progbits,_ZN9rocsparseL32bsr2csr_block_per_row_2_7_kernelILj256ELj7EdllEEv20rocsparse_direction_T3_S2_21rocsparse_index_base_PKT1_PKT2_PKS2_S2_S3_PS4_PS7_PS2_,comdat
.Lfunc_end253:
	.size	_ZN9rocsparseL32bsr2csr_block_per_row_2_7_kernelILj256ELj7EdllEEv20rocsparse_direction_T3_S2_21rocsparse_index_base_PKT1_PKT2_PKS2_S2_S3_PS4_PS7_PS2_, .Lfunc_end253-_ZN9rocsparseL32bsr2csr_block_per_row_2_7_kernelILj256ELj7EdllEEv20rocsparse_direction_T3_S2_21rocsparse_index_base_PKT1_PKT2_PKS2_S2_S3_PS4_PS7_PS2_
                                        ; -- End function
	.set _ZN9rocsparseL32bsr2csr_block_per_row_2_7_kernelILj256ELj7EdllEEv20rocsparse_direction_T3_S2_21rocsparse_index_base_PKT1_PKT2_PKS2_S2_S3_PS4_PS7_PS2_.num_vgpr, 42
	.set _ZN9rocsparseL32bsr2csr_block_per_row_2_7_kernelILj256ELj7EdllEEv20rocsparse_direction_T3_S2_21rocsparse_index_base_PKT1_PKT2_PKS2_S2_S3_PS4_PS7_PS2_.num_agpr, 0
	.set _ZN9rocsparseL32bsr2csr_block_per_row_2_7_kernelILj256ELj7EdllEEv20rocsparse_direction_T3_S2_21rocsparse_index_base_PKT1_PKT2_PKS2_S2_S3_PS4_PS7_PS2_.numbered_sgpr, 18
	.set _ZN9rocsparseL32bsr2csr_block_per_row_2_7_kernelILj256ELj7EdllEEv20rocsparse_direction_T3_S2_21rocsparse_index_base_PKT1_PKT2_PKS2_S2_S3_PS4_PS7_PS2_.num_named_barrier, 0
	.set _ZN9rocsparseL32bsr2csr_block_per_row_2_7_kernelILj256ELj7EdllEEv20rocsparse_direction_T3_S2_21rocsparse_index_base_PKT1_PKT2_PKS2_S2_S3_PS4_PS7_PS2_.private_seg_size, 0
	.set _ZN9rocsparseL32bsr2csr_block_per_row_2_7_kernelILj256ELj7EdllEEv20rocsparse_direction_T3_S2_21rocsparse_index_base_PKT1_PKT2_PKS2_S2_S3_PS4_PS7_PS2_.uses_vcc, 1
	.set _ZN9rocsparseL32bsr2csr_block_per_row_2_7_kernelILj256ELj7EdllEEv20rocsparse_direction_T3_S2_21rocsparse_index_base_PKT1_PKT2_PKS2_S2_S3_PS4_PS7_PS2_.uses_flat_scratch, 0
	.set _ZN9rocsparseL32bsr2csr_block_per_row_2_7_kernelILj256ELj7EdllEEv20rocsparse_direction_T3_S2_21rocsparse_index_base_PKT1_PKT2_PKS2_S2_S3_PS4_PS7_PS2_.has_dyn_sized_stack, 0
	.set _ZN9rocsparseL32bsr2csr_block_per_row_2_7_kernelILj256ELj7EdllEEv20rocsparse_direction_T3_S2_21rocsparse_index_base_PKT1_PKT2_PKS2_S2_S3_PS4_PS7_PS2_.has_recursion, 0
	.set _ZN9rocsparseL32bsr2csr_block_per_row_2_7_kernelILj256ELj7EdllEEv20rocsparse_direction_T3_S2_21rocsparse_index_base_PKT1_PKT2_PKS2_S2_S3_PS4_PS7_PS2_.has_indirect_call, 0
	.section	.AMDGPU.csdata,"",@progbits
; Kernel info:
; codeLenInByte = 932
; TotalNumSgprs: 20
; NumVgprs: 42
; ScratchSize: 0
; MemoryBound: 0
; FloatMode: 240
; IeeeMode: 1
; LDSByteSize: 0 bytes/workgroup (compile time only)
; SGPRBlocks: 0
; VGPRBlocks: 2
; NumSGPRsForWavesPerEU: 20
; NumVGPRsForWavesPerEU: 42
; NamedBarCnt: 0
; Occupancy: 16
; WaveLimiterHint : 0
; COMPUTE_PGM_RSRC2:SCRATCH_EN: 0
; COMPUTE_PGM_RSRC2:USER_SGPR: 2
; COMPUTE_PGM_RSRC2:TRAP_HANDLER: 0
; COMPUTE_PGM_RSRC2:TGID_X_EN: 1
; COMPUTE_PGM_RSRC2:TGID_Y_EN: 0
; COMPUTE_PGM_RSRC2:TGID_Z_EN: 0
; COMPUTE_PGM_RSRC2:TIDIG_COMP_CNT: 0
	.section	.text._ZN9rocsparseL33bsr2csr_block_per_row_8_32_kernelILj1024ELj8EdllEEv20rocsparse_direction_T3_S2_21rocsparse_index_base_PKT1_PKT2_PKS2_S2_S3_PS4_PS7_PS2_,"axG",@progbits,_ZN9rocsparseL33bsr2csr_block_per_row_8_32_kernelILj1024ELj8EdllEEv20rocsparse_direction_T3_S2_21rocsparse_index_base_PKT1_PKT2_PKS2_S2_S3_PS4_PS7_PS2_,comdat
	.globl	_ZN9rocsparseL33bsr2csr_block_per_row_8_32_kernelILj1024ELj8EdllEEv20rocsparse_direction_T3_S2_21rocsparse_index_base_PKT1_PKT2_PKS2_S2_S3_PS4_PS7_PS2_ ; -- Begin function _ZN9rocsparseL33bsr2csr_block_per_row_8_32_kernelILj1024ELj8EdllEEv20rocsparse_direction_T3_S2_21rocsparse_index_base_PKT1_PKT2_PKS2_S2_S3_PS4_PS7_PS2_
	.p2align	8
	.type	_ZN9rocsparseL33bsr2csr_block_per_row_8_32_kernelILj1024ELj8EdllEEv20rocsparse_direction_T3_S2_21rocsparse_index_base_PKT1_PKT2_PKS2_S2_S3_PS4_PS7_PS2_,@function
_ZN9rocsparseL33bsr2csr_block_per_row_8_32_kernelILj1024ELj8EdllEEv20rocsparse_direction_T3_S2_21rocsparse_index_base_PKT1_PKT2_PKS2_S2_S3_PS4_PS7_PS2_: ; @_ZN9rocsparseL33bsr2csr_block_per_row_8_32_kernelILj1024ELj8EdllEEv20rocsparse_direction_T3_S2_21rocsparse_index_base_PKT1_PKT2_PKS2_S2_S3_PS4_PS7_PS2_
; %bb.0:
	s_clause 0x1
	s_load_b32 s6, s[0:1], 0x40
	s_load_b64 s[12:13], s[0:1], 0x50
	s_bfe_u32 s2, ttmp6, 0x4000c
	s_and_b32 s3, ttmp6, 15
	s_add_co_i32 s2, s2, 1
	s_getreg_b32 s4, hwreg(HW_REG_IB_STS2, 6, 4)
	s_mul_i32 s2, ttmp9, s2
	s_mov_b32 s15, 0
	s_add_co_i32 s3, s3, s2
	s_cmp_eq_u32 s4, 0
	s_mov_b32 s2, exec_lo
	s_cselect_b32 s14, ttmp9, s3
	s_delay_alu instid0(SALU_CYCLE_1) | instskip(NEXT) | instid1(VALU_DEP_1)
	v_or_b32_e32 v1, s14, v0
	v_cmpx_eq_u32_e32 0, v1
	s_cbranch_execz .LBB254_2
; %bb.1:
	s_wait_kmcnt 0x0
	v_dual_mov_b32 v2, s6 :: v_dual_mov_b32 v3, 0
	global_store_b64 v3, v[2:3], s[12:13]
.LBB254_2:
	s_wait_xcnt 0x0
	s_or_b32 exec_lo, exec_lo, s2
	v_dual_mov_b32 v3, 0 :: v_dual_bitop2_b32 v2, 7, v0 bitop3:0x40
	v_bfe_u32 v4, v0, 3, 3
	s_load_b64 s[2:3], s[0:1], 0x38
	s_mov_b32 s4, exec_lo
	s_delay_alu instid0(VALU_DEP_2) | instskip(NEXT) | instid1(VALU_DEP_1)
	v_mov_b32_e32 v5, v3
	v_max_i64 v[6:7], v[4:5], v[2:3]
	s_wait_kmcnt 0x0
	s_delay_alu instid0(VALU_DEP_1)
	v_cmpx_gt_i64_e64 s[2:3], v[6:7]
	s_cbranch_execz .LBB254_6
; %bb.3:
	s_clause 0x1
	s_load_b64 s[8:9], s[0:1], 0x28
	s_load_b32 s4, s[0:1], 0x18
	s_lshl_b64 s[10:11], s[14:15], 3
	s_mov_b32 s5, 0
	v_dual_mov_b32 v7, v3 :: v_dual_lshrrev_b32 v6, 6, v0
	s_mov_b32 s7, s5
	s_mul_u64 s[14:15], s[2:3], s[14:15]
	s_delay_alu instid0(SALU_CYCLE_1) | instskip(NEXT) | instid1(SALU_CYCLE_1)
	s_lshl_b64 s[14:15], s[14:15], 3
	s_add_nc_u64 s[12:13], s[12:13], s[14:15]
	s_wait_kmcnt 0x0
	s_add_nc_u64 s[16:17], s[8:9], s[10:11]
	s_load_b128 s[8:11], s[16:17], 0x0
	s_wait_kmcnt 0x0
	s_sub_nc_u64 s[18:19], s[8:9], s[4:5]
	s_sub_nc_u64 s[8:9], s[10:11], s[4:5]
	s_mul_u64 s[10:11], s[2:3], s[2:3]
	s_sub_nc_u64 s[16:17], s[8:9], s[18:19]
	s_mul_u64 s[22:23], s[18:19], s[10:11]
	s_mul_u64 s[20:21], s[16:17], s[2:3]
	v_add_nc_u64_e32 v[0:1], s[18:19], v[6:7]
	s_add_nc_u64 s[24:25], s[20:21], s[6:7]
	s_delay_alu instid0(SALU_CYCLE_1) | instskip(NEXT) | instid1(SALU_CYCLE_1)
	s_add_nc_u64 s[22:23], s[24:25], s[22:23]
	v_mad_nc_u64_u32 v[8:9], s20, v4, s[22:23]
	s_delay_alu instid0(VALU_DEP_2) | instskip(NEXT) | instid1(VALU_DEP_2)
	v_cmp_gt_i64_e32 vcc_lo, s[8:9], v[0:1]
	v_mad_u32 v9, s21, v4, v9
	global_store_b64 v4, v[8:9], s[12:13] offset:8 scale_offset
	s_wait_xcnt 0x0
	s_and_b32 exec_lo, exec_lo, vcc_lo
	s_cbranch_execz .LBB254_6
; %bb.4:
	v_mad_nc_u64_u32 v[6:7], s2, s18, v[6:7]
	s_mul_i32 s12, s3, s18
	s_mul_i32 s13, s2, s19
	v_mul_u64_e32 v[8:9], s[2:3], v[2:3]
	v_mul_u64_e32 v[10:11], s[2:3], v[4:5]
	s_load_b64 s[14:15], s[0:1], 0x20
	v_mul_u64_e32 v[12:13], s[10:11], v[0:1]
	v_dual_mov_b32 v15, 0 :: v_dual_lshlrev_b32 v14, 3, v4
	v_add3_u32 v7, s13, s12, v7
	s_delay_alu instid0(VALU_DEP_1) | instskip(NEXT) | instid1(VALU_DEP_1)
	v_mad_nc_u64_u32 v[6:7], s16, v4, v[6:7]
	v_mad_u32 v7, s17, v4, v7
	s_clause 0x2
	s_load_b64 s[16:17], s[0:1], 0x30
	s_load_b64 s[12:13], s[0:1], 0x48
	s_load_b32 s18, s[0:1], 0x0
	s_wait_kmcnt 0x0
	v_lshl_add_u64 v[4:5], v[8:9], 3, s[14:15]
	v_lshl_add_u64 v[8:9], v[10:11], 3, s[14:15]
	s_load_b64 s[0:1], s[0:1], 0x58
	s_delay_alu instid0(VALU_DEP_3)
	v_mul_u64_e32 v[6:7], s[2:3], v[6:7]
	s_mov_b32 s14, s5
	v_add_nc_u64_e32 v[4:5], v[4:5], v[14:15]
	s_cmp_eq_u32 s18, 0
	s_cselect_b32 vcc_lo, -1, 0
	v_lshlrev_b32_e32 v14, 3, v2
	v_add_nc_u64_e32 v[2:3], s[6:7], v[2:3]
	s_lshl_b64 s[6:7], s[10:11], 7
	s_lshl_b64 s[10:11], s[2:3], 7
	s_delay_alu instid0(VALU_DEP_2) | instskip(NEXT) | instid1(VALU_DEP_1)
	v_add_nc_u64_e32 v[8:9], v[8:9], v[14:15]
	v_dual_cndmask_b32 v5, v5, v9 :: v_dual_cndmask_b32 v4, v4, v8
	v_lshl_add_u64 v[8:9], v[0:1], 3, s[16:17]
	s_delay_alu instid0(VALU_DEP_2)
	v_lshl_add_u64 v[4:5], v[12:13], 3, v[4:5]
	v_lshl_add_u64 v[6:7], v[6:7], 3, v[14:15]
.LBB254_5:                              ; =>This Inner Loop Header: Depth=1
	global_load_b64 v[10:11], v[8:9], off
	global_load_b64 v[12:13], v[4:5], off
	v_add_nc_u64_e32 v[0:1], 16, v[0:1]
	s_wait_kmcnt 0x0
	v_add_nc_u64_e32 v[16:17], s[0:1], v[6:7]
	s_wait_xcnt 0x0
	v_add_nc_u64_e32 v[4:5], s[6:7], v[4:5]
	v_add_nc_u64_e32 v[8:9], 0x80, v[8:9]
	s_delay_alu instid0(VALU_DEP_4) | instskip(SKIP_3) | instid1(VALU_DEP_1)
	v_cmp_le_i64_e32 vcc_lo, s[8:9], v[0:1]
	s_or_b32 s14, vcc_lo, s14
	s_wait_loadcnt 0x1
	v_sub_nc_u64_e64 v[10:11], v[10:11], s[4:5]
	v_mad_nc_u64_u32 v[14:15], v10, s2, v[2:3]
	s_delay_alu instid0(VALU_DEP_1) | instskip(NEXT) | instid1(VALU_DEP_1)
	v_mad_u32 v11, v11, s2, v15
	v_mad_u32 v15, v10, s3, v11
	v_add_nc_u64_e32 v[10:11], s[12:13], v[6:7]
	v_add_nc_u64_e32 v[6:7], s[10:11], v[6:7]
	s_wait_loadcnt 0x0
	global_store_b64 v[10:11], v[12:13], off
	global_store_b64 v[16:17], v[14:15], off
	s_wait_xcnt 0x0
	s_and_not1_b32 exec_lo, exec_lo, s14
	s_cbranch_execnz .LBB254_5
.LBB254_6:
	s_endpgm
	.section	.rodata,"a",@progbits
	.p2align	6, 0x0
	.amdhsa_kernel _ZN9rocsparseL33bsr2csr_block_per_row_8_32_kernelILj1024ELj8EdllEEv20rocsparse_direction_T3_S2_21rocsparse_index_base_PKT1_PKT2_PKS2_S2_S3_PS4_PS7_PS2_
		.amdhsa_group_segment_fixed_size 0
		.amdhsa_private_segment_fixed_size 0
		.amdhsa_kernarg_size 96
		.amdhsa_user_sgpr_count 2
		.amdhsa_user_sgpr_dispatch_ptr 0
		.amdhsa_user_sgpr_queue_ptr 0
		.amdhsa_user_sgpr_kernarg_segment_ptr 1
		.amdhsa_user_sgpr_dispatch_id 0
		.amdhsa_user_sgpr_kernarg_preload_length 0
		.amdhsa_user_sgpr_kernarg_preload_offset 0
		.amdhsa_user_sgpr_private_segment_size 0
		.amdhsa_wavefront_size32 1
		.amdhsa_uses_dynamic_stack 0
		.amdhsa_enable_private_segment 0
		.amdhsa_system_sgpr_workgroup_id_x 1
		.amdhsa_system_sgpr_workgroup_id_y 0
		.amdhsa_system_sgpr_workgroup_id_z 0
		.amdhsa_system_sgpr_workgroup_info 0
		.amdhsa_system_vgpr_workitem_id 0
		.amdhsa_next_free_vgpr 18
		.amdhsa_next_free_sgpr 26
		.amdhsa_named_barrier_count 0
		.amdhsa_reserve_vcc 1
		.amdhsa_float_round_mode_32 0
		.amdhsa_float_round_mode_16_64 0
		.amdhsa_float_denorm_mode_32 3
		.amdhsa_float_denorm_mode_16_64 3
		.amdhsa_fp16_overflow 0
		.amdhsa_memory_ordered 1
		.amdhsa_forward_progress 1
		.amdhsa_inst_pref_size 6
		.amdhsa_round_robin_scheduling 0
		.amdhsa_exception_fp_ieee_invalid_op 0
		.amdhsa_exception_fp_denorm_src 0
		.amdhsa_exception_fp_ieee_div_zero 0
		.amdhsa_exception_fp_ieee_overflow 0
		.amdhsa_exception_fp_ieee_underflow 0
		.amdhsa_exception_fp_ieee_inexact 0
		.amdhsa_exception_int_div_zero 0
	.end_amdhsa_kernel
	.section	.text._ZN9rocsparseL33bsr2csr_block_per_row_8_32_kernelILj1024ELj8EdllEEv20rocsparse_direction_T3_S2_21rocsparse_index_base_PKT1_PKT2_PKS2_S2_S3_PS4_PS7_PS2_,"axG",@progbits,_ZN9rocsparseL33bsr2csr_block_per_row_8_32_kernelILj1024ELj8EdllEEv20rocsparse_direction_T3_S2_21rocsparse_index_base_PKT1_PKT2_PKS2_S2_S3_PS4_PS7_PS2_,comdat
.Lfunc_end254:
	.size	_ZN9rocsparseL33bsr2csr_block_per_row_8_32_kernelILj1024ELj8EdllEEv20rocsparse_direction_T3_S2_21rocsparse_index_base_PKT1_PKT2_PKS2_S2_S3_PS4_PS7_PS2_, .Lfunc_end254-_ZN9rocsparseL33bsr2csr_block_per_row_8_32_kernelILj1024ELj8EdllEEv20rocsparse_direction_T3_S2_21rocsparse_index_base_PKT1_PKT2_PKS2_S2_S3_PS4_PS7_PS2_
                                        ; -- End function
	.set _ZN9rocsparseL33bsr2csr_block_per_row_8_32_kernelILj1024ELj8EdllEEv20rocsparse_direction_T3_S2_21rocsparse_index_base_PKT1_PKT2_PKS2_S2_S3_PS4_PS7_PS2_.num_vgpr, 18
	.set _ZN9rocsparseL33bsr2csr_block_per_row_8_32_kernelILj1024ELj8EdllEEv20rocsparse_direction_T3_S2_21rocsparse_index_base_PKT1_PKT2_PKS2_S2_S3_PS4_PS7_PS2_.num_agpr, 0
	.set _ZN9rocsparseL33bsr2csr_block_per_row_8_32_kernelILj1024ELj8EdllEEv20rocsparse_direction_T3_S2_21rocsparse_index_base_PKT1_PKT2_PKS2_S2_S3_PS4_PS7_PS2_.numbered_sgpr, 26
	.set _ZN9rocsparseL33bsr2csr_block_per_row_8_32_kernelILj1024ELj8EdllEEv20rocsparse_direction_T3_S2_21rocsparse_index_base_PKT1_PKT2_PKS2_S2_S3_PS4_PS7_PS2_.num_named_barrier, 0
	.set _ZN9rocsparseL33bsr2csr_block_per_row_8_32_kernelILj1024ELj8EdllEEv20rocsparse_direction_T3_S2_21rocsparse_index_base_PKT1_PKT2_PKS2_S2_S3_PS4_PS7_PS2_.private_seg_size, 0
	.set _ZN9rocsparseL33bsr2csr_block_per_row_8_32_kernelILj1024ELj8EdllEEv20rocsparse_direction_T3_S2_21rocsparse_index_base_PKT1_PKT2_PKS2_S2_S3_PS4_PS7_PS2_.uses_vcc, 1
	.set _ZN9rocsparseL33bsr2csr_block_per_row_8_32_kernelILj1024ELj8EdllEEv20rocsparse_direction_T3_S2_21rocsparse_index_base_PKT1_PKT2_PKS2_S2_S3_PS4_PS7_PS2_.uses_flat_scratch, 0
	.set _ZN9rocsparseL33bsr2csr_block_per_row_8_32_kernelILj1024ELj8EdllEEv20rocsparse_direction_T3_S2_21rocsparse_index_base_PKT1_PKT2_PKS2_S2_S3_PS4_PS7_PS2_.has_dyn_sized_stack, 0
	.set _ZN9rocsparseL33bsr2csr_block_per_row_8_32_kernelILj1024ELj8EdllEEv20rocsparse_direction_T3_S2_21rocsparse_index_base_PKT1_PKT2_PKS2_S2_S3_PS4_PS7_PS2_.has_recursion, 0
	.set _ZN9rocsparseL33bsr2csr_block_per_row_8_32_kernelILj1024ELj8EdllEEv20rocsparse_direction_T3_S2_21rocsparse_index_base_PKT1_PKT2_PKS2_S2_S3_PS4_PS7_PS2_.has_indirect_call, 0
	.section	.AMDGPU.csdata,"",@progbits
; Kernel info:
; codeLenInByte = 712
; TotalNumSgprs: 28
; NumVgprs: 18
; ScratchSize: 0
; MemoryBound: 0
; FloatMode: 240
; IeeeMode: 1
; LDSByteSize: 0 bytes/workgroup (compile time only)
; SGPRBlocks: 0
; VGPRBlocks: 1
; NumSGPRsForWavesPerEU: 28
; NumVGPRsForWavesPerEU: 18
; NamedBarCnt: 0
; Occupancy: 16
; WaveLimiterHint : 0
; COMPUTE_PGM_RSRC2:SCRATCH_EN: 0
; COMPUTE_PGM_RSRC2:USER_SGPR: 2
; COMPUTE_PGM_RSRC2:TRAP_HANDLER: 0
; COMPUTE_PGM_RSRC2:TGID_X_EN: 1
; COMPUTE_PGM_RSRC2:TGID_Y_EN: 0
; COMPUTE_PGM_RSRC2:TGID_Z_EN: 0
; COMPUTE_PGM_RSRC2:TIDIG_COMP_CNT: 0
	.section	.text._ZN9rocsparseL33bsr2csr_block_per_row_8_32_kernelILj1024ELj16EdllEEv20rocsparse_direction_T3_S2_21rocsparse_index_base_PKT1_PKT2_PKS2_S2_S3_PS4_PS7_PS2_,"axG",@progbits,_ZN9rocsparseL33bsr2csr_block_per_row_8_32_kernelILj1024ELj16EdllEEv20rocsparse_direction_T3_S2_21rocsparse_index_base_PKT1_PKT2_PKS2_S2_S3_PS4_PS7_PS2_,comdat
	.globl	_ZN9rocsparseL33bsr2csr_block_per_row_8_32_kernelILj1024ELj16EdllEEv20rocsparse_direction_T3_S2_21rocsparse_index_base_PKT1_PKT2_PKS2_S2_S3_PS4_PS7_PS2_ ; -- Begin function _ZN9rocsparseL33bsr2csr_block_per_row_8_32_kernelILj1024ELj16EdllEEv20rocsparse_direction_T3_S2_21rocsparse_index_base_PKT1_PKT2_PKS2_S2_S3_PS4_PS7_PS2_
	.p2align	8
	.type	_ZN9rocsparseL33bsr2csr_block_per_row_8_32_kernelILj1024ELj16EdllEEv20rocsparse_direction_T3_S2_21rocsparse_index_base_PKT1_PKT2_PKS2_S2_S3_PS4_PS7_PS2_,@function
_ZN9rocsparseL33bsr2csr_block_per_row_8_32_kernelILj1024ELj16EdllEEv20rocsparse_direction_T3_S2_21rocsparse_index_base_PKT1_PKT2_PKS2_S2_S3_PS4_PS7_PS2_: ; @_ZN9rocsparseL33bsr2csr_block_per_row_8_32_kernelILj1024ELj16EdllEEv20rocsparse_direction_T3_S2_21rocsparse_index_base_PKT1_PKT2_PKS2_S2_S3_PS4_PS7_PS2_
; %bb.0:
	s_clause 0x1
	s_load_b32 s6, s[0:1], 0x40
	s_load_b64 s[12:13], s[0:1], 0x50
	s_bfe_u32 s2, ttmp6, 0x4000c
	s_and_b32 s3, ttmp6, 15
	s_add_co_i32 s2, s2, 1
	s_getreg_b32 s4, hwreg(HW_REG_IB_STS2, 6, 4)
	s_mul_i32 s2, ttmp9, s2
	s_mov_b32 s15, 0
	s_add_co_i32 s3, s3, s2
	s_cmp_eq_u32 s4, 0
	s_mov_b32 s2, exec_lo
	s_cselect_b32 s14, ttmp9, s3
	s_delay_alu instid0(SALU_CYCLE_1) | instskip(NEXT) | instid1(VALU_DEP_1)
	v_or_b32_e32 v1, s14, v0
	v_cmpx_eq_u32_e32 0, v1
	s_cbranch_execz .LBB255_2
; %bb.1:
	s_wait_kmcnt 0x0
	v_dual_mov_b32 v2, s6 :: v_dual_mov_b32 v3, 0
	global_store_b64 v3, v[2:3], s[12:13]
.LBB255_2:
	s_wait_xcnt 0x0
	s_or_b32 exec_lo, exec_lo, s2
	v_dual_mov_b32 v3, 0 :: v_dual_bitop2_b32 v2, 15, v0 bitop3:0x40
	v_bfe_u32 v4, v0, 4, 4
	s_load_b64 s[2:3], s[0:1], 0x38
	s_mov_b32 s4, exec_lo
	s_delay_alu instid0(VALU_DEP_2) | instskip(NEXT) | instid1(VALU_DEP_1)
	v_mov_b32_e32 v5, v3
	v_max_i64 v[6:7], v[4:5], v[2:3]
	s_wait_kmcnt 0x0
	s_delay_alu instid0(VALU_DEP_1)
	v_cmpx_gt_i64_e64 s[2:3], v[6:7]
	s_cbranch_execz .LBB255_6
; %bb.3:
	s_clause 0x1
	s_load_b64 s[8:9], s[0:1], 0x28
	s_load_b32 s4, s[0:1], 0x18
	s_lshl_b64 s[10:11], s[14:15], 3
	s_mov_b32 s5, 0
	v_dual_mov_b32 v7, v3 :: v_dual_lshrrev_b32 v6, 8, v0
	s_mov_b32 s7, s5
	s_mul_u64 s[14:15], s[2:3], s[14:15]
	s_delay_alu instid0(SALU_CYCLE_1) | instskip(NEXT) | instid1(SALU_CYCLE_1)
	s_lshl_b64 s[14:15], s[14:15], 3
	s_add_nc_u64 s[12:13], s[12:13], s[14:15]
	s_wait_kmcnt 0x0
	s_add_nc_u64 s[16:17], s[8:9], s[10:11]
	s_load_b128 s[8:11], s[16:17], 0x0
	s_wait_kmcnt 0x0
	s_sub_nc_u64 s[18:19], s[8:9], s[4:5]
	s_sub_nc_u64 s[8:9], s[10:11], s[4:5]
	s_mul_u64 s[10:11], s[2:3], s[2:3]
	s_sub_nc_u64 s[16:17], s[8:9], s[18:19]
	s_mul_u64 s[22:23], s[18:19], s[10:11]
	s_mul_u64 s[20:21], s[16:17], s[2:3]
	v_add_nc_u64_e32 v[0:1], s[18:19], v[6:7]
	s_add_nc_u64 s[24:25], s[20:21], s[6:7]
	s_delay_alu instid0(SALU_CYCLE_1) | instskip(NEXT) | instid1(SALU_CYCLE_1)
	s_add_nc_u64 s[22:23], s[24:25], s[22:23]
	v_mad_nc_u64_u32 v[8:9], s20, v4, s[22:23]
	s_delay_alu instid0(VALU_DEP_2) | instskip(NEXT) | instid1(VALU_DEP_2)
	v_cmp_gt_i64_e32 vcc_lo, s[8:9], v[0:1]
	v_mad_u32 v9, s21, v4, v9
	global_store_b64 v4, v[8:9], s[12:13] offset:8 scale_offset
	s_wait_xcnt 0x0
	s_and_b32 exec_lo, exec_lo, vcc_lo
	s_cbranch_execz .LBB255_6
; %bb.4:
	v_mad_nc_u64_u32 v[6:7], s2, s18, v[6:7]
	s_mul_i32 s12, s3, s18
	s_mul_i32 s13, s2, s19
	v_mul_u64_e32 v[8:9], s[2:3], v[2:3]
	v_mul_u64_e32 v[10:11], s[2:3], v[4:5]
	s_load_b64 s[14:15], s[0:1], 0x20
	v_mul_u64_e32 v[12:13], s[10:11], v[0:1]
	v_dual_mov_b32 v15, 0 :: v_dual_lshlrev_b32 v14, 3, v4
	v_add3_u32 v7, s13, s12, v7
	s_delay_alu instid0(VALU_DEP_1) | instskip(NEXT) | instid1(VALU_DEP_1)
	v_mad_nc_u64_u32 v[6:7], s16, v4, v[6:7]
	v_mad_u32 v7, s17, v4, v7
	s_clause 0x2
	s_load_b64 s[16:17], s[0:1], 0x30
	s_load_b64 s[12:13], s[0:1], 0x48
	s_load_b32 s18, s[0:1], 0x0
	s_wait_kmcnt 0x0
	v_lshl_add_u64 v[4:5], v[8:9], 3, s[14:15]
	v_lshl_add_u64 v[8:9], v[10:11], 3, s[14:15]
	s_load_b64 s[0:1], s[0:1], 0x58
	s_delay_alu instid0(VALU_DEP_3)
	v_mul_u64_e32 v[6:7], s[2:3], v[6:7]
	s_mov_b32 s14, s5
	v_add_nc_u64_e32 v[4:5], v[4:5], v[14:15]
	s_cmp_eq_u32 s18, 0
	s_cselect_b32 vcc_lo, -1, 0
	v_lshlrev_b32_e32 v14, 3, v2
	v_add_nc_u64_e32 v[2:3], s[6:7], v[2:3]
	s_lshl_b64 s[6:7], s[10:11], 5
	s_lshl_b64 s[10:11], s[2:3], 5
	s_delay_alu instid0(VALU_DEP_2) | instskip(NEXT) | instid1(VALU_DEP_1)
	v_add_nc_u64_e32 v[8:9], v[8:9], v[14:15]
	v_dual_cndmask_b32 v5, v5, v9 :: v_dual_cndmask_b32 v4, v4, v8
	v_lshl_add_u64 v[8:9], v[0:1], 3, s[16:17]
	s_delay_alu instid0(VALU_DEP_2)
	v_lshl_add_u64 v[4:5], v[12:13], 3, v[4:5]
	v_lshl_add_u64 v[6:7], v[6:7], 3, v[14:15]
.LBB255_5:                              ; =>This Inner Loop Header: Depth=1
	global_load_b64 v[10:11], v[8:9], off
	global_load_b64 v[12:13], v[4:5], off
	v_add_nc_u64_e32 v[0:1], 4, v[0:1]
	s_wait_kmcnt 0x0
	v_add_nc_u64_e32 v[16:17], s[0:1], v[6:7]
	s_wait_xcnt 0x0
	v_add_nc_u64_e32 v[4:5], s[6:7], v[4:5]
	v_add_nc_u64_e32 v[8:9], 32, v[8:9]
	s_delay_alu instid0(VALU_DEP_4) | instskip(SKIP_3) | instid1(VALU_DEP_1)
	v_cmp_le_i64_e32 vcc_lo, s[8:9], v[0:1]
	s_or_b32 s14, vcc_lo, s14
	s_wait_loadcnt 0x1
	v_sub_nc_u64_e64 v[10:11], v[10:11], s[4:5]
	v_mad_nc_u64_u32 v[14:15], v10, s2, v[2:3]
	s_delay_alu instid0(VALU_DEP_1) | instskip(NEXT) | instid1(VALU_DEP_1)
	v_mad_u32 v11, v11, s2, v15
	v_mad_u32 v15, v10, s3, v11
	v_add_nc_u64_e32 v[10:11], s[12:13], v[6:7]
	v_add_nc_u64_e32 v[6:7], s[10:11], v[6:7]
	s_wait_loadcnt 0x0
	global_store_b64 v[10:11], v[12:13], off
	global_store_b64 v[16:17], v[14:15], off
	s_wait_xcnt 0x0
	s_and_not1_b32 exec_lo, exec_lo, s14
	s_cbranch_execnz .LBB255_5
.LBB255_6:
	s_endpgm
	.section	.rodata,"a",@progbits
	.p2align	6, 0x0
	.amdhsa_kernel _ZN9rocsparseL33bsr2csr_block_per_row_8_32_kernelILj1024ELj16EdllEEv20rocsparse_direction_T3_S2_21rocsparse_index_base_PKT1_PKT2_PKS2_S2_S3_PS4_PS7_PS2_
		.amdhsa_group_segment_fixed_size 0
		.amdhsa_private_segment_fixed_size 0
		.amdhsa_kernarg_size 96
		.amdhsa_user_sgpr_count 2
		.amdhsa_user_sgpr_dispatch_ptr 0
		.amdhsa_user_sgpr_queue_ptr 0
		.amdhsa_user_sgpr_kernarg_segment_ptr 1
		.amdhsa_user_sgpr_dispatch_id 0
		.amdhsa_user_sgpr_kernarg_preload_length 0
		.amdhsa_user_sgpr_kernarg_preload_offset 0
		.amdhsa_user_sgpr_private_segment_size 0
		.amdhsa_wavefront_size32 1
		.amdhsa_uses_dynamic_stack 0
		.amdhsa_enable_private_segment 0
		.amdhsa_system_sgpr_workgroup_id_x 1
		.amdhsa_system_sgpr_workgroup_id_y 0
		.amdhsa_system_sgpr_workgroup_id_z 0
		.amdhsa_system_sgpr_workgroup_info 0
		.amdhsa_system_vgpr_workitem_id 0
		.amdhsa_next_free_vgpr 18
		.amdhsa_next_free_sgpr 26
		.amdhsa_named_barrier_count 0
		.amdhsa_reserve_vcc 1
		.amdhsa_float_round_mode_32 0
		.amdhsa_float_round_mode_16_64 0
		.amdhsa_float_denorm_mode_32 3
		.amdhsa_float_denorm_mode_16_64 3
		.amdhsa_fp16_overflow 0
		.amdhsa_memory_ordered 1
		.amdhsa_forward_progress 1
		.amdhsa_inst_pref_size 6
		.amdhsa_round_robin_scheduling 0
		.amdhsa_exception_fp_ieee_invalid_op 0
		.amdhsa_exception_fp_denorm_src 0
		.amdhsa_exception_fp_ieee_div_zero 0
		.amdhsa_exception_fp_ieee_overflow 0
		.amdhsa_exception_fp_ieee_underflow 0
		.amdhsa_exception_fp_ieee_inexact 0
		.amdhsa_exception_int_div_zero 0
	.end_amdhsa_kernel
	.section	.text._ZN9rocsparseL33bsr2csr_block_per_row_8_32_kernelILj1024ELj16EdllEEv20rocsparse_direction_T3_S2_21rocsparse_index_base_PKT1_PKT2_PKS2_S2_S3_PS4_PS7_PS2_,"axG",@progbits,_ZN9rocsparseL33bsr2csr_block_per_row_8_32_kernelILj1024ELj16EdllEEv20rocsparse_direction_T3_S2_21rocsparse_index_base_PKT1_PKT2_PKS2_S2_S3_PS4_PS7_PS2_,comdat
.Lfunc_end255:
	.size	_ZN9rocsparseL33bsr2csr_block_per_row_8_32_kernelILj1024ELj16EdllEEv20rocsparse_direction_T3_S2_21rocsparse_index_base_PKT1_PKT2_PKS2_S2_S3_PS4_PS7_PS2_, .Lfunc_end255-_ZN9rocsparseL33bsr2csr_block_per_row_8_32_kernelILj1024ELj16EdllEEv20rocsparse_direction_T3_S2_21rocsparse_index_base_PKT1_PKT2_PKS2_S2_S3_PS4_PS7_PS2_
                                        ; -- End function
	.set _ZN9rocsparseL33bsr2csr_block_per_row_8_32_kernelILj1024ELj16EdllEEv20rocsparse_direction_T3_S2_21rocsparse_index_base_PKT1_PKT2_PKS2_S2_S3_PS4_PS7_PS2_.num_vgpr, 18
	.set _ZN9rocsparseL33bsr2csr_block_per_row_8_32_kernelILj1024ELj16EdllEEv20rocsparse_direction_T3_S2_21rocsparse_index_base_PKT1_PKT2_PKS2_S2_S3_PS4_PS7_PS2_.num_agpr, 0
	.set _ZN9rocsparseL33bsr2csr_block_per_row_8_32_kernelILj1024ELj16EdllEEv20rocsparse_direction_T3_S2_21rocsparse_index_base_PKT1_PKT2_PKS2_S2_S3_PS4_PS7_PS2_.numbered_sgpr, 26
	.set _ZN9rocsparseL33bsr2csr_block_per_row_8_32_kernelILj1024ELj16EdllEEv20rocsparse_direction_T3_S2_21rocsparse_index_base_PKT1_PKT2_PKS2_S2_S3_PS4_PS7_PS2_.num_named_barrier, 0
	.set _ZN9rocsparseL33bsr2csr_block_per_row_8_32_kernelILj1024ELj16EdllEEv20rocsparse_direction_T3_S2_21rocsparse_index_base_PKT1_PKT2_PKS2_S2_S3_PS4_PS7_PS2_.private_seg_size, 0
	.set _ZN9rocsparseL33bsr2csr_block_per_row_8_32_kernelILj1024ELj16EdllEEv20rocsparse_direction_T3_S2_21rocsparse_index_base_PKT1_PKT2_PKS2_S2_S3_PS4_PS7_PS2_.uses_vcc, 1
	.set _ZN9rocsparseL33bsr2csr_block_per_row_8_32_kernelILj1024ELj16EdllEEv20rocsparse_direction_T3_S2_21rocsparse_index_base_PKT1_PKT2_PKS2_S2_S3_PS4_PS7_PS2_.uses_flat_scratch, 0
	.set _ZN9rocsparseL33bsr2csr_block_per_row_8_32_kernelILj1024ELj16EdllEEv20rocsparse_direction_T3_S2_21rocsparse_index_base_PKT1_PKT2_PKS2_S2_S3_PS4_PS7_PS2_.has_dyn_sized_stack, 0
	.set _ZN9rocsparseL33bsr2csr_block_per_row_8_32_kernelILj1024ELj16EdllEEv20rocsparse_direction_T3_S2_21rocsparse_index_base_PKT1_PKT2_PKS2_S2_S3_PS4_PS7_PS2_.has_recursion, 0
	.set _ZN9rocsparseL33bsr2csr_block_per_row_8_32_kernelILj1024ELj16EdllEEv20rocsparse_direction_T3_S2_21rocsparse_index_base_PKT1_PKT2_PKS2_S2_S3_PS4_PS7_PS2_.has_indirect_call, 0
	.section	.AMDGPU.csdata,"",@progbits
; Kernel info:
; codeLenInByte = 708
; TotalNumSgprs: 28
; NumVgprs: 18
; ScratchSize: 0
; MemoryBound: 0
; FloatMode: 240
; IeeeMode: 1
; LDSByteSize: 0 bytes/workgroup (compile time only)
; SGPRBlocks: 0
; VGPRBlocks: 1
; NumSGPRsForWavesPerEU: 28
; NumVGPRsForWavesPerEU: 18
; NamedBarCnt: 0
; Occupancy: 16
; WaveLimiterHint : 0
; COMPUTE_PGM_RSRC2:SCRATCH_EN: 0
; COMPUTE_PGM_RSRC2:USER_SGPR: 2
; COMPUTE_PGM_RSRC2:TRAP_HANDLER: 0
; COMPUTE_PGM_RSRC2:TGID_X_EN: 1
; COMPUTE_PGM_RSRC2:TGID_Y_EN: 0
; COMPUTE_PGM_RSRC2:TGID_Z_EN: 0
; COMPUTE_PGM_RSRC2:TIDIG_COMP_CNT: 0
	.section	.text._ZN9rocsparseL33bsr2csr_block_per_row_8_32_kernelILj1024ELj32EdllEEv20rocsparse_direction_T3_S2_21rocsparse_index_base_PKT1_PKT2_PKS2_S2_S3_PS4_PS7_PS2_,"axG",@progbits,_ZN9rocsparseL33bsr2csr_block_per_row_8_32_kernelILj1024ELj32EdllEEv20rocsparse_direction_T3_S2_21rocsparse_index_base_PKT1_PKT2_PKS2_S2_S3_PS4_PS7_PS2_,comdat
	.globl	_ZN9rocsparseL33bsr2csr_block_per_row_8_32_kernelILj1024ELj32EdllEEv20rocsparse_direction_T3_S2_21rocsparse_index_base_PKT1_PKT2_PKS2_S2_S3_PS4_PS7_PS2_ ; -- Begin function _ZN9rocsparseL33bsr2csr_block_per_row_8_32_kernelILj1024ELj32EdllEEv20rocsparse_direction_T3_S2_21rocsparse_index_base_PKT1_PKT2_PKS2_S2_S3_PS4_PS7_PS2_
	.p2align	8
	.type	_ZN9rocsparseL33bsr2csr_block_per_row_8_32_kernelILj1024ELj32EdllEEv20rocsparse_direction_T3_S2_21rocsparse_index_base_PKT1_PKT2_PKS2_S2_S3_PS4_PS7_PS2_,@function
_ZN9rocsparseL33bsr2csr_block_per_row_8_32_kernelILj1024ELj32EdllEEv20rocsparse_direction_T3_S2_21rocsparse_index_base_PKT1_PKT2_PKS2_S2_S3_PS4_PS7_PS2_: ; @_ZN9rocsparseL33bsr2csr_block_per_row_8_32_kernelILj1024ELj32EdllEEv20rocsparse_direction_T3_S2_21rocsparse_index_base_PKT1_PKT2_PKS2_S2_S3_PS4_PS7_PS2_
; %bb.0:
	s_clause 0x1
	s_load_b32 s10, s[0:1], 0x40
	s_load_b64 s[16:17], s[0:1], 0x50
	s_bfe_u32 s2, ttmp6, 0x4000c
	s_and_b32 s3, ttmp6, 15
	s_add_co_i32 s2, s2, 1
	s_getreg_b32 s4, hwreg(HW_REG_IB_STS2, 6, 4)
	s_mul_i32 s2, ttmp9, s2
	s_mov_b32 s23, 0
	s_add_co_i32 s3, s3, s2
	s_cmp_eq_u32 s4, 0
	s_mov_b32 s2, exec_lo
	s_cselect_b32 s22, ttmp9, s3
	s_delay_alu instid0(SALU_CYCLE_1) | instskip(NEXT) | instid1(VALU_DEP_1)
	v_or_b32_e32 v1, s22, v0
	v_cmpx_eq_u32_e32 0, v1
	s_cbranch_execz .LBB256_2
; %bb.1:
	s_wait_kmcnt 0x0
	v_dual_mov_b32 v2, s10 :: v_dual_mov_b32 v3, 0
	global_store_b64 v3, v[2:3], s[16:17]
.LBB256_2:
	s_wait_xcnt 0x0
	s_or_b32 exec_lo, exec_lo, s2
	v_dual_mov_b32 v3, 0 :: v_dual_bitop2_b32 v2, 31, v0 bitop3:0x40
	v_lshrrev_b32_e32 v0, 5, v0
	s_load_b64 s[2:3], s[0:1], 0x38
	s_mov_b32 s4, exec_lo
	s_delay_alu instid0(VALU_DEP_2) | instskip(NEXT) | instid1(VALU_DEP_1)
	v_mov_b32_e32 v1, v3
	v_max_i64 v[4:5], v[0:1], v[2:3]
	s_wait_kmcnt 0x0
	s_delay_alu instid0(VALU_DEP_1)
	v_cmpx_gt_i64_e64 s[2:3], v[4:5]
	s_cbranch_execz .LBB256_6
; %bb.3:
	s_clause 0x1
	s_load_b64 s[4:5], s[0:1], 0x28
	s_load_b32 s8, s[0:1], 0x18
	s_lshl_b64 s[6:7], s[22:23], 3
	s_mov_b32 s9, 0
	s_mul_u64 s[18:19], s[2:3], s[2:3]
	s_mov_b32 s11, s9
	s_wait_kmcnt 0x0
	s_add_nc_u64 s[12:13], s[4:5], s[6:7]
	s_load_b128 s[4:7], s[12:13], 0x0
	s_wait_kmcnt 0x0
	s_sub_nc_u64 s[12:13], s[4:5], s[8:9]
	s_sub_nc_u64 s[14:15], s[6:7], s[8:9]
	s_mul_u64 s[20:21], s[12:13], s[18:19]
	s_sub_nc_u64 s[24:25], s[14:15], s[12:13]
	s_delay_alu instid0(SALU_CYCLE_1) | instskip(NEXT) | instid1(SALU_CYCLE_1)
	s_mul_u64 s[26:27], s[24:25], s[2:3]
	s_add_nc_u64 s[28:29], s[26:27], s[10:11]
	s_delay_alu instid0(SALU_CYCLE_1) | instskip(NEXT) | instid1(SALU_CYCLE_1)
	s_add_nc_u64 s[28:29], s[28:29], s[20:21]
	v_mad_nc_u64_u32 v[4:5], s26, v0, s[28:29]
	v_cmp_ge_i64_e64 s26, s[4:5], s[6:7]
	s_mul_u64 s[6:7], s[2:3], s[22:23]
	s_delay_alu instid0(SALU_CYCLE_1) | instskip(NEXT) | instid1(SALU_CYCLE_1)
	s_lshl_b64 s[6:7], s[6:7], 3
	s_add_nc_u64 s[6:7], s[16:17], s[6:7]
	s_and_b32 vcc_lo, exec_lo, s26
	v_mad_u32 v5, s27, v0, v5
	global_store_b64 v0, v[4:5], s[6:7] offset:8 scale_offset
	s_cbranch_vccnz .LBB256_6
; %bb.4:
	s_wait_xcnt 0x0
	s_mul_u64 s[6:7], s[2:3], s[12:13]
	v_mul_u64_e32 v[4:5], s[2:3], v[2:3]
	v_mad_nc_u64_u32 v[6:7], v0, s24, s[6:7]
	v_mul_u64_e32 v[8:9], s[2:3], v[0:1]
	s_clause 0x3
	s_load_b64 s[16:17], s[0:1], 0x20
	s_load_b64 s[22:23], s[0:1], 0x30
	;; [unrolled: 1-line block ×3, first 2 shown]
	s_load_b32 s24, s[0:1], 0x0
	v_dual_mov_b32 v11, 0 :: v_dual_lshlrev_b32 v10, 3, v0
	s_wait_xcnt 0x0
	s_load_b64 s[0:1], s[0:1], 0x58
	s_delay_alu instid0(VALU_DEP_3) | instskip(NEXT) | instid1(VALU_DEP_1)
	v_mad_u32 v7, v0, s25, v7
	v_mul_u64_e32 v[6:7], s[2:3], v[6:7]
	s_wait_kmcnt 0x0
	s_cmp_eq_u32 s24, 0
	s_cselect_b32 vcc_lo, -1, 0
	s_lshl_b64 s[4:5], s[4:5], 3
	v_lshl_add_u64 v[0:1], v[4:5], 3, s[16:17]
	v_lshl_add_u64 v[4:5], v[8:9], 3, s[16:17]
	s_lshl_b64 s[16:17], s[8:9], 3
	s_delay_alu instid0(VALU_DEP_2) | instskip(SKIP_4) | instid1(VALU_DEP_1)
	v_add_nc_u64_e32 v[0:1], v[0:1], v[10:11]
	v_lshlrev_b32_e32 v10, 3, v2
	s_sub_nc_u64 s[16:17], s[4:5], s[16:17]
	s_lshl_b64 s[4:5], s[2:3], 3
	s_add_nc_u64 s[16:17], s[22:23], s[16:17]
	v_add_nc_u64_e32 v[4:5], v[4:5], v[10:11]
	s_delay_alu instid0(VALU_DEP_1) | instskip(SKIP_2) | instid1(VALU_DEP_2)
	v_dual_cndmask_b32 v5, v1, v5 :: v_dual_cndmask_b32 v4, v0, v4
	v_add_nc_u64_e32 v[0:1], s[10:11], v[2:3]
	s_lshl_b64 s[10:11], s[18:19], 3
	v_lshl_add_u64 v[2:3], s[20:21], 3, v[4:5]
	v_lshl_add_u64 v[4:5], v[6:7], 3, v[10:11]
.LBB256_5:                              ; =>This Inner Loop Header: Depth=1
	global_load_b64 v[6:7], v[2:3], off
	s_load_b64 s[18:19], s[16:17], 0x0
	s_add_nc_u64 s[12:13], s[12:13], 1
	v_add_nc_u64_e32 v[8:9], s[0:1], v[4:5]
	v_cmp_lt_i64_e64 s20, s[12:13], s[14:15]
	v_add_nc_u64_e32 v[10:11], s[6:7], v[4:5]
	v_add_nc_u64_e32 v[2:3], s[10:11], v[2:3]
	;; [unrolled: 1-line block ×3, first 2 shown]
	s_wait_xcnt 0x0
	s_add_nc_u64 s[16:17], s[16:17], 8
	s_and_b32 vcc_lo, exec_lo, s20
	s_wait_kmcnt 0x0
	s_sub_nc_u64 s[18:19], s[18:19], s[8:9]
	s_delay_alu instid0(SALU_CYCLE_1)
	v_mad_nc_u64_u32 v[12:13], s18, s2, v[0:1]
	s_mul_i32 s19, s19, s2
	s_mul_i32 s18, s18, s3
	s_delay_alu instid0(VALU_DEP_1) | instid1(SALU_CYCLE_1)
	v_add3_u32 v13, s18, s19, v13
	global_store_b64 v[8:9], v[12:13], off
	s_wait_loadcnt 0x0
	global_store_b64 v[10:11], v[6:7], off
	s_cbranch_vccnz .LBB256_5
.LBB256_6:
	s_endpgm
	.section	.rodata,"a",@progbits
	.p2align	6, 0x0
	.amdhsa_kernel _ZN9rocsparseL33bsr2csr_block_per_row_8_32_kernelILj1024ELj32EdllEEv20rocsparse_direction_T3_S2_21rocsparse_index_base_PKT1_PKT2_PKS2_S2_S3_PS4_PS7_PS2_
		.amdhsa_group_segment_fixed_size 0
		.amdhsa_private_segment_fixed_size 0
		.amdhsa_kernarg_size 96
		.amdhsa_user_sgpr_count 2
		.amdhsa_user_sgpr_dispatch_ptr 0
		.amdhsa_user_sgpr_queue_ptr 0
		.amdhsa_user_sgpr_kernarg_segment_ptr 1
		.amdhsa_user_sgpr_dispatch_id 0
		.amdhsa_user_sgpr_kernarg_preload_length 0
		.amdhsa_user_sgpr_kernarg_preload_offset 0
		.amdhsa_user_sgpr_private_segment_size 0
		.amdhsa_wavefront_size32 1
		.amdhsa_uses_dynamic_stack 0
		.amdhsa_enable_private_segment 0
		.amdhsa_system_sgpr_workgroup_id_x 1
		.amdhsa_system_sgpr_workgroup_id_y 0
		.amdhsa_system_sgpr_workgroup_id_z 0
		.amdhsa_system_sgpr_workgroup_info 0
		.amdhsa_system_vgpr_workitem_id 0
		.amdhsa_next_free_vgpr 14
		.amdhsa_next_free_sgpr 30
		.amdhsa_named_barrier_count 0
		.amdhsa_reserve_vcc 1
		.amdhsa_float_round_mode_32 0
		.amdhsa_float_round_mode_16_64 0
		.amdhsa_float_denorm_mode_32 3
		.amdhsa_float_denorm_mode_16_64 3
		.amdhsa_fp16_overflow 0
		.amdhsa_memory_ordered 1
		.amdhsa_forward_progress 1
		.amdhsa_inst_pref_size 6
		.amdhsa_round_robin_scheduling 0
		.amdhsa_exception_fp_ieee_invalid_op 0
		.amdhsa_exception_fp_denorm_src 0
		.amdhsa_exception_fp_ieee_div_zero 0
		.amdhsa_exception_fp_ieee_overflow 0
		.amdhsa_exception_fp_ieee_underflow 0
		.amdhsa_exception_fp_ieee_inexact 0
		.amdhsa_exception_int_div_zero 0
	.end_amdhsa_kernel
	.section	.text._ZN9rocsparseL33bsr2csr_block_per_row_8_32_kernelILj1024ELj32EdllEEv20rocsparse_direction_T3_S2_21rocsparse_index_base_PKT1_PKT2_PKS2_S2_S3_PS4_PS7_PS2_,"axG",@progbits,_ZN9rocsparseL33bsr2csr_block_per_row_8_32_kernelILj1024ELj32EdllEEv20rocsparse_direction_T3_S2_21rocsparse_index_base_PKT1_PKT2_PKS2_S2_S3_PS4_PS7_PS2_,comdat
.Lfunc_end256:
	.size	_ZN9rocsparseL33bsr2csr_block_per_row_8_32_kernelILj1024ELj32EdllEEv20rocsparse_direction_T3_S2_21rocsparse_index_base_PKT1_PKT2_PKS2_S2_S3_PS4_PS7_PS2_, .Lfunc_end256-_ZN9rocsparseL33bsr2csr_block_per_row_8_32_kernelILj1024ELj32EdllEEv20rocsparse_direction_T3_S2_21rocsparse_index_base_PKT1_PKT2_PKS2_S2_S3_PS4_PS7_PS2_
                                        ; -- End function
	.set _ZN9rocsparseL33bsr2csr_block_per_row_8_32_kernelILj1024ELj32EdllEEv20rocsparse_direction_T3_S2_21rocsparse_index_base_PKT1_PKT2_PKS2_S2_S3_PS4_PS7_PS2_.num_vgpr, 14
	.set _ZN9rocsparseL33bsr2csr_block_per_row_8_32_kernelILj1024ELj32EdllEEv20rocsparse_direction_T3_S2_21rocsparse_index_base_PKT1_PKT2_PKS2_S2_S3_PS4_PS7_PS2_.num_agpr, 0
	.set _ZN9rocsparseL33bsr2csr_block_per_row_8_32_kernelILj1024ELj32EdllEEv20rocsparse_direction_T3_S2_21rocsparse_index_base_PKT1_PKT2_PKS2_S2_S3_PS4_PS7_PS2_.numbered_sgpr, 30
	.set _ZN9rocsparseL33bsr2csr_block_per_row_8_32_kernelILj1024ELj32EdllEEv20rocsparse_direction_T3_S2_21rocsparse_index_base_PKT1_PKT2_PKS2_S2_S3_PS4_PS7_PS2_.num_named_barrier, 0
	.set _ZN9rocsparseL33bsr2csr_block_per_row_8_32_kernelILj1024ELj32EdllEEv20rocsparse_direction_T3_S2_21rocsparse_index_base_PKT1_PKT2_PKS2_S2_S3_PS4_PS7_PS2_.private_seg_size, 0
	.set _ZN9rocsparseL33bsr2csr_block_per_row_8_32_kernelILj1024ELj32EdllEEv20rocsparse_direction_T3_S2_21rocsparse_index_base_PKT1_PKT2_PKS2_S2_S3_PS4_PS7_PS2_.uses_vcc, 1
	.set _ZN9rocsparseL33bsr2csr_block_per_row_8_32_kernelILj1024ELj32EdllEEv20rocsparse_direction_T3_S2_21rocsparse_index_base_PKT1_PKT2_PKS2_S2_S3_PS4_PS7_PS2_.uses_flat_scratch, 0
	.set _ZN9rocsparseL33bsr2csr_block_per_row_8_32_kernelILj1024ELj32EdllEEv20rocsparse_direction_T3_S2_21rocsparse_index_base_PKT1_PKT2_PKS2_S2_S3_PS4_PS7_PS2_.has_dyn_sized_stack, 0
	.set _ZN9rocsparseL33bsr2csr_block_per_row_8_32_kernelILj1024ELj32EdllEEv20rocsparse_direction_T3_S2_21rocsparse_index_base_PKT1_PKT2_PKS2_S2_S3_PS4_PS7_PS2_.has_recursion, 0
	.set _ZN9rocsparseL33bsr2csr_block_per_row_8_32_kernelILj1024ELj32EdllEEv20rocsparse_direction_T3_S2_21rocsparse_index_base_PKT1_PKT2_PKS2_S2_S3_PS4_PS7_PS2_.has_indirect_call, 0
	.section	.AMDGPU.csdata,"",@progbits
; Kernel info:
; codeLenInByte = 660
; TotalNumSgprs: 32
; NumVgprs: 14
; ScratchSize: 0
; MemoryBound: 0
; FloatMode: 240
; IeeeMode: 1
; LDSByteSize: 0 bytes/workgroup (compile time only)
; SGPRBlocks: 0
; VGPRBlocks: 0
; NumSGPRsForWavesPerEU: 32
; NumVGPRsForWavesPerEU: 14
; NamedBarCnt: 0
; Occupancy: 16
; WaveLimiterHint : 0
; COMPUTE_PGM_RSRC2:SCRATCH_EN: 0
; COMPUTE_PGM_RSRC2:USER_SGPR: 2
; COMPUTE_PGM_RSRC2:TRAP_HANDLER: 0
; COMPUTE_PGM_RSRC2:TGID_X_EN: 1
; COMPUTE_PGM_RSRC2:TGID_Y_EN: 0
; COMPUTE_PGM_RSRC2:TGID_Z_EN: 0
; COMPUTE_PGM_RSRC2:TIDIG_COMP_CNT: 0
	.section	.text._ZN9rocsparseL35bsr2csr_block_per_row_33_256_kernelILj1024ELj64ELj32EdllEEv20rocsparse_direction_T4_S2_21rocsparse_index_base_PKT2_PKT3_PKS2_S2_S3_PS4_PS7_PS2_,"axG",@progbits,_ZN9rocsparseL35bsr2csr_block_per_row_33_256_kernelILj1024ELj64ELj32EdllEEv20rocsparse_direction_T4_S2_21rocsparse_index_base_PKT2_PKT3_PKS2_S2_S3_PS4_PS7_PS2_,comdat
	.globl	_ZN9rocsparseL35bsr2csr_block_per_row_33_256_kernelILj1024ELj64ELj32EdllEEv20rocsparse_direction_T4_S2_21rocsparse_index_base_PKT2_PKT3_PKS2_S2_S3_PS4_PS7_PS2_ ; -- Begin function _ZN9rocsparseL35bsr2csr_block_per_row_33_256_kernelILj1024ELj64ELj32EdllEEv20rocsparse_direction_T4_S2_21rocsparse_index_base_PKT2_PKT3_PKS2_S2_S3_PS4_PS7_PS2_
	.p2align	8
	.type	_ZN9rocsparseL35bsr2csr_block_per_row_33_256_kernelILj1024ELj64ELj32EdllEEv20rocsparse_direction_T4_S2_21rocsparse_index_base_PKT2_PKT3_PKS2_S2_S3_PS4_PS7_PS2_,@function
_ZN9rocsparseL35bsr2csr_block_per_row_33_256_kernelILj1024ELj64ELj32EdllEEv20rocsparse_direction_T4_S2_21rocsparse_index_base_PKT2_PKT3_PKS2_S2_S3_PS4_PS7_PS2_: ; @_ZN9rocsparseL35bsr2csr_block_per_row_33_256_kernelILj1024ELj64ELj32EdllEEv20rocsparse_direction_T4_S2_21rocsparse_index_base_PKT2_PKT3_PKS2_S2_S3_PS4_PS7_PS2_
; %bb.0:
	s_load_b64 s[8:9], s[0:1], 0x28
	s_bfe_u32 s2, ttmp6, 0x4000c
	s_and_b32 s3, ttmp6, 15
	s_add_co_i32 s2, s2, 1
	s_getreg_b32 s4, hwreg(HW_REG_IB_STS2, 6, 4)
	s_mul_i32 s2, ttmp9, s2
	s_mov_b32 s7, 0
	s_add_co_i32 s3, s3, s2
	s_cmp_eq_u32 s4, 0
	s_clause 0x1
	s_load_b32 s12, s[0:1], 0x40
	s_load_b64 s[4:5], s[0:1], 0x50
	s_cselect_b32 s2, ttmp9, s3
	s_mov_b32 s3, s7
	v_or_b32_e32 v1, s2, v0
	s_lshl_b64 s[10:11], s[2:3], 3
	s_mov_b32 s13, s7
	s_mov_b32 s6, exec_lo
	s_wait_kmcnt 0x0
	s_add_nc_u64 s[14:15], s[8:9], s[10:11]
	s_load_b128 s[8:11], s[14:15], 0x0
	v_cmpx_eq_u32_e32 0, v1
	s_cbranch_execz .LBB257_2
; %bb.1:
	v_mov_b64_e32 v[2:3], s[12:13]
	v_mov_b32_e32 v1, 0
	global_store_b64 v1, v[2:3], s[4:5]
.LBB257_2:
	s_wait_xcnt 0x0
	s_or_b32 exec_lo, exec_lo, s6
	s_clause 0x1
	s_load_b32 s6, s[0:1], 0x18
	s_load_b64 s[14:15], s[0:1], 0x38
	v_dual_mov_b32 v3, 0 :: v_dual_lshrrev_b32 v2, 5, v0
	s_wait_kmcnt 0x0
	s_sub_nc_u64 s[16:17], s[8:9], s[6:7]
	s_sub_nc_u64 s[18:19], s[10:11], s[6:7]
	s_mul_u64 s[20:21], s[14:15], s[16:17]
	s_mul_u64 s[24:25], s[14:15], s[2:3]
	v_cmp_gt_i64_e64 s3, s[14:15], v[2:3]
	s_sub_nc_u64 s[26:27], s[18:19], s[16:17]
	s_mul_u64 s[28:29], s[20:21], s[14:15]
	s_mul_u64 s[22:23], s[26:27], s[14:15]
	s_add_nc_u64 s[28:29], s[28:29], s[12:13]
	s_lshl_b64 s[24:25], s[24:25], 3
	s_add_nc_u64 s[28:29], s[28:29], s[22:23]
	s_add_nc_u64 s[24:25], s[4:5], s[24:25]
	s_and_saveexec_b32 s2, s3
	s_cbranch_execz .LBB257_4
; %bb.3:
	v_mad_nc_u64_u32 v[4:5], v2, s22, s[28:29]
	s_delay_alu instid0(VALU_DEP_1)
	v_mad_u32 v5, v2, s23, v5
	global_store_b64 v2, v[4:5], s[24:25] offset:8 scale_offset
.LBB257_4:
	s_wait_xcnt 0x0
	s_or_b32 exec_lo, exec_lo, s2
	v_dual_mov_b32 v5, v3 :: v_dual_bitop2_b32 v4, 32, v2 bitop3:0x54
	s_delay_alu instid0(VALU_DEP_1)
	v_cmp_gt_i64_e64 s4, s[14:15], v[4:5]
	s_and_saveexec_b32 s2, s4
	s_cbranch_execz .LBB257_6
; %bb.5:
	v_mad_nc_u64_u32 v[6:7], v4, s22, s[28:29]
	s_delay_alu instid0(VALU_DEP_1)
	v_mad_u32 v7, v4, s23, v7
	global_store_b64 v2, v[6:7], s[24:25] offset:264 scale_offset
.LBB257_6:
	s_wait_xcnt 0x0
	s_or_b32 exec_lo, exec_lo, s2
	v_cmp_lt_i64_e64 s2, s[8:9], s[10:11]
	s_and_b32 vcc_lo, exec_lo, s2
	s_cbranch_vccz .LBB257_17
; %bb.7:
	s_clause 0x2
	s_load_b64 s[22:23], s[0:1], 0x30
	s_load_b64 s[24:25], s[0:1], 0x48
	s_load_b32 s2, s[0:1], 0x0
	v_mad_nc_u64_u32 v[4:5], v2, s26, s[20:21]
	v_dual_mov_b32 v1, 0 :: v_dual_bitop2_b32 v0, 31, v0 bitop3:0x40
	s_delay_alu instid0(VALU_DEP_1) | instskip(SKIP_1) | instid1(VALU_DEP_3)
	v_dual_mov_b32 v13, v1 :: v_dual_lshlrev_b32 v12, 3, v2
	v_mov_b32_e32 v3, v1
	v_cmp_gt_i64_e32 vcc_lo, s[14:15], v[0:1]
	v_mad_u32 v5, v2, s27, v5
	v_lshlrev_b32_e32 v2, 3, v0
	s_wait_kmcnt 0x0
	s_cmp_eq_u32 s2, 0
	s_cselect_b32 s2, -1, 0
	s_lshl_b64 s[10:11], s[10:11], 5
	s_lshl_b64 s[26:27], s[8:9], 5
	s_delay_alu instid0(VALU_DEP_2)
	v_add_nc_u64_e32 v[6:7], s[10:11], v[4:5]
	s_load_b64 s[10:11], s[0:1], 0x20
	s_lshl_b64 s[20:21], s[20:21], 3
	v_mul_u64_e32 v[20:21], s[14:15], v[4:5]
	v_add_nc_u64_e32 v[14:15], s[20:21], v[12:13]
	v_add_nc_u64_e32 v[16:17], s[20:21], v[2:3]
	s_load_b64 s[20:21], s[0:1], 0x58
	v_sub_nc_u64_e64 v[6:7], v[6:7], s[26:27]
	v_dual_mov_b32 v5, v1 :: v_dual_bitop2_b32 v4, 32, v0 bitop3:0x54
	s_and_b32 s26, s3, vcc_lo
	s_delay_alu instid0(VALU_DEP_4) | instskip(NEXT) | instid1(VALU_DEP_4)
	v_add_nc_u64_e32 v[22:23], 0x100, v[14:15]
	v_add_nc_u64_e32 v[24:25], 0x100, v[16:17]
	v_mad_nc_u64_u32 v[8:9], s14, v16, v[12:13]
	v_mul_u64_e32 v[18:19], s[14:15], v[6:7]
	s_wait_xcnt 0x0
	v_cmp_gt_i64_e64 s0, s[14:15], v[4:5]
	s_and_b32 s27, s4, vcc_lo
	v_mad_nc_u64_u32 v[12:13], s14, v24, v[12:13]
	s_wait_kmcnt 0x0
	v_mad_nc_u64_u32 v[6:7], s14, v14, s[10:11]
	v_mad_nc_u64_u32 v[10:11], s14, v22, s[10:11]
	s_and_b32 s3, s3, s0
	v_mad_u32 v9, s15, v16, v9
	s_and_b32 s28, s4, s0
	s_lshl_b64 s[0:1], s[8:9], 3
	s_lshl_b64 s[4:5], s[6:7], 3
	s_mul_u64 s[8:9], s[14:15], s[14:15]
	s_sub_nc_u64 s[4:5], s[0:1], s[4:5]
	v_mad_u32 v13, s15, v24, v13
	s_lshl_b64 s[0:1], s[8:9], 3
	v_mad_u32 v7, s15, v14, v7
	v_mad_u32 v11, s15, v22, v11
	s_add_nc_u64 s[4:5], s[22:23], s[4:5]
	v_lshl_add_u64 v[20:21], v[20:21], 3, 0x100
	v_mad_u32 v9, s14, v17, v9
	s_lshl_b64 s[8:9], s[14:15], 3
	v_mad_u32 v13, s14, v25, v13
	v_mad_u32 v7, s14, v15, v7
	;; [unrolled: 1-line block ×3, first 2 shown]
	v_add_nc_u64_e32 v[14:15], s[20:21], v[20:21]
	v_lshlrev_b64_e32 v[18:19], 3, v[18:19]
	v_add_nc_u64_e32 v[20:21], s[24:25], v[20:21]
	s_delay_alu instid0(VALU_DEP_2)
	v_add_nc_u64_e32 v[16:17], s[24:25], v[18:19]
	v_add_nc_u64_e32 v[18:19], s[20:21], v[18:19]
	s_branch .LBB257_9
.LBB257_8:                              ;   in Loop: Header=BB257_9 Depth=1
	s_wait_xcnt 0x0
	s_or_b32 exec_lo, exec_lo, s20
	s_add_nc_u64 s[16:17], s[16:17], 1
	v_add_nc_u64_e32 v[10:11], s[0:1], v[10:11]
	v_cmp_ge_i64_e64 s20, s[16:17], s[18:19]
	v_add_nc_u64_e32 v[6:7], s[0:1], v[6:7]
	v_add_nc_u64_e32 v[14:15], s[8:9], v[14:15]
	;; [unrolled: 1-line block ×5, first 2 shown]
	s_add_nc_u64 s[10:11], s[10:11], s[0:1]
	s_and_b32 vcc_lo, exec_lo, s20
	s_add_nc_u64 s[4:5], s[4:5], 8
	s_cbranch_vccnz .LBB257_17
.LBB257_9:                              ; =>This Inner Loop Header: Depth=1
	s_load_b64 s[20:21], s[4:5], 0x0
	v_add_nc_u64_e32 v[30:31], v[14:15], v[2:3]
	s_delay_alu instid0(VALU_DEP_2) | instskip(SKIP_4) | instid1(SALU_CYCLE_1)
	v_add_nc_u64_e32 v[32:33], v[20:21], v[2:3]
	v_add_nc_u64_e32 v[34:35], v[6:7], v[2:3]
	;; [unrolled: 1-line block ×3, first 2 shown]
	s_wait_kmcnt 0x0
	s_sub_nc_u64 s[20:21], s[20:21], s[6:7]
	s_mul_u64 s[20:21], s[20:21], s[14:15]
	s_delay_alu instid0(SALU_CYCLE_1) | instskip(NEXT) | instid1(SALU_CYCLE_1)
	s_add_nc_u64 s[20:21], s[20:21], s[12:13]
	v_add_nc_u64_e32 v[22:23], s[20:21], v[0:1]
	s_and_saveexec_b32 s22, s26
	s_cbranch_execz .LBB257_11
; %bb.10:                               ;   in Loop: Header=BB257_9 Depth=1
	v_dual_cndmask_b32 v25, v29, v35, s2 :: v_dual_cndmask_b32 v24, v28, v34, s2
	global_load_b64 v[24:25], v[24:25], off
	global_store_b64 v[30:31], v[22:23], off offset:-256
	s_wait_loadcnt 0x0
	global_store_b64 v[32:33], v[24:25], off offset:-256
.LBB257_11:                             ;   in Loop: Header=BB257_9 Depth=1
	s_wait_xcnt 0x0
	s_or_b32 exec_lo, exec_lo, s22
	v_add_nc_u64_e32 v[24:25], s[20:21], v[4:5]
	v_add_nc_u64_e32 v[26:27], s[10:11], v[12:13]
	s_and_saveexec_b32 s20, s3
	s_cbranch_execz .LBB257_13
; %bb.12:                               ;   in Loop: Header=BB257_9 Depth=1
	v_add_nc_u64_e32 v[34:35], 0x100, v[34:35]
	s_delay_alu instid0(VALU_DEP_1)
	v_dual_cndmask_b32 v35, v27, v35, s2 :: v_dual_cndmask_b32 v34, v26, v34, s2
	global_load_b64 v[34:35], v[34:35], off
	global_store_b64 v[30:31], v[24:25], off
	s_wait_loadcnt 0x0
	global_store_b64 v[32:33], v[34:35], off
.LBB257_13:                             ;   in Loop: Header=BB257_9 Depth=1
	s_wait_xcnt 0x0
	s_or_b32 exec_lo, exec_lo, s20
	v_add_nc_u64_e32 v[30:31], v[18:19], v[2:3]
	v_add_nc_u64_e32 v[32:33], v[16:17], v[2:3]
	;; [unrolled: 1-line block ×3, first 2 shown]
	s_and_saveexec_b32 s20, s27
	s_cbranch_execz .LBB257_15
; %bb.14:                               ;   in Loop: Header=BB257_9 Depth=1
	v_add_nc_u64_e32 v[28:29], 0x100, v[28:29]
	s_delay_alu instid0(VALU_DEP_1)
	v_dual_cndmask_b32 v29, v29, v35, s2 :: v_dual_cndmask_b32 v28, v28, v34, s2
	global_load_b64 v[28:29], v[28:29], off
	global_store_b64 v[30:31], v[22:23], off
	s_wait_loadcnt 0x0
	global_store_b64 v[32:33], v[28:29], off
.LBB257_15:                             ;   in Loop: Header=BB257_9 Depth=1
	s_wait_xcnt 0x0
	s_or_b32 exec_lo, exec_lo, s20
	s_and_saveexec_b32 s20, s28
	s_cbranch_execz .LBB257_8
; %bb.16:                               ;   in Loop: Header=BB257_9 Depth=1
	v_dual_cndmask_b32 v23, v27, v35, s2 :: v_dual_cndmask_b32 v22, v26, v34, s2
	global_load_b64 v[22:23], v[22:23], off offset:256
	global_store_b64 v[30:31], v[24:25], off offset:256
	s_wait_loadcnt 0x0
	global_store_b64 v[32:33], v[22:23], off offset:256
	s_branch .LBB257_8
.LBB257_17:
	s_endpgm
	.section	.rodata,"a",@progbits
	.p2align	6, 0x0
	.amdhsa_kernel _ZN9rocsparseL35bsr2csr_block_per_row_33_256_kernelILj1024ELj64ELj32EdllEEv20rocsparse_direction_T4_S2_21rocsparse_index_base_PKT2_PKT3_PKS2_S2_S3_PS4_PS7_PS2_
		.amdhsa_group_segment_fixed_size 0
		.amdhsa_private_segment_fixed_size 0
		.amdhsa_kernarg_size 96
		.amdhsa_user_sgpr_count 2
		.amdhsa_user_sgpr_dispatch_ptr 0
		.amdhsa_user_sgpr_queue_ptr 0
		.amdhsa_user_sgpr_kernarg_segment_ptr 1
		.amdhsa_user_sgpr_dispatch_id 0
		.amdhsa_user_sgpr_kernarg_preload_length 0
		.amdhsa_user_sgpr_kernarg_preload_offset 0
		.amdhsa_user_sgpr_private_segment_size 0
		.amdhsa_wavefront_size32 1
		.amdhsa_uses_dynamic_stack 0
		.amdhsa_enable_private_segment 0
		.amdhsa_system_sgpr_workgroup_id_x 1
		.amdhsa_system_sgpr_workgroup_id_y 0
		.amdhsa_system_sgpr_workgroup_id_z 0
		.amdhsa_system_sgpr_workgroup_info 0
		.amdhsa_system_vgpr_workitem_id 0
		.amdhsa_next_free_vgpr 36
		.amdhsa_next_free_sgpr 30
		.amdhsa_named_barrier_count 0
		.amdhsa_reserve_vcc 1
		.amdhsa_float_round_mode_32 0
		.amdhsa_float_round_mode_16_64 0
		.amdhsa_float_denorm_mode_32 3
		.amdhsa_float_denorm_mode_16_64 3
		.amdhsa_fp16_overflow 0
		.amdhsa_memory_ordered 1
		.amdhsa_forward_progress 1
		.amdhsa_inst_pref_size 10
		.amdhsa_round_robin_scheduling 0
		.amdhsa_exception_fp_ieee_invalid_op 0
		.amdhsa_exception_fp_denorm_src 0
		.amdhsa_exception_fp_ieee_div_zero 0
		.amdhsa_exception_fp_ieee_overflow 0
		.amdhsa_exception_fp_ieee_underflow 0
		.amdhsa_exception_fp_ieee_inexact 0
		.amdhsa_exception_int_div_zero 0
	.end_amdhsa_kernel
	.section	.text._ZN9rocsparseL35bsr2csr_block_per_row_33_256_kernelILj1024ELj64ELj32EdllEEv20rocsparse_direction_T4_S2_21rocsparse_index_base_PKT2_PKT3_PKS2_S2_S3_PS4_PS7_PS2_,"axG",@progbits,_ZN9rocsparseL35bsr2csr_block_per_row_33_256_kernelILj1024ELj64ELj32EdllEEv20rocsparse_direction_T4_S2_21rocsparse_index_base_PKT2_PKT3_PKS2_S2_S3_PS4_PS7_PS2_,comdat
.Lfunc_end257:
	.size	_ZN9rocsparseL35bsr2csr_block_per_row_33_256_kernelILj1024ELj64ELj32EdllEEv20rocsparse_direction_T4_S2_21rocsparse_index_base_PKT2_PKT3_PKS2_S2_S3_PS4_PS7_PS2_, .Lfunc_end257-_ZN9rocsparseL35bsr2csr_block_per_row_33_256_kernelILj1024ELj64ELj32EdllEEv20rocsparse_direction_T4_S2_21rocsparse_index_base_PKT2_PKT3_PKS2_S2_S3_PS4_PS7_PS2_
                                        ; -- End function
	.set _ZN9rocsparseL35bsr2csr_block_per_row_33_256_kernelILj1024ELj64ELj32EdllEEv20rocsparse_direction_T4_S2_21rocsparse_index_base_PKT2_PKT3_PKS2_S2_S3_PS4_PS7_PS2_.num_vgpr, 36
	.set _ZN9rocsparseL35bsr2csr_block_per_row_33_256_kernelILj1024ELj64ELj32EdllEEv20rocsparse_direction_T4_S2_21rocsparse_index_base_PKT2_PKT3_PKS2_S2_S3_PS4_PS7_PS2_.num_agpr, 0
	.set _ZN9rocsparseL35bsr2csr_block_per_row_33_256_kernelILj1024ELj64ELj32EdllEEv20rocsparse_direction_T4_S2_21rocsparse_index_base_PKT2_PKT3_PKS2_S2_S3_PS4_PS7_PS2_.numbered_sgpr, 30
	.set _ZN9rocsparseL35bsr2csr_block_per_row_33_256_kernelILj1024ELj64ELj32EdllEEv20rocsparse_direction_T4_S2_21rocsparse_index_base_PKT2_PKT3_PKS2_S2_S3_PS4_PS7_PS2_.num_named_barrier, 0
	.set _ZN9rocsparseL35bsr2csr_block_per_row_33_256_kernelILj1024ELj64ELj32EdllEEv20rocsparse_direction_T4_S2_21rocsparse_index_base_PKT2_PKT3_PKS2_S2_S3_PS4_PS7_PS2_.private_seg_size, 0
	.set _ZN9rocsparseL35bsr2csr_block_per_row_33_256_kernelILj1024ELj64ELj32EdllEEv20rocsparse_direction_T4_S2_21rocsparse_index_base_PKT2_PKT3_PKS2_S2_S3_PS4_PS7_PS2_.uses_vcc, 1
	.set _ZN9rocsparseL35bsr2csr_block_per_row_33_256_kernelILj1024ELj64ELj32EdllEEv20rocsparse_direction_T4_S2_21rocsparse_index_base_PKT2_PKT3_PKS2_S2_S3_PS4_PS7_PS2_.uses_flat_scratch, 0
	.set _ZN9rocsparseL35bsr2csr_block_per_row_33_256_kernelILj1024ELj64ELj32EdllEEv20rocsparse_direction_T4_S2_21rocsparse_index_base_PKT2_PKT3_PKS2_S2_S3_PS4_PS7_PS2_.has_dyn_sized_stack, 0
	.set _ZN9rocsparseL35bsr2csr_block_per_row_33_256_kernelILj1024ELj64ELj32EdllEEv20rocsparse_direction_T4_S2_21rocsparse_index_base_PKT2_PKT3_PKS2_S2_S3_PS4_PS7_PS2_.has_recursion, 0
	.set _ZN9rocsparseL35bsr2csr_block_per_row_33_256_kernelILj1024ELj64ELj32EdllEEv20rocsparse_direction_T4_S2_21rocsparse_index_base_PKT2_PKT3_PKS2_S2_S3_PS4_PS7_PS2_.has_indirect_call, 0
	.section	.AMDGPU.csdata,"",@progbits
; Kernel info:
; codeLenInByte = 1168
; TotalNumSgprs: 32
; NumVgprs: 36
; ScratchSize: 0
; MemoryBound: 0
; FloatMode: 240
; IeeeMode: 1
; LDSByteSize: 0 bytes/workgroup (compile time only)
; SGPRBlocks: 0
; VGPRBlocks: 2
; NumSGPRsForWavesPerEU: 32
; NumVGPRsForWavesPerEU: 36
; NamedBarCnt: 0
; Occupancy: 16
; WaveLimiterHint : 1
; COMPUTE_PGM_RSRC2:SCRATCH_EN: 0
; COMPUTE_PGM_RSRC2:USER_SGPR: 2
; COMPUTE_PGM_RSRC2:TRAP_HANDLER: 0
; COMPUTE_PGM_RSRC2:TGID_X_EN: 1
; COMPUTE_PGM_RSRC2:TGID_Y_EN: 0
; COMPUTE_PGM_RSRC2:TGID_Z_EN: 0
; COMPUTE_PGM_RSRC2:TIDIG_COMP_CNT: 0
	.section	.text._ZN9rocsparseL35bsr2csr_block_per_row_33_256_kernelILj1024ELj128ELj32EdllEEv20rocsparse_direction_T4_S2_21rocsparse_index_base_PKT2_PKT3_PKS2_S2_S3_PS4_PS7_PS2_,"axG",@progbits,_ZN9rocsparseL35bsr2csr_block_per_row_33_256_kernelILj1024ELj128ELj32EdllEEv20rocsparse_direction_T4_S2_21rocsparse_index_base_PKT2_PKT3_PKS2_S2_S3_PS4_PS7_PS2_,comdat
	.globl	_ZN9rocsparseL35bsr2csr_block_per_row_33_256_kernelILj1024ELj128ELj32EdllEEv20rocsparse_direction_T4_S2_21rocsparse_index_base_PKT2_PKT3_PKS2_S2_S3_PS4_PS7_PS2_ ; -- Begin function _ZN9rocsparseL35bsr2csr_block_per_row_33_256_kernelILj1024ELj128ELj32EdllEEv20rocsparse_direction_T4_S2_21rocsparse_index_base_PKT2_PKT3_PKS2_S2_S3_PS4_PS7_PS2_
	.p2align	8
	.type	_ZN9rocsparseL35bsr2csr_block_per_row_33_256_kernelILj1024ELj128ELj32EdllEEv20rocsparse_direction_T4_S2_21rocsparse_index_base_PKT2_PKT3_PKS2_S2_S3_PS4_PS7_PS2_,@function
_ZN9rocsparseL35bsr2csr_block_per_row_33_256_kernelILj1024ELj128ELj32EdllEEv20rocsparse_direction_T4_S2_21rocsparse_index_base_PKT2_PKT3_PKS2_S2_S3_PS4_PS7_PS2_: ; @_ZN9rocsparseL35bsr2csr_block_per_row_33_256_kernelILj1024ELj128ELj32EdllEEv20rocsparse_direction_T4_S2_21rocsparse_index_base_PKT2_PKT3_PKS2_S2_S3_PS4_PS7_PS2_
; %bb.0:
	s_load_b64 s[6:7], s[0:1], 0x28
	s_bfe_u32 s2, ttmp6, 0x4000c
	s_and_b32 s3, ttmp6, 15
	s_add_co_i32 s2, s2, 1
	s_getreg_b32 s4, hwreg(HW_REG_IB_STS2, 6, 4)
	s_mul_i32 s2, ttmp9, s2
	s_mov_b32 s13, 0
	s_add_co_i32 s3, s3, s2
	s_cmp_eq_u32 s4, 0
	s_mov_b32 s5, s13
	s_cselect_b32 s4, ttmp9, s3
	s_clause 0x1
	s_load_b32 s14, s[0:1], 0x40
	s_load_b64 s[2:3], s[0:1], 0x50
	s_lshl_b64 s[8:9], s[4:5], 3
	v_or_b32_e32 v1, s4, v0
	s_mov_b32 s15, s13
	s_wait_kmcnt 0x0
	s_add_nc_u64 s[6:7], s[6:7], s[8:9]
	s_load_b128 s[8:11], s[6:7], 0x0
	s_wait_xcnt 0x0
	s_mov_b32 s6, exec_lo
	v_cmpx_eq_u32_e32 0, v1
	s_cbranch_execz .LBB258_2
; %bb.1:
	v_mov_b64_e32 v[2:3], s[14:15]
	v_mov_b32_e32 v1, 0
	global_store_b64 v1, v[2:3], s[2:3]
.LBB258_2:
	s_wait_xcnt 0x0
	s_or_b32 exec_lo, exec_lo, s6
	s_clause 0x1
	s_load_b32 s12, s[0:1], 0x18
	s_load_b64 s[16:17], s[0:1], 0x38
	v_dual_mov_b32 v9, 0 :: v_dual_lshrrev_b32 v8, 5, v0
	s_wait_kmcnt 0x0
	s_sub_nc_u64 s[18:19], s[8:9], s[12:13]
	s_sub_nc_u64 s[20:21], s[10:11], s[12:13]
	s_mul_u64 s[30:31], s[16:17], s[18:19]
	s_mul_u64 s[24:25], s[16:17], s[4:5]
	v_cmp_gt_i64_e64 s4, s[16:17], v[8:9]
	s_sub_nc_u64 s[6:7], s[20:21], s[18:19]
	s_mul_u64 s[26:27], s[30:31], s[16:17]
	s_mul_u64 s[22:23], s[6:7], s[16:17]
	s_add_nc_u64 s[26:27], s[26:27], s[14:15]
	s_lshl_b64 s[24:25], s[24:25], 3
	s_add_nc_u64 s[26:27], s[26:27], s[22:23]
	s_add_nc_u64 s[24:25], s[2:3], s[24:25]
	s_and_saveexec_b32 s2, s4
	s_cbranch_execz .LBB258_4
; %bb.3:
	v_mad_nc_u64_u32 v[2:3], v8, s22, s[26:27]
	s_delay_alu instid0(VALU_DEP_1)
	v_mad_u32 v3, v8, s23, v3
	global_store_b64 v8, v[2:3], s[24:25] offset:8 scale_offset
.LBB258_4:
	s_wait_xcnt 0x0
	s_or_b32 exec_lo, exec_lo, s2
	v_dual_mov_b32 v3, v9 :: v_dual_bitop2_b32 v2, 32, v8 bitop3:0x54
	s_delay_alu instid0(VALU_DEP_1)
	v_cmp_gt_i64_e64 s5, s[16:17], v[2:3]
	s_and_saveexec_b32 s2, s5
	s_cbranch_execz .LBB258_6
; %bb.5:
	v_mad_nc_u64_u32 v[4:5], v2, s22, s[26:27]
	s_delay_alu instid0(VALU_DEP_1)
	v_mad_u32 v5, v2, s23, v5
	global_store_b64 v8, v[4:5], s[24:25] offset:264 scale_offset
.LBB258_6:
	s_wait_xcnt 0x0
	s_or_b32 exec_lo, exec_lo, s2
	v_dual_mov_b32 v3, v9 :: v_dual_bitop2_b32 v2, 64, v8 bitop3:0x54
	s_delay_alu instid0(VALU_DEP_1)
	v_cmp_gt_i64_e64 s2, s[16:17], v[2:3]
	s_and_saveexec_b32 s3, s2
	s_cbranch_execz .LBB258_8
; %bb.7:
	v_mad_nc_u64_u32 v[4:5], v2, s22, s[26:27]
	s_delay_alu instid0(VALU_DEP_1)
	v_mad_u32 v5, v2, s23, v5
	global_store_b64 v8, v[4:5], s[24:25] offset:520 scale_offset
.LBB258_8:
	s_wait_xcnt 0x0
	s_or_b32 exec_lo, exec_lo, s3
	v_or_b32_e32 v2, 0x60, v8
	v_mov_b32_e32 v3, v9
	s_delay_alu instid0(VALU_DEP_1)
	v_cmp_gt_i64_e64 s3, s[16:17], v[2:3]
	s_and_saveexec_b32 s28, s3
	s_cbranch_execz .LBB258_10
; %bb.9:
	v_mad_nc_u64_u32 v[4:5], v2, s22, s[26:27]
	s_delay_alu instid0(VALU_DEP_1)
	v_mad_u32 v5, v2, s23, v5
	global_store_b64 v8, v[4:5], s[24:25] offset:776 scale_offset
.LBB258_10:
	s_wait_xcnt 0x0
	s_or_b32 exec_lo, exec_lo, s28
	v_cmp_lt_i64_e64 s22, s[8:9], s[10:11]
	s_and_b32 vcc_lo, exec_lo, s22
	s_cbranch_vccz .LBB258_45
; %bb.11:
	v_mad_nc_u64_u32 v[16:17], v8, s6, s[30:31]
	s_clause 0x2
	s_load_b64 s[24:25], s[0:1], 0x30
	s_load_b64 s[26:27], s[0:1], 0x48
	s_load_b32 s33, s[0:1], 0x0
	v_dual_mov_b32 v1, 0 :: v_dual_bitop2_b32 v0, 31, v0 bitop3:0x40
	v_lshlrev_b32_e32 v24, 3, v8
	s_clause 0x1
	s_load_b64 s[22:23], s[0:1], 0x20
	s_load_b64 s[28:29], s[0:1], 0x58
	v_dual_mov_b32 v5, v1 :: v_dual_bitop2_b32 v2, 32, v0 bitop3:0x54
	v_dual_mov_b32 v3, v1 :: v_dual_bitop2_b32 v4, 64, v0 bitop3:0x54
	v_mov_b32_e32 v7, v1
	v_mad_u32 v17, v8, s7, v17
	v_or_b32_e32 v6, 0x60, v0
	v_cmp_gt_i64_e32 vcc_lo, s[16:17], v[0:1]
	s_wait_xcnt 0x0
	v_cmp_gt_i64_e64 s1, s[16:17], v[2:3]
	v_cmp_gt_i64_e64 s6, s[16:17], v[4:5]
	v_dual_mov_b32 v25, v1 :: v_dual_lshlrev_b32 v8, 3, v0
	v_cmp_gt_i64_e64 s7, s[16:17], v[6:7]
	v_mov_b32_e32 v9, v1
	s_wait_kmcnt 0x0
	s_cmp_eq_u32 s33, 0
	v_mad_nc_u64_u32 v[18:19], 0x60, s10, v[16:17]
	s_cselect_b32 s0, -1, 0
	s_and_b32 s33, s4, vcc_lo
	s_and_b32 s34, s4, s1
	s_lshl_b64 s[42:43], s[30:31], 3
	s_and_b32 s30, s4, s6
	s_and_b32 s31, s4, s7
	s_and_b32 s35, s5, vcc_lo
	s_and_b32 s36, s5, s1
	s_and_b32 s37, s5, s6
	s_and_b32 s38, s5, s7
	v_mad_u32 v19, 0x60, s11, v19
	s_lshl_b64 s[4:5], s[10:11], 5
	v_add_nc_u64_e32 v[26:27], s[42:43], v[24:25]
	v_add_nc_u64_e32 v[20:21], s[4:5], v[16:17]
	s_lshl_b64 s[4:5], s[10:11], 6
	s_mul_u64 s[10:11], s[8:9], 0x60
	v_add_nc_u64_e32 v[22:23], s[4:5], v[16:17]
	s_lshl_b64 s[4:5], s[8:9], 5
	v_add_nc_u64_e32 v[34:35], s[42:43], v[8:9]
	v_mul_u64_e32 v[38:39], s[16:17], v[16:17]
	v_sub_nc_u64_e64 v[20:21], v[20:21], s[4:5]
	s_lshl_b64 s[4:5], s[8:9], 6
	v_sub_nc_u64_e64 v[18:19], v[18:19], s[10:11]
	v_sub_nc_u64_e64 v[22:23], v[22:23], s[4:5]
	v_add_nc_u64_e32 v[28:29], 0x300, v[26:27]
	v_add_nc_u64_e32 v[32:33], 0x100, v[26:27]
	;; [unrolled: 1-line block ×3, first 2 shown]
	v_mul_u64_e32 v[42:43], s[16:17], v[20:21]
	v_add_nc_u64_e32 v[40:41], 0x200, v[34:35]
	v_mul_u64_e32 v[46:47], s[16:17], v[18:19]
	v_mul_u64_e32 v[48:49], s[16:17], v[22:23]
	v_add_nc_u64_e32 v[30:31], 0x200, v[26:27]
	v_add_nc_u64_e32 v[44:45], 0x300, v[34:35]
	v_mad_nc_u64_u32 v[10:11], s16, v28, s[22:23]
	v_mad_nc_u64_u32 v[14:15], s16, v32, s[22:23]
	;; [unrolled: 1-line block ×8, first 2 shown]
	s_and_b32 s39, s2, vcc_lo
	s_and_b32 s40, s2, s1
	s_and_b32 s10, s2, s6
	v_mad_u32 v11, s17, v28, v11
	v_mad_u32 v15, s17, v32, v15
	;; [unrolled: 1-line block ×8, first 2 shown]
	s_and_b32 s11, s2, s7
	s_and_b32 s41, s3, vcc_lo
	s_and_b32 s1, s3, s1
	v_mad_u32 v11, s16, v29, v11
	v_mad_u32 v15, s16, v33, v15
	;; [unrolled: 1-line block ×4, first 2 shown]
	v_lshlrev_b64_e32 v[28:29], 3, v[38:39]
	v_lshlrev_b64_e32 v[32:33], 3, v[42:43]
	;; [unrolled: 1-line block ×4, first 2 shown]
	v_mad_u32 v13, s16, v31, v13
	v_mad_u32 v17, s16, v27, v17
	v_mad_u32 v19, s16, v35, v19
	v_mad_u32 v25, s16, v45, v25
	v_add_nc_u64_e32 v[26:27], s[28:29], v[28:29]
	v_add_nc_u64_e32 v[28:29], s[26:27], v[28:29]
	;; [unrolled: 1-line block ×8, first 2 shown]
	s_and_b32 s42, s3, s6
	s_and_b32 s43, s3, s7
	s_lshl_b64 s[2:3], s[8:9], 3
	s_lshl_b64 s[4:5], s[12:13], 3
	s_mul_u64 s[6:7], s[16:17], s[16:17]
	s_sub_nc_u64 s[4:5], s[2:3], s[4:5]
	s_lshl_b64 s[2:3], s[6:7], 3
	s_add_nc_u64 s[4:5], s[24:25], s[4:5]
	s_lshl_b64 s[6:7], s[16:17], 3
	s_branch .LBB258_13
.LBB258_12:                             ;   in Loop: Header=BB258_13 Depth=1
	s_wait_xcnt 0x0
	s_or_b32 exec_lo, exec_lo, s8
	s_add_nc_u64 s[18:19], s[18:19], 1
	v_add_nc_u64_e32 v[10:11], s[2:3], v[10:11]
	v_cmp_ge_i64_e64 s8, s[18:19], s[20:21]
	v_add_nc_u64_e32 v[12:13], s[2:3], v[12:13]
	v_add_nc_u64_e32 v[14:15], s[2:3], v[14:15]
	;; [unrolled: 1-line block ×11, first 2 shown]
	s_add_nc_u64 s[22:23], s[22:23], s[2:3]
	s_and_b32 vcc_lo, exec_lo, s8
	s_add_nc_u64 s[4:5], s[4:5], 8
	s_cbranch_vccnz .LBB258_45
.LBB258_13:                             ; =>This Inner Loop Header: Depth=1
	s_load_b64 s[8:9], s[4:5], 0x0
	v_add_nc_u64_e32 v[58:59], v[26:27], v[8:9]
	v_add_nc_u64_e32 v[60:61], v[28:29], v[8:9]
	;; [unrolled: 1-line block ×4, first 2 shown]
	s_wait_kmcnt 0x0
	s_sub_nc_u64 s[8:9], s[8:9], s[12:13]
	s_delay_alu instid0(SALU_CYCLE_1) | instskip(NEXT) | instid1(SALU_CYCLE_1)
	s_mul_u64 s[8:9], s[8:9], s[16:17]
	s_add_nc_u64 s[8:9], s[8:9], s[14:15]
	s_delay_alu instid0(SALU_CYCLE_1)
	v_add_nc_u64_e32 v[44:45], s[8:9], v[0:1]
	s_and_saveexec_b32 s24, s33
	s_cbranch_execz .LBB258_15
; %bb.14:                               ;   in Loop: Header=BB258_13 Depth=1
	v_dual_cndmask_b32 v43, v53, v63, s0 :: v_dual_cndmask_b32 v42, v52, v62, s0
	global_load_b64 v[42:43], v[42:43], off
	global_store_b64 v[58:59], v[44:45], off
	s_wait_loadcnt 0x0
	global_store_b64 v[60:61], v[42:43], off
.LBB258_15:                             ;   in Loop: Header=BB258_13 Depth=1
	s_wait_xcnt 0x0
	s_or_b32 exec_lo, exec_lo, s24
	v_add_nc_u64_e32 v[42:43], s[8:9], v[2:3]
	v_add_nc_u64_e32 v[50:51], s[22:23], v[20:21]
	s_and_saveexec_b32 s24, s34
	s_cbranch_execz .LBB258_17
; %bb.16:                               ;   in Loop: Header=BB258_13 Depth=1
	v_add_nc_u64_e32 v[46:47], 0x100, v[62:63]
	s_delay_alu instid0(VALU_DEP_1)
	v_dual_cndmask_b32 v47, v51, v47, s0 :: v_dual_cndmask_b32 v46, v50, v46, s0
	global_load_b64 v[46:47], v[46:47], off
	global_store_b64 v[58:59], v[42:43], off offset:256
	s_wait_loadcnt 0x0
	global_store_b64 v[60:61], v[46:47], off offset:256
.LBB258_17:                             ;   in Loop: Header=BB258_13 Depth=1
	s_wait_xcnt 0x0
	s_or_b32 exec_lo, exec_lo, s24
	v_add_nc_u64_e32 v[46:47], s[8:9], v[4:5]
	v_add_nc_u64_e32 v[54:55], s[22:23], v[22:23]
	s_and_saveexec_b32 s24, s30
	s_cbranch_execz .LBB258_19
; %bb.18:                               ;   in Loop: Header=BB258_13 Depth=1
	v_add_nc_u64_e32 v[48:49], 0x200, v[62:63]
	s_delay_alu instid0(VALU_DEP_1)
	v_dual_cndmask_b32 v49, v55, v49, s0 :: v_dual_cndmask_b32 v48, v54, v48, s0
	global_load_b64 v[48:49], v[48:49], off
	global_store_b64 v[58:59], v[46:47], off offset:512
	s_wait_loadcnt 0x0
	global_store_b64 v[60:61], v[48:49], off offset:512
.LBB258_19:                             ;   in Loop: Header=BB258_13 Depth=1
	;; [unrolled: 15-line block ×3, first 2 shown]
	s_wait_xcnt 0x0
	s_or_b32 exec_lo, exec_lo, s8
	v_add_nc_u64_e32 v[58:59], v[32:33], v[8:9]
	v_add_nc_u64_e32 v[60:61], v[30:31], v[8:9]
	;; [unrolled: 1-line block ×3, first 2 shown]
	s_and_saveexec_b32 s8, s35
	s_cbranch_execnz .LBB258_35
; %bb.22:                               ;   in Loop: Header=BB258_13 Depth=1
	s_or_b32 exec_lo, exec_lo, s8
	s_and_saveexec_b32 s8, s36
	s_cbranch_execnz .LBB258_36
.LBB258_23:                             ;   in Loop: Header=BB258_13 Depth=1
	s_or_b32 exec_lo, exec_lo, s8
	s_and_saveexec_b32 s8, s37
	s_cbranch_execnz .LBB258_37
.LBB258_24:                             ;   in Loop: Header=BB258_13 Depth=1
	s_or_b32 exec_lo, exec_lo, s8
	s_and_saveexec_b32 s8, s38
	s_cbranch_execz .LBB258_26
.LBB258_25:                             ;   in Loop: Header=BB258_13 Depth=1
	v_add_nc_u64_e32 v[62:63], 0x300, v[62:63]
	v_add_nc_u64_e32 v[64:65], 0x100, v[56:57]
	s_delay_alu instid0(VALU_DEP_1)
	v_dual_cndmask_b32 v63, v65, v63, s0 :: v_dual_cndmask_b32 v62, v64, v62, s0
	global_load_b64 v[62:63], v[62:63], off
	global_store_b64 v[58:59], v[48:49], off offset:768
	s_wait_loadcnt 0x0
	global_store_b64 v[60:61], v[62:63], off offset:768
.LBB258_26:                             ;   in Loop: Header=BB258_13 Depth=1
	s_wait_xcnt 0x0
	s_or_b32 exec_lo, exec_lo, s8
	v_add_nc_u64_e32 v[58:59], v[40:41], v[8:9]
	v_add_nc_u64_e32 v[60:61], v[38:39], v[8:9]
	;; [unrolled: 1-line block ×3, first 2 shown]
	s_and_saveexec_b32 s8, s39
	s_cbranch_execnz .LBB258_38
; %bb.27:                               ;   in Loop: Header=BB258_13 Depth=1
	s_or_b32 exec_lo, exec_lo, s8
	s_and_saveexec_b32 s8, s40
	s_cbranch_execnz .LBB258_39
.LBB258_28:                             ;   in Loop: Header=BB258_13 Depth=1
	s_or_b32 exec_lo, exec_lo, s8
	s_and_saveexec_b32 s8, s10
	s_cbranch_execnz .LBB258_40
.LBB258_29:                             ;   in Loop: Header=BB258_13 Depth=1
	s_or_b32 exec_lo, exec_lo, s8
	s_and_saveexec_b32 s8, s11
	s_cbranch_execz .LBB258_31
.LBB258_30:                             ;   in Loop: Header=BB258_13 Depth=1
	v_add_nc_u64_e32 v[62:63], 0x300, v[62:63]
	v_add_nc_u64_e32 v[64:65], 0x200, v[56:57]
	s_delay_alu instid0(VALU_DEP_1)
	v_dual_cndmask_b32 v63, v65, v63, s0 :: v_dual_cndmask_b32 v62, v64, v62, s0
	global_load_b64 v[62:63], v[62:63], off
	global_store_b64 v[58:59], v[48:49], off offset:768
	s_wait_loadcnt 0x0
	global_store_b64 v[60:61], v[62:63], off offset:768
.LBB258_31:                             ;   in Loop: Header=BB258_13 Depth=1
	s_wait_xcnt 0x0
	s_or_b32 exec_lo, exec_lo, s8
	v_add_nc_u64_e32 v[58:59], v[34:35], v[8:9]
	v_add_nc_u64_e32 v[60:61], v[36:37], v[8:9]
	;; [unrolled: 1-line block ×3, first 2 shown]
	s_and_saveexec_b32 s8, s41
	s_cbranch_execnz .LBB258_41
; %bb.32:                               ;   in Loop: Header=BB258_13 Depth=1
	s_or_b32 exec_lo, exec_lo, s8
	s_and_saveexec_b32 s8, s1
	s_cbranch_execnz .LBB258_42
.LBB258_33:                             ;   in Loop: Header=BB258_13 Depth=1
	s_or_b32 exec_lo, exec_lo, s8
	s_and_saveexec_b32 s8, s42
	s_cbranch_execnz .LBB258_43
.LBB258_34:                             ;   in Loop: Header=BB258_13 Depth=1
	s_or_b32 exec_lo, exec_lo, s8
	s_and_saveexec_b32 s8, s43
	s_cbranch_execz .LBB258_12
	s_branch .LBB258_44
.LBB258_35:                             ;   in Loop: Header=BB258_13 Depth=1
	v_add_nc_u64_e32 v[64:65], 0x100, v[52:53]
	s_delay_alu instid0(VALU_DEP_1)
	v_dual_cndmask_b32 v65, v65, v63, s0 :: v_dual_cndmask_b32 v64, v64, v62, s0
	global_load_b64 v[64:65], v[64:65], off
	global_store_b64 v[58:59], v[44:45], off
	s_wait_loadcnt 0x0
	global_store_b64 v[60:61], v[64:65], off
	s_wait_xcnt 0x0
	s_or_b32 exec_lo, exec_lo, s8
	s_and_saveexec_b32 s8, s36
	s_cbranch_execz .LBB258_23
.LBB258_36:                             ;   in Loop: Header=BB258_13 Depth=1
	s_delay_alu instid0(VALU_DEP_1)
	v_dual_cndmask_b32 v65, v51, v63, s0 :: v_dual_cndmask_b32 v64, v50, v62, s0
	global_load_b64 v[64:65], v[64:65], off offset:256
	global_store_b64 v[58:59], v[42:43], off offset:256
	s_wait_loadcnt 0x0
	global_store_b64 v[60:61], v[64:65], off offset:256
	s_wait_xcnt 0x0
	s_or_b32 exec_lo, exec_lo, s8
	s_and_saveexec_b32 s8, s37
	s_cbranch_execz .LBB258_24
.LBB258_37:                             ;   in Loop: Header=BB258_13 Depth=1
	v_add_nc_u64_e32 v[64:65], 0x200, v[62:63]
	v_add_nc_u64_e32 v[66:67], 0x100, v[54:55]
	s_delay_alu instid0(VALU_DEP_1)
	v_dual_cndmask_b32 v65, v67, v65, s0 :: v_dual_cndmask_b32 v64, v66, v64, s0
	global_load_b64 v[64:65], v[64:65], off
	global_store_b64 v[58:59], v[46:47], off offset:512
	s_wait_loadcnt 0x0
	global_store_b64 v[60:61], v[64:65], off offset:512
	s_wait_xcnt 0x0
	s_or_b32 exec_lo, exec_lo, s8
	s_and_saveexec_b32 s8, s38
	s_cbranch_execnz .LBB258_25
	s_branch .LBB258_26
.LBB258_38:                             ;   in Loop: Header=BB258_13 Depth=1
	v_add_nc_u64_e32 v[64:65], 0x200, v[52:53]
	s_delay_alu instid0(VALU_DEP_1)
	v_dual_cndmask_b32 v65, v65, v63, s0 :: v_dual_cndmask_b32 v64, v64, v62, s0
	global_load_b64 v[64:65], v[64:65], off
	global_store_b64 v[58:59], v[44:45], off
	s_wait_loadcnt 0x0
	global_store_b64 v[60:61], v[64:65], off
	s_wait_xcnt 0x0
	s_or_b32 exec_lo, exec_lo, s8
	s_and_saveexec_b32 s8, s40
	s_cbranch_execz .LBB258_28
.LBB258_39:                             ;   in Loop: Header=BB258_13 Depth=1
	s_delay_alu instid0(VALU_DEP_1) | instskip(SKIP_1) | instid1(VALU_DEP_1)
	v_add_nc_u64_e32 v[64:65], 0x100, v[62:63]
	v_add_nc_u64_e32 v[66:67], 0x200, v[50:51]
	v_dual_cndmask_b32 v65, v67, v65, s0 :: v_dual_cndmask_b32 v64, v66, v64, s0
	global_load_b64 v[64:65], v[64:65], off
	global_store_b64 v[58:59], v[42:43], off offset:256
	s_wait_loadcnt 0x0
	global_store_b64 v[60:61], v[64:65], off offset:256
	s_wait_xcnt 0x0
	s_or_b32 exec_lo, exec_lo, s8
	s_and_saveexec_b32 s8, s10
	s_cbranch_execz .LBB258_29
.LBB258_40:                             ;   in Loop: Header=BB258_13 Depth=1
	v_dual_cndmask_b32 v65, v55, v63, s0 :: v_dual_cndmask_b32 v64, v54, v62, s0
	global_load_b64 v[64:65], v[64:65], off offset:512
	global_store_b64 v[58:59], v[46:47], off offset:512
	s_wait_loadcnt 0x0
	global_store_b64 v[60:61], v[64:65], off offset:512
	s_wait_xcnt 0x0
	s_or_b32 exec_lo, exec_lo, s8
	s_and_saveexec_b32 s8, s11
	s_cbranch_execnz .LBB258_30
	s_branch .LBB258_31
.LBB258_41:                             ;   in Loop: Header=BB258_13 Depth=1
	v_add_nc_u64_e32 v[52:53], 0x300, v[52:53]
	s_delay_alu instid0(VALU_DEP_1)
	v_dual_cndmask_b32 v53, v53, v63, s0 :: v_dual_cndmask_b32 v52, v52, v62, s0
	global_load_b64 v[52:53], v[52:53], off
	global_store_b64 v[58:59], v[44:45], off
	s_wait_loadcnt 0x0
	global_store_b64 v[60:61], v[52:53], off
	s_wait_xcnt 0x0
	s_or_b32 exec_lo, exec_lo, s8
	s_and_saveexec_b32 s8, s1
	s_cbranch_execz .LBB258_33
.LBB258_42:                             ;   in Loop: Header=BB258_13 Depth=1
	s_delay_alu instid0(VALU_DEP_1) | instskip(SKIP_1) | instid1(VALU_DEP_1)
	v_add_nc_u64_e32 v[44:45], 0x100, v[62:63]
	v_add_nc_u64_e32 v[50:51], 0x300, v[50:51]
	v_dual_cndmask_b32 v45, v51, v45, s0 :: v_dual_cndmask_b32 v44, v50, v44, s0
	global_load_b64 v[44:45], v[44:45], off
	global_store_b64 v[58:59], v[42:43], off offset:256
	s_wait_loadcnt 0x0
	global_store_b64 v[60:61], v[44:45], off offset:256
	s_wait_xcnt 0x0
	s_or_b32 exec_lo, exec_lo, s8
	s_and_saveexec_b32 s8, s42
	s_cbranch_execz .LBB258_34
.LBB258_43:                             ;   in Loop: Header=BB258_13 Depth=1
	v_add_nc_u64_e32 v[42:43], 0x200, v[62:63]
	v_add_nc_u64_e32 v[44:45], 0x300, v[54:55]
	s_delay_alu instid0(VALU_DEP_1)
	v_dual_cndmask_b32 v43, v45, v43, s0 :: v_dual_cndmask_b32 v42, v44, v42, s0
	global_load_b64 v[42:43], v[42:43], off
	global_store_b64 v[58:59], v[46:47], off offset:512
	s_wait_loadcnt 0x0
	global_store_b64 v[60:61], v[42:43], off offset:512
	s_wait_xcnt 0x0
	s_or_b32 exec_lo, exec_lo, s8
	s_and_saveexec_b32 s8, s43
	s_cbranch_execz .LBB258_12
.LBB258_44:                             ;   in Loop: Header=BB258_13 Depth=1
	v_dual_cndmask_b32 v43, v57, v63, s0 :: v_dual_cndmask_b32 v42, v56, v62, s0
	global_load_b64 v[42:43], v[42:43], off offset:768
	global_store_b64 v[58:59], v[48:49], off offset:768
	s_wait_loadcnt 0x0
	global_store_b64 v[60:61], v[42:43], off offset:768
	s_branch .LBB258_12
.LBB258_45:
	s_sendmsg sendmsg(MSG_DEALLOC_VGPRS)
	s_endpgm
	.section	.rodata,"a",@progbits
	.p2align	6, 0x0
	.amdhsa_kernel _ZN9rocsparseL35bsr2csr_block_per_row_33_256_kernelILj1024ELj128ELj32EdllEEv20rocsparse_direction_T4_S2_21rocsparse_index_base_PKT2_PKT3_PKS2_S2_S3_PS4_PS7_PS2_
		.amdhsa_group_segment_fixed_size 0
		.amdhsa_private_segment_fixed_size 0
		.amdhsa_kernarg_size 96
		.amdhsa_user_sgpr_count 2
		.amdhsa_user_sgpr_dispatch_ptr 0
		.amdhsa_user_sgpr_queue_ptr 0
		.amdhsa_user_sgpr_kernarg_segment_ptr 1
		.amdhsa_user_sgpr_dispatch_id 0
		.amdhsa_user_sgpr_kernarg_preload_length 0
		.amdhsa_user_sgpr_kernarg_preload_offset 0
		.amdhsa_user_sgpr_private_segment_size 0
		.amdhsa_wavefront_size32 1
		.amdhsa_uses_dynamic_stack 0
		.amdhsa_enable_private_segment 0
		.amdhsa_system_sgpr_workgroup_id_x 1
		.amdhsa_system_sgpr_workgroup_id_y 0
		.amdhsa_system_sgpr_workgroup_id_z 0
		.amdhsa_system_sgpr_workgroup_info 0
		.amdhsa_system_vgpr_workitem_id 0
		.amdhsa_next_free_vgpr 68
		.amdhsa_next_free_sgpr 44
		.amdhsa_named_barrier_count 0
		.amdhsa_reserve_vcc 1
		.amdhsa_float_round_mode_32 0
		.amdhsa_float_round_mode_16_64 0
		.amdhsa_float_denorm_mode_32 3
		.amdhsa_float_denorm_mode_16_64 3
		.amdhsa_fp16_overflow 0
		.amdhsa_memory_ordered 1
		.amdhsa_forward_progress 1
		.amdhsa_inst_pref_size 22
		.amdhsa_round_robin_scheduling 0
		.amdhsa_exception_fp_ieee_invalid_op 0
		.amdhsa_exception_fp_denorm_src 0
		.amdhsa_exception_fp_ieee_div_zero 0
		.amdhsa_exception_fp_ieee_overflow 0
		.amdhsa_exception_fp_ieee_underflow 0
		.amdhsa_exception_fp_ieee_inexact 0
		.amdhsa_exception_int_div_zero 0
	.end_amdhsa_kernel
	.section	.text._ZN9rocsparseL35bsr2csr_block_per_row_33_256_kernelILj1024ELj128ELj32EdllEEv20rocsparse_direction_T4_S2_21rocsparse_index_base_PKT2_PKT3_PKS2_S2_S3_PS4_PS7_PS2_,"axG",@progbits,_ZN9rocsparseL35bsr2csr_block_per_row_33_256_kernelILj1024ELj128ELj32EdllEEv20rocsparse_direction_T4_S2_21rocsparse_index_base_PKT2_PKT3_PKS2_S2_S3_PS4_PS7_PS2_,comdat
.Lfunc_end258:
	.size	_ZN9rocsparseL35bsr2csr_block_per_row_33_256_kernelILj1024ELj128ELj32EdllEEv20rocsparse_direction_T4_S2_21rocsparse_index_base_PKT2_PKT3_PKS2_S2_S3_PS4_PS7_PS2_, .Lfunc_end258-_ZN9rocsparseL35bsr2csr_block_per_row_33_256_kernelILj1024ELj128ELj32EdllEEv20rocsparse_direction_T4_S2_21rocsparse_index_base_PKT2_PKT3_PKS2_S2_S3_PS4_PS7_PS2_
                                        ; -- End function
	.set _ZN9rocsparseL35bsr2csr_block_per_row_33_256_kernelILj1024ELj128ELj32EdllEEv20rocsparse_direction_T4_S2_21rocsparse_index_base_PKT2_PKT3_PKS2_S2_S3_PS4_PS7_PS2_.num_vgpr, 68
	.set _ZN9rocsparseL35bsr2csr_block_per_row_33_256_kernelILj1024ELj128ELj32EdllEEv20rocsparse_direction_T4_S2_21rocsparse_index_base_PKT2_PKT3_PKS2_S2_S3_PS4_PS7_PS2_.num_agpr, 0
	.set _ZN9rocsparseL35bsr2csr_block_per_row_33_256_kernelILj1024ELj128ELj32EdllEEv20rocsparse_direction_T4_S2_21rocsparse_index_base_PKT2_PKT3_PKS2_S2_S3_PS4_PS7_PS2_.numbered_sgpr, 44
	.set _ZN9rocsparseL35bsr2csr_block_per_row_33_256_kernelILj1024ELj128ELj32EdllEEv20rocsparse_direction_T4_S2_21rocsparse_index_base_PKT2_PKT3_PKS2_S2_S3_PS4_PS7_PS2_.num_named_barrier, 0
	.set _ZN9rocsparseL35bsr2csr_block_per_row_33_256_kernelILj1024ELj128ELj32EdllEEv20rocsparse_direction_T4_S2_21rocsparse_index_base_PKT2_PKT3_PKS2_S2_S3_PS4_PS7_PS2_.private_seg_size, 0
	.set _ZN9rocsparseL35bsr2csr_block_per_row_33_256_kernelILj1024ELj128ELj32EdllEEv20rocsparse_direction_T4_S2_21rocsparse_index_base_PKT2_PKT3_PKS2_S2_S3_PS4_PS7_PS2_.uses_vcc, 1
	.set _ZN9rocsparseL35bsr2csr_block_per_row_33_256_kernelILj1024ELj128ELj32EdllEEv20rocsparse_direction_T4_S2_21rocsparse_index_base_PKT2_PKT3_PKS2_S2_S3_PS4_PS7_PS2_.uses_flat_scratch, 0
	.set _ZN9rocsparseL35bsr2csr_block_per_row_33_256_kernelILj1024ELj128ELj32EdllEEv20rocsparse_direction_T4_S2_21rocsparse_index_base_PKT2_PKT3_PKS2_S2_S3_PS4_PS7_PS2_.has_dyn_sized_stack, 0
	.set _ZN9rocsparseL35bsr2csr_block_per_row_33_256_kernelILj1024ELj128ELj32EdllEEv20rocsparse_direction_T4_S2_21rocsparse_index_base_PKT2_PKT3_PKS2_S2_S3_PS4_PS7_PS2_.has_recursion, 0
	.set _ZN9rocsparseL35bsr2csr_block_per_row_33_256_kernelILj1024ELj128ELj32EdllEEv20rocsparse_direction_T4_S2_21rocsparse_index_base_PKT2_PKT3_PKS2_S2_S3_PS4_PS7_PS2_.has_indirect_call, 0
	.section	.AMDGPU.csdata,"",@progbits
; Kernel info:
; codeLenInByte = 2776
; TotalNumSgprs: 46
; NumVgprs: 68
; ScratchSize: 0
; MemoryBound: 0
; FloatMode: 240
; IeeeMode: 1
; LDSByteSize: 0 bytes/workgroup (compile time only)
; SGPRBlocks: 0
; VGPRBlocks: 4
; NumSGPRsForWavesPerEU: 46
; NumVGPRsForWavesPerEU: 68
; NamedBarCnt: 0
; Occupancy: 12
; WaveLimiterHint : 1
; COMPUTE_PGM_RSRC2:SCRATCH_EN: 0
; COMPUTE_PGM_RSRC2:USER_SGPR: 2
; COMPUTE_PGM_RSRC2:TRAP_HANDLER: 0
; COMPUTE_PGM_RSRC2:TGID_X_EN: 1
; COMPUTE_PGM_RSRC2:TGID_Y_EN: 0
; COMPUTE_PGM_RSRC2:TGID_Z_EN: 0
; COMPUTE_PGM_RSRC2:TIDIG_COMP_CNT: 0
	.section	.text._ZN9rocsparseL35bsr2csr_block_per_row_33_256_kernelILj1024ELj256ELj32EdllEEv20rocsparse_direction_T4_S2_21rocsparse_index_base_PKT2_PKT3_PKS2_S2_S3_PS4_PS7_PS2_,"axG",@progbits,_ZN9rocsparseL35bsr2csr_block_per_row_33_256_kernelILj1024ELj256ELj32EdllEEv20rocsparse_direction_T4_S2_21rocsparse_index_base_PKT2_PKT3_PKS2_S2_S3_PS4_PS7_PS2_,comdat
	.globl	_ZN9rocsparseL35bsr2csr_block_per_row_33_256_kernelILj1024ELj256ELj32EdllEEv20rocsparse_direction_T4_S2_21rocsparse_index_base_PKT2_PKT3_PKS2_S2_S3_PS4_PS7_PS2_ ; -- Begin function _ZN9rocsparseL35bsr2csr_block_per_row_33_256_kernelILj1024ELj256ELj32EdllEEv20rocsparse_direction_T4_S2_21rocsparse_index_base_PKT2_PKT3_PKS2_S2_S3_PS4_PS7_PS2_
	.p2align	8
	.type	_ZN9rocsparseL35bsr2csr_block_per_row_33_256_kernelILj1024ELj256ELj32EdllEEv20rocsparse_direction_T4_S2_21rocsparse_index_base_PKT2_PKT3_PKS2_S2_S3_PS4_PS7_PS2_,@function
_ZN9rocsparseL35bsr2csr_block_per_row_33_256_kernelILj1024ELj256ELj32EdllEEv20rocsparse_direction_T4_S2_21rocsparse_index_base_PKT2_PKT3_PKS2_S2_S3_PS4_PS7_PS2_: ; @_ZN9rocsparseL35bsr2csr_block_per_row_33_256_kernelILj1024ELj256ELj32EdllEEv20rocsparse_direction_T4_S2_21rocsparse_index_base_PKT2_PKT3_PKS2_S2_S3_PS4_PS7_PS2_
; %bb.0:
	s_load_b64 s[6:7], s[0:1], 0x28
	s_bfe_u32 s2, ttmp6, 0x4000c
	s_and_b32 s3, ttmp6, 15
	s_add_co_i32 s2, s2, 1
	s_getreg_b32 s4, hwreg(HW_REG_IB_STS2, 6, 4)
	s_mul_i32 s2, ttmp9, s2
	s_mov_b32 s17, 0
	s_add_co_i32 s3, s3, s2
	s_cmp_eq_u32 s4, 0
	s_clause 0x1
	s_load_b32 s18, s[0:1], 0x40
	s_load_b64 s[4:5], s[0:1], 0x50
	s_cselect_b32 s2, ttmp9, s3
	s_mov_b32 s3, s17
	v_or_b32_e32 v1, s2, v0
	s_lshl_b64 s[8:9], s[2:3], 3
	s_mov_b32 s19, s17
	s_wait_kmcnt 0x0
	s_add_nc_u64 s[6:7], s[6:7], s[8:9]
	s_load_b128 s[12:15], s[6:7], 0x0
	s_wait_xcnt 0x0
	s_mov_b32 s6, exec_lo
	v_cmpx_eq_u32_e32 0, v1
	s_cbranch_execz .LBB259_2
; %bb.1:
	v_mov_b64_e32 v[2:3], s[18:19]
	v_mov_b32_e32 v1, 0
	global_store_b64 v1, v[2:3], s[4:5]
.LBB259_2:
	s_wait_xcnt 0x0
	s_or_b32 exec_lo, exec_lo, s6
	s_clause 0x1
	s_load_b32 s16, s[0:1], 0x18
	s_load_b64 s[20:21], s[0:1], 0x38
	v_dual_mov_b32 v53, 0 :: v_dual_lshrrev_b32 v52, 5, v0
	s_wait_kmcnt 0x0
	s_sub_nc_u64 s[22:23], s[12:13], s[16:17]
	s_sub_nc_u64 s[24:25], s[14:15], s[16:17]
	s_mul_u64 s[8:9], s[20:21], s[22:23]
	s_mul_u64 s[6:7], s[20:21], s[2:3]
	v_cmp_gt_i64_e64 s2, s[20:21], v[52:53]
	s_sub_nc_u64 s[42:43], s[24:25], s[22:23]
	s_mul_u64 s[8:9], s[8:9], s[20:21]
	s_mul_u64 s[10:11], s[42:43], s[20:21]
	s_add_nc_u64 s[8:9], s[8:9], s[18:19]
	s_lshl_b64 s[6:7], s[6:7], 3
	s_add_nc_u64 s[28:29], s[8:9], s[10:11]
	s_add_nc_u64 s[26:27], s[4:5], s[6:7]
	s_and_saveexec_b32 s3, s2
	s_cbranch_execz .LBB259_4
; %bb.3:
	v_mad_nc_u64_u32 v[2:3], v52, s10, s[28:29]
	s_delay_alu instid0(VALU_DEP_1)
	v_mad_u32 v3, v52, s11, v3
	global_store_b64 v52, v[2:3], s[26:27] offset:8 scale_offset
.LBB259_4:
	s_wait_xcnt 0x0
	s_or_b32 exec_lo, exec_lo, s3
	v_dual_mov_b32 v3, v53 :: v_dual_bitop2_b32 v2, 32, v52 bitop3:0x54
	s_delay_alu instid0(VALU_DEP_1)
	v_cmp_gt_i64_e64 s3, s[20:21], v[2:3]
	s_and_saveexec_b32 s4, s3
	s_cbranch_execz .LBB259_6
; %bb.5:
	v_mad_nc_u64_u32 v[4:5], v2, s10, s[28:29]
	s_delay_alu instid0(VALU_DEP_1)
	v_mad_u32 v5, v2, s11, v5
	global_store_b64 v52, v[4:5], s[26:27] offset:264 scale_offset
.LBB259_6:
	s_wait_xcnt 0x0
	s_or_b32 exec_lo, exec_lo, s4
	v_dual_mov_b32 v3, v53 :: v_dual_bitop2_b32 v2, 64, v52 bitop3:0x54
	s_delay_alu instid0(VALU_DEP_1)
	v_cmp_gt_i64_e64 s4, s[20:21], v[2:3]
	s_and_saveexec_b32 s5, s4
	s_cbranch_execz .LBB259_8
; %bb.7:
	v_mad_nc_u64_u32 v[4:5], v2, s10, s[28:29]
	s_delay_alu instid0(VALU_DEP_1)
	v_mad_u32 v5, v2, s11, v5
	global_store_b64 v52, v[4:5], s[26:27] offset:520 scale_offset
.LBB259_8:
	s_wait_xcnt 0x0
	s_or_b32 exec_lo, exec_lo, s5
	v_or_b32_e32 v2, 0x60, v52
	v_mov_b32_e32 v3, v53
	s_delay_alu instid0(VALU_DEP_1)
	v_cmp_gt_i64_e64 s5, s[20:21], v[2:3]
	s_and_saveexec_b32 s6, s5
	s_cbranch_execz .LBB259_10
; %bb.9:
	v_mad_nc_u64_u32 v[4:5], v2, s10, s[28:29]
	s_delay_alu instid0(VALU_DEP_1)
	v_mad_u32 v5, v2, s11, v5
	global_store_b64 v52, v[4:5], s[26:27] offset:776 scale_offset
.LBB259_10:
	s_wait_xcnt 0x0
	s_or_b32 exec_lo, exec_lo, s6
	v_or_b32_e32 v2, 0x80, v52
	v_mov_b32_e32 v3, v53
	;; [unrolled: 14-line block ×5, first 2 shown]
	s_delay_alu instid0(VALU_DEP_1)
	v_cmp_gt_i64_e64 s9, s[20:21], v[2:3]
	s_and_saveexec_b32 s30, s9
	s_cbranch_execz .LBB259_18
; %bb.17:
	v_mad_nc_u64_u32 v[4:5], v2, s10, s[28:29]
	s_delay_alu instid0(VALU_DEP_1)
	v_mad_u32 v5, v2, s11, v5
	global_store_b64 v52, v[4:5], s[26:27] offset:1800 scale_offset
.LBB259_18:
	s_wait_xcnt 0x0
	s_or_b32 exec_lo, exec_lo, s30
	v_cmp_lt_i64_e64 s10, s[12:13], s[14:15]
	s_and_b32 vcc_lo, exec_lo, s10
	s_cbranch_vccz .LBB259_149
; %bb.19:
	v_dual_mov_b32 v1, 0 :: v_dual_bitop2_b32 v2, 31, v0 bitop3:0x40
	v_mul_u64_e32 v[4:5], s[42:43], v[52:53]
	s_clause 0x4
	s_load_b64 s[28:29], s[0:1], 0x20
	s_load_b64 s[30:31], s[0:1], 0x30
	;; [unrolled: 1-line block ×3, first 2 shown]
	s_load_b32 s15, s[0:1], 0x0
	s_load_b64 s[26:27], s[0:1], 0x58
	v_dual_mov_b32 v3, v1 :: v_dual_bitop2_b32 v10, 32, v2 bitop3:0x54
	v_mul_u64_e32 v[8:9], s[20:21], v[52:53]
	v_dual_mov_b32 v11, v1 :: v_dual_bitop2_b32 v12, 64, v2 bitop3:0x54
	s_delay_alu instid0(VALU_DEP_3)
	v_mul_u64_e32 v[6:7], s[20:21], v[2:3]
	v_dual_mov_b32 v13, v1 :: v_dual_mov_b32 v15, v1
	v_or_b32_e32 v14, 0x60, v2
	v_or_b32_e32 v16, 0x80, v2
	v_dual_mov_b32 v17, v1 :: v_dual_mov_b32 v19, v1
	v_or_b32_e32 v18, 0xa0, v2
	v_or_b32_e32 v20, 0xc0, v2
	v_dual_mov_b32 v21, v1 :: v_dual_mov_b32 v23, v1
	v_or_b32_e32 v22, 0xe0, v2
	v_cmp_gt_i64_e32 vcc_lo, s[20:21], v[2:3]
	s_wait_kmcnt 0x0
	s_cmp_eq_u32 s15, 0
	v_cmp_gt_i64_e64 s1, s[20:21], v[10:11]
	s_cselect_b32 s0, -1, 0
	s_lshl_b64 s[40:41], s[20:21], 5
	s_lshl_b64 s[96:97], s[42:43], 5
	v_cmp_gt_i64_e64 s10, s[20:21], v[12:13]
	v_cmp_gt_i64_e64 s11, s[20:21], v[14:15]
	;; [unrolled: 1-line block ×6, first 2 shown]
	v_add_nc_u64_e32 v[30:31], s[96:97], v[4:5]
	v_dual_mov_b32 v53, v1 :: v_dual_lshlrev_b32 v52, 3, v52
	s_mul_u64 s[36:37], s[20:21], s[20:21]
	s_and_b32 s33, s2, vcc_lo
	s_mul_u64 s[38:39], s[22:23], s[36:37]
	s_and_b32 s44, s2, s1
	s_delay_alu instid0(VALU_DEP_2)
	v_add_nc_u64_e32 v[34:35], s[96:97], v[30:31]
	v_add_nc_u64_e32 v[24:25], s[40:41], v[6:7]
	s_and_b32 s45, s2, s10
	s_and_b32 s46, s2, s11
	;; [unrolled: 1-line block ×5, first 2 shown]
	v_add_nc_u64_e32 v[38:39], s[96:97], v[34:35]
	v_add_nc_u64_e32 v[26:27], s[40:41], v[24:25]
	s_and_b32 s50, s2, s15
	s_and_b32 s42, s3, vcc_lo
	s_and_b32 s43, s3, s1
	s_and_b32 s51, s3, s10
	;; [unrolled: 1-line block ×3, first 2 shown]
	v_add_nc_u64_e32 v[42:43], s[96:97], v[38:39]
	v_add_nc_u64_e32 v[28:29], s[40:41], v[26:27]
	s_and_b32 s53, s3, s12
	s_and_b32 s54, s3, s13
	;; [unrolled: 1-line block ×4, first 2 shown]
	s_and_b32 s57, s4, vcc_lo
	v_add_nc_u64_e32 v[46:47], s[96:97], v[42:43]
	v_add_nc_u64_e32 v[32:33], s[40:41], v[28:29]
	s_and_b32 s58, s4, s1
	s_and_b32 s59, s4, s10
	;; [unrolled: 1-line block ×5, first 2 shown]
	v_add_nc_u64_e32 v[48:49], s[96:97], v[46:47]
	v_add_nc_u64_e32 v[36:37], s[40:41], v[32:33]
	s_and_b32 s63, s4, s14
	s_and_b32 s64, s4, s15
	s_and_b32 s65, s5, vcc_lo
	s_and_b32 s66, s5, s1
	s_and_b32 s67, s5, s10
	v_add_nc_u64_e32 v[50:51], s[96:97], v[48:49]
	v_add_nc_u64_e32 v[40:41], s[40:41], v[36:37]
	s_and_b32 s68, s5, s11
	s_and_b32 s69, s5, s12
	;; [unrolled: 1-line block ×5, first 2 shown]
	s_and_b32 s73, s6, vcc_lo
	v_add_nc_u64_e32 v[44:45], s[40:41], v[40:41]
	s_and_b32 s74, s6, s1
	s_and_b32 s75, s6, s10
	s_and_b32 s76, s6, s11
	s_and_b32 s77, s6, s12
	s_and_b32 s78, s6, s13
	s_and_b32 s79, s6, s14
	s_and_b32 s80, s6, s15
	s_and_b32 s81, s7, vcc_lo
	s_and_b32 s82, s7, s1
	s_and_b32 s83, s7, s10
	s_and_b32 s84, s7, s11
	s_and_b32 s85, s7, s12
	s_and_b32 s86, s7, s13
	s_and_b32 s87, s7, s14
	s_and_b32 s88, s7, s15
	s_and_b32 s89, s8, vcc_lo
	;; [unrolled: 8-line block ×3, first 2 shown]
	s_and_b32 s1, s9, s1
	s_and_b32 s10, s9, s10
	;; [unrolled: 1-line block ×7, first 2 shown]
	s_mov_b64 s[2:3], s[22:23]
	s_branch .LBB259_21
.LBB259_20:                             ;   in Loop: Header=BB259_21 Depth=1
	s_wait_xcnt 0x0
	s_or_b32 exec_lo, exec_lo, s4
	s_add_nc_u64 s[2:3], s[2:3], 1
	s_delay_alu instid0(SALU_CYCLE_1)
	v_cmp_ge_i64_e64 s4, s[2:3], s[24:25]
	s_and_b32 vcc_lo, exec_lo, s4
	s_cbranch_vccnz .LBB259_149
.LBB259_21:                             ; =>This Inner Loop Header: Depth=1
	s_sub_nc_u64 s[4:5], s[2:3], s[22:23]
	s_lshl_b64 s[6:7], s[2:3], 3
	v_add_nc_u64_e32 v[54:55], s[4:5], v[4:5]
	s_add_nc_u64 s[6:7], s[30:31], s[6:7]
	s_mul_u64 s[98:99], s[2:3], s[36:37]
	s_load_b64 s[6:7], s[6:7], 0x0
	s_lshl_b64 s[98:99], s[98:99], 3
	s_delay_alu instid0(SALU_CYCLE_1) | instskip(NEXT) | instid1(VALU_DEP_1)
	s_add_nc_u64 s[98:99], s[28:29], s[98:99]
	v_mad_nc_u64_u32 v[56:57], v54, s20, s[38:39]
	v_add_nc_u64_e32 v[72:73], s[98:99], v[52:53]
	v_lshl_add_u64 v[86:87], v[8:9], 3, s[98:99]
	s_delay_alu instid0(VALU_DEP_2) | instskip(NEXT) | instid1(VALU_DEP_4)
	v_lshl_add_u64 v[70:71], v[6:7], 3, v[72:73]
	v_mad_u32 v0, v55, s20, v57
	s_wait_kmcnt 0x0
	s_sub_nc_u64 s[6:7], s[6:7], s[16:17]
	s_delay_alu instid0(SALU_CYCLE_1) | instskip(NEXT) | instid1(SALU_CYCLE_1)
	s_mul_u64 s[6:7], s[6:7], s[20:21]
	s_add_nc_u64 s[6:7], s[6:7], s[18:19]
	s_delay_alu instid0(VALU_DEP_1) | instskip(SKIP_2) | instid1(VALU_DEP_3)
	v_mad_u32 v57, v54, s21, v0
	v_add_nc_u64_e32 v[54:55], s[6:7], v[2:3]
	v_lshlrev_b32_e32 v0, 3, v2
	v_add_nc_u64_e32 v[56:57], v[56:57], v[2:3]
	s_delay_alu instid0(VALU_DEP_1)
	v_lshlrev_b64_e32 v[88:89], 3, v[56:57]
	s_and_saveexec_b32 s15, s33
	s_cbranch_execz .LBB259_23
; %bb.22:                               ;   in Loop: Header=BB259_21 Depth=1
	v_add_nc_u64_e32 v[56:57], v[86:87], v[0:1]
	s_delay_alu instid0(VALU_DEP_2) | instskip(SKIP_1) | instid1(VALU_DEP_3)
	v_add_nc_u64_e32 v[58:59], s[26:27], v[88:89]
	v_add_nc_u64_e32 v[60:61], s[34:35], v[88:89]
	v_dual_cndmask_b32 v57, v71, v57, s0 :: v_dual_cndmask_b32 v56, v70, v56, s0
	global_load_b64 v[56:57], v[56:57], off
	global_store_b64 v[58:59], v[54:55], off
	s_wait_loadcnt 0x0
	global_store_b64 v[60:61], v[56:57], off
.LBB259_23:                             ;   in Loop: Header=BB259_21 Depth=1
	s_wait_xcnt 0x0
	s_or_b32 exec_lo, exec_lo, s15
	v_add_nc_u64_e32 v[56:57], s[6:7], v[10:11]
	v_lshl_add_u64 v[84:85], v[24:25], 3, v[72:73]
	s_and_saveexec_b32 s15, s44
	s_cbranch_execz .LBB259_25
; %bb.24:                               ;   in Loop: Header=BB259_21 Depth=1
	v_add_nc_u64_e32 v[58:59], v[86:87], v[0:1]
	v_add_nc_u64_e32 v[60:61], s[26:27], v[88:89]
	v_add_nc_u64_e32 v[62:63], s[34:35], v[88:89]
	s_delay_alu instid0(VALU_DEP_3) | instskip(NEXT) | instid1(VALU_DEP_1)
	v_add_nc_u64_e32 v[58:59], 0x100, v[58:59]
	v_dual_cndmask_b32 v59, v85, v59, s0 :: v_dual_cndmask_b32 v58, v84, v58, s0
	global_load_b64 v[58:59], v[58:59], off
	global_store_b64 v[60:61], v[56:57], off offset:256
	s_wait_loadcnt 0x0
	global_store_b64 v[62:63], v[58:59], off offset:256
.LBB259_25:                             ;   in Loop: Header=BB259_21 Depth=1
	s_wait_xcnt 0x0
	s_or_b32 exec_lo, exec_lo, s15
	v_add_nc_u64_e32 v[58:59], s[6:7], v[12:13]
	v_lshl_add_u64 v[82:83], v[26:27], 3, v[72:73]
	s_and_saveexec_b32 s15, s45
	s_cbranch_execz .LBB259_27
; %bb.26:                               ;   in Loop: Header=BB259_21 Depth=1
	v_add_nc_u64_e32 v[60:61], v[86:87], v[0:1]
	v_add_nc_u64_e32 v[62:63], s[26:27], v[88:89]
	v_add_nc_u64_e32 v[64:65], s[34:35], v[88:89]
	s_delay_alu instid0(VALU_DEP_3) | instskip(NEXT) | instid1(VALU_DEP_1)
	v_add_nc_u64_e32 v[60:61], 0x200, v[60:61]
	v_dual_cndmask_b32 v61, v83, v61, s0 :: v_dual_cndmask_b32 v60, v82, v60, s0
	global_load_b64 v[60:61], v[60:61], off
	global_store_b64 v[62:63], v[58:59], off offset:512
	s_wait_loadcnt 0x0
	global_store_b64 v[64:65], v[60:61], off offset:512
.LBB259_27:                             ;   in Loop: Header=BB259_21 Depth=1
	;; [unrolled: 18-line block ×7, first 2 shown]
	s_wait_xcnt 0x0
	s_or_b32 exec_lo, exec_lo, s6
	v_add_nc_u64_e32 v[88:89], s[4:5], v[30:31]
	v_lshl_add_u64 v[86:87], s[40:41], 3, v[86:87]
	s_delay_alu instid0(VALU_DEP_2) | instskip(NEXT) | instid1(VALU_DEP_1)
	v_mad_nc_u64_u32 v[90:91], v88, s20, s[38:39]
	v_mad_u32 v89, v89, s20, v91
	s_delay_alu instid0(VALU_DEP_1) | instskip(NEXT) | instid1(VALU_DEP_1)
	v_mad_u32 v91, v88, s21, v89
	v_add_nc_u64_e32 v[88:89], v[90:91], v[2:3]
	s_delay_alu instid0(VALU_DEP_1)
	v_lshlrev_b64_e32 v[88:89], 3, v[88:89]
	s_and_saveexec_b32 s6, s42
	s_cbranch_execnz .LBB259_99
; %bb.38:                               ;   in Loop: Header=BB259_21 Depth=1
	s_or_b32 exec_lo, exec_lo, s6
	s_and_saveexec_b32 s6, s43
	s_cbranch_execnz .LBB259_100
.LBB259_39:                             ;   in Loop: Header=BB259_21 Depth=1
	s_or_b32 exec_lo, exec_lo, s6
	s_and_saveexec_b32 s6, s51
	s_cbranch_execnz .LBB259_101
.LBB259_40:                             ;   in Loop: Header=BB259_21 Depth=1
	s_or_b32 exec_lo, exec_lo, s6
	s_and_saveexec_b32 s6, s52
	s_cbranch_execnz .LBB259_102
.LBB259_41:                             ;   in Loop: Header=BB259_21 Depth=1
	s_or_b32 exec_lo, exec_lo, s6
	s_and_saveexec_b32 s6, s53
	s_cbranch_execnz .LBB259_103
.LBB259_42:                             ;   in Loop: Header=BB259_21 Depth=1
	s_or_b32 exec_lo, exec_lo, s6
	s_and_saveexec_b32 s6, s54
	s_cbranch_execnz .LBB259_104
.LBB259_43:                             ;   in Loop: Header=BB259_21 Depth=1
	s_or_b32 exec_lo, exec_lo, s6
	s_and_saveexec_b32 s6, s55
	s_cbranch_execnz .LBB259_105
.LBB259_44:                             ;   in Loop: Header=BB259_21 Depth=1
	s_or_b32 exec_lo, exec_lo, s6
	s_and_saveexec_b32 s6, s56
	s_cbranch_execz .LBB259_46
.LBB259_45:                             ;   in Loop: Header=BB259_21 Depth=1
	v_add_nc_u64_e32 v[90:91], v[86:87], v[0:1]
	v_add_nc_u64_e32 v[92:93], 0x100, v[72:73]
	s_delay_alu instid0(VALU_DEP_2) | instskip(NEXT) | instid1(VALU_DEP_1)
	v_add_nc_u64_e32 v[90:91], 0x700, v[90:91]
	v_dual_cndmask_b32 v91, v93, v91, s0 :: v_dual_cndmask_b32 v90, v92, v90, s0
	v_add_nc_u64_e32 v[92:93], s[26:27], v[88:89]
	v_add_nc_u64_e32 v[88:89], s[34:35], v[88:89]
	global_load_b64 v[90:91], v[90:91], off
	global_store_b64 v[92:93], v[68:69], off offset:1792
	s_wait_loadcnt 0x0
	global_store_b64 v[88:89], v[90:91], off offset:1792
.LBB259_46:                             ;   in Loop: Header=BB259_21 Depth=1
	s_wait_xcnt 0x0
	s_or_b32 exec_lo, exec_lo, s6
	v_add_nc_u64_e32 v[88:89], s[4:5], v[34:35]
	v_lshl_add_u64 v[86:87], s[40:41], 3, v[86:87]
	s_delay_alu instid0(VALU_DEP_2) | instskip(NEXT) | instid1(VALU_DEP_1)
	v_mad_nc_u64_u32 v[90:91], v88, s20, s[38:39]
	v_mad_u32 v89, v89, s20, v91
	s_delay_alu instid0(VALU_DEP_1) | instskip(NEXT) | instid1(VALU_DEP_1)
	v_mad_u32 v91, v88, s21, v89
	v_add_nc_u64_e32 v[88:89], v[90:91], v[2:3]
	s_delay_alu instid0(VALU_DEP_1)
	v_lshlrev_b64_e32 v[88:89], 3, v[88:89]
	s_and_saveexec_b32 s6, s57
	s_cbranch_execnz .LBB259_106
; %bb.47:                               ;   in Loop: Header=BB259_21 Depth=1
	s_or_b32 exec_lo, exec_lo, s6
	s_and_saveexec_b32 s6, s58
	s_cbranch_execnz .LBB259_107
.LBB259_48:                             ;   in Loop: Header=BB259_21 Depth=1
	s_or_b32 exec_lo, exec_lo, s6
	s_and_saveexec_b32 s6, s59
	s_cbranch_execnz .LBB259_108
.LBB259_49:                             ;   in Loop: Header=BB259_21 Depth=1
	s_or_b32 exec_lo, exec_lo, s6
	s_and_saveexec_b32 s6, s60
	s_cbranch_execnz .LBB259_109
.LBB259_50:                             ;   in Loop: Header=BB259_21 Depth=1
	s_or_b32 exec_lo, exec_lo, s6
	s_and_saveexec_b32 s6, s61
	s_cbranch_execnz .LBB259_110
.LBB259_51:                             ;   in Loop: Header=BB259_21 Depth=1
	s_or_b32 exec_lo, exec_lo, s6
	s_and_saveexec_b32 s6, s62
	s_cbranch_execnz .LBB259_111
.LBB259_52:                             ;   in Loop: Header=BB259_21 Depth=1
	s_or_b32 exec_lo, exec_lo, s6
	s_and_saveexec_b32 s6, s63
	s_cbranch_execnz .LBB259_112
.LBB259_53:                             ;   in Loop: Header=BB259_21 Depth=1
	s_or_b32 exec_lo, exec_lo, s6
	s_and_saveexec_b32 s6, s64
	s_cbranch_execz .LBB259_55
.LBB259_54:                             ;   in Loop: Header=BB259_21 Depth=1
	v_add_nc_u64_e32 v[90:91], v[86:87], v[0:1]
	v_add_nc_u64_e32 v[92:93], 0x200, v[72:73]
	s_delay_alu instid0(VALU_DEP_2) | instskip(NEXT) | instid1(VALU_DEP_1)
	v_add_nc_u64_e32 v[90:91], 0x700, v[90:91]
	v_dual_cndmask_b32 v91, v93, v91, s0 :: v_dual_cndmask_b32 v90, v92, v90, s0
	v_add_nc_u64_e32 v[92:93], s[26:27], v[88:89]
	v_add_nc_u64_e32 v[88:89], s[34:35], v[88:89]
	global_load_b64 v[90:91], v[90:91], off
	global_store_b64 v[92:93], v[68:69], off offset:1792
	s_wait_loadcnt 0x0
	global_store_b64 v[88:89], v[90:91], off offset:1792
.LBB259_55:                             ;   in Loop: Header=BB259_21 Depth=1
	s_wait_xcnt 0x0
	s_or_b32 exec_lo, exec_lo, s6
	v_add_nc_u64_e32 v[88:89], s[4:5], v[38:39]
	v_lshl_add_u64 v[86:87], s[40:41], 3, v[86:87]
	s_delay_alu instid0(VALU_DEP_2) | instskip(NEXT) | instid1(VALU_DEP_1)
	v_mad_nc_u64_u32 v[90:91], v88, s20, s[38:39]
	v_mad_u32 v89, v89, s20, v91
	s_delay_alu instid0(VALU_DEP_1) | instskip(NEXT) | instid1(VALU_DEP_1)
	v_mad_u32 v91, v88, s21, v89
	v_add_nc_u64_e32 v[88:89], v[90:91], v[2:3]
	s_delay_alu instid0(VALU_DEP_1)
	v_lshlrev_b64_e32 v[88:89], 3, v[88:89]
	s_and_saveexec_b32 s6, s65
	s_cbranch_execnz .LBB259_113
; %bb.56:                               ;   in Loop: Header=BB259_21 Depth=1
	s_or_b32 exec_lo, exec_lo, s6
	s_and_saveexec_b32 s6, s66
	s_cbranch_execnz .LBB259_114
.LBB259_57:                             ;   in Loop: Header=BB259_21 Depth=1
	s_or_b32 exec_lo, exec_lo, s6
	s_and_saveexec_b32 s6, s67
	s_cbranch_execnz .LBB259_115
.LBB259_58:                             ;   in Loop: Header=BB259_21 Depth=1
	s_or_b32 exec_lo, exec_lo, s6
	s_and_saveexec_b32 s6, s68
	s_cbranch_execnz .LBB259_116
.LBB259_59:                             ;   in Loop: Header=BB259_21 Depth=1
	s_or_b32 exec_lo, exec_lo, s6
	s_and_saveexec_b32 s6, s69
	s_cbranch_execnz .LBB259_117
.LBB259_60:                             ;   in Loop: Header=BB259_21 Depth=1
	s_or_b32 exec_lo, exec_lo, s6
	s_and_saveexec_b32 s6, s70
	s_cbranch_execnz .LBB259_118
.LBB259_61:                             ;   in Loop: Header=BB259_21 Depth=1
	s_or_b32 exec_lo, exec_lo, s6
	s_and_saveexec_b32 s6, s71
	s_cbranch_execnz .LBB259_119
.LBB259_62:                             ;   in Loop: Header=BB259_21 Depth=1
	s_or_b32 exec_lo, exec_lo, s6
	s_and_saveexec_b32 s6, s72
	s_cbranch_execz .LBB259_64
.LBB259_63:                             ;   in Loop: Header=BB259_21 Depth=1
	v_add_nc_u64_e32 v[90:91], v[86:87], v[0:1]
	v_add_nc_u64_e32 v[92:93], 0x300, v[72:73]
	s_delay_alu instid0(VALU_DEP_2) | instskip(NEXT) | instid1(VALU_DEP_1)
	v_add_nc_u64_e32 v[90:91], 0x700, v[90:91]
	v_dual_cndmask_b32 v91, v93, v91, s0 :: v_dual_cndmask_b32 v90, v92, v90, s0
	v_add_nc_u64_e32 v[92:93], s[26:27], v[88:89]
	v_add_nc_u64_e32 v[88:89], s[34:35], v[88:89]
	global_load_b64 v[90:91], v[90:91], off
	global_store_b64 v[92:93], v[68:69], off offset:1792
	s_wait_loadcnt 0x0
	global_store_b64 v[88:89], v[90:91], off offset:1792
.LBB259_64:                             ;   in Loop: Header=BB259_21 Depth=1
	s_wait_xcnt 0x0
	s_or_b32 exec_lo, exec_lo, s6
	v_add_nc_u64_e32 v[88:89], s[4:5], v[42:43]
	v_lshl_add_u64 v[86:87], s[40:41], 3, v[86:87]
	s_delay_alu instid0(VALU_DEP_2) | instskip(NEXT) | instid1(VALU_DEP_1)
	v_mad_nc_u64_u32 v[90:91], v88, s20, s[38:39]
	v_mad_u32 v89, v89, s20, v91
	s_delay_alu instid0(VALU_DEP_1) | instskip(NEXT) | instid1(VALU_DEP_1)
	v_mad_u32 v91, v88, s21, v89
	v_add_nc_u64_e32 v[88:89], v[90:91], v[2:3]
	s_delay_alu instid0(VALU_DEP_1)
	v_lshlrev_b64_e32 v[88:89], 3, v[88:89]
	s_and_saveexec_b32 s6, s73
	s_cbranch_execnz .LBB259_120
; %bb.65:                               ;   in Loop: Header=BB259_21 Depth=1
	s_or_b32 exec_lo, exec_lo, s6
	s_and_saveexec_b32 s6, s74
	s_cbranch_execnz .LBB259_121
.LBB259_66:                             ;   in Loop: Header=BB259_21 Depth=1
	s_or_b32 exec_lo, exec_lo, s6
	s_and_saveexec_b32 s6, s75
	s_cbranch_execnz .LBB259_122
.LBB259_67:                             ;   in Loop: Header=BB259_21 Depth=1
	s_or_b32 exec_lo, exec_lo, s6
	s_and_saveexec_b32 s6, s76
	s_cbranch_execnz .LBB259_123
.LBB259_68:                             ;   in Loop: Header=BB259_21 Depth=1
	s_or_b32 exec_lo, exec_lo, s6
	s_and_saveexec_b32 s6, s77
	s_cbranch_execnz .LBB259_124
.LBB259_69:                             ;   in Loop: Header=BB259_21 Depth=1
	s_or_b32 exec_lo, exec_lo, s6
	s_and_saveexec_b32 s6, s78
	s_cbranch_execnz .LBB259_125
.LBB259_70:                             ;   in Loop: Header=BB259_21 Depth=1
	s_or_b32 exec_lo, exec_lo, s6
	s_and_saveexec_b32 s6, s79
	s_cbranch_execnz .LBB259_126
.LBB259_71:                             ;   in Loop: Header=BB259_21 Depth=1
	s_or_b32 exec_lo, exec_lo, s6
	s_and_saveexec_b32 s6, s80
	s_cbranch_execz .LBB259_73
.LBB259_72:                             ;   in Loop: Header=BB259_21 Depth=1
	v_add_nc_u64_e32 v[90:91], v[86:87], v[0:1]
	v_add_nc_u64_e32 v[92:93], 0x400, v[72:73]
	s_delay_alu instid0(VALU_DEP_2) | instskip(NEXT) | instid1(VALU_DEP_1)
	v_add_nc_u64_e32 v[90:91], 0x700, v[90:91]
	v_dual_cndmask_b32 v91, v93, v91, s0 :: v_dual_cndmask_b32 v90, v92, v90, s0
	v_add_nc_u64_e32 v[92:93], s[26:27], v[88:89]
	v_add_nc_u64_e32 v[88:89], s[34:35], v[88:89]
	global_load_b64 v[90:91], v[90:91], off
	global_store_b64 v[92:93], v[68:69], off offset:1792
	s_wait_loadcnt 0x0
	global_store_b64 v[88:89], v[90:91], off offset:1792
.LBB259_73:                             ;   in Loop: Header=BB259_21 Depth=1
	s_wait_xcnt 0x0
	s_or_b32 exec_lo, exec_lo, s6
	v_add_nc_u64_e32 v[88:89], s[4:5], v[46:47]
	v_lshl_add_u64 v[86:87], s[40:41], 3, v[86:87]
	s_delay_alu instid0(VALU_DEP_2) | instskip(NEXT) | instid1(VALU_DEP_1)
	v_mad_nc_u64_u32 v[90:91], v88, s20, s[38:39]
	v_mad_u32 v89, v89, s20, v91
	s_delay_alu instid0(VALU_DEP_1) | instskip(NEXT) | instid1(VALU_DEP_1)
	v_mad_u32 v91, v88, s21, v89
	v_add_nc_u64_e32 v[88:89], v[90:91], v[2:3]
	s_delay_alu instid0(VALU_DEP_1)
	v_lshlrev_b64_e32 v[88:89], 3, v[88:89]
	s_and_saveexec_b32 s6, s81
	s_cbranch_execnz .LBB259_127
; %bb.74:                               ;   in Loop: Header=BB259_21 Depth=1
	s_or_b32 exec_lo, exec_lo, s6
	s_and_saveexec_b32 s6, s82
	s_cbranch_execnz .LBB259_128
.LBB259_75:                             ;   in Loop: Header=BB259_21 Depth=1
	s_or_b32 exec_lo, exec_lo, s6
	s_and_saveexec_b32 s6, s83
	s_cbranch_execnz .LBB259_129
.LBB259_76:                             ;   in Loop: Header=BB259_21 Depth=1
	s_or_b32 exec_lo, exec_lo, s6
	s_and_saveexec_b32 s6, s84
	s_cbranch_execnz .LBB259_130
.LBB259_77:                             ;   in Loop: Header=BB259_21 Depth=1
	s_or_b32 exec_lo, exec_lo, s6
	s_and_saveexec_b32 s6, s85
	s_cbranch_execnz .LBB259_131
.LBB259_78:                             ;   in Loop: Header=BB259_21 Depth=1
	s_or_b32 exec_lo, exec_lo, s6
	s_and_saveexec_b32 s6, s86
	s_cbranch_execnz .LBB259_132
.LBB259_79:                             ;   in Loop: Header=BB259_21 Depth=1
	s_or_b32 exec_lo, exec_lo, s6
	s_and_saveexec_b32 s6, s87
	s_cbranch_execnz .LBB259_133
.LBB259_80:                             ;   in Loop: Header=BB259_21 Depth=1
	s_or_b32 exec_lo, exec_lo, s6
	s_and_saveexec_b32 s6, s88
	s_cbranch_execz .LBB259_82
.LBB259_81:                             ;   in Loop: Header=BB259_21 Depth=1
	v_add_nc_u64_e32 v[90:91], v[86:87], v[0:1]
	v_add_nc_u64_e32 v[92:93], 0x500, v[72:73]
	s_delay_alu instid0(VALU_DEP_2) | instskip(NEXT) | instid1(VALU_DEP_1)
	v_add_nc_u64_e32 v[90:91], 0x700, v[90:91]
	v_dual_cndmask_b32 v91, v93, v91, s0 :: v_dual_cndmask_b32 v90, v92, v90, s0
	v_add_nc_u64_e32 v[92:93], s[26:27], v[88:89]
	v_add_nc_u64_e32 v[88:89], s[34:35], v[88:89]
	global_load_b64 v[90:91], v[90:91], off
	global_store_b64 v[92:93], v[68:69], off offset:1792
	s_wait_loadcnt 0x0
	global_store_b64 v[88:89], v[90:91], off offset:1792
.LBB259_82:                             ;   in Loop: Header=BB259_21 Depth=1
	s_wait_xcnt 0x0
	s_or_b32 exec_lo, exec_lo, s6
	v_add_nc_u64_e32 v[88:89], s[4:5], v[48:49]
	v_lshl_add_u64 v[86:87], s[40:41], 3, v[86:87]
	s_delay_alu instid0(VALU_DEP_2) | instskip(NEXT) | instid1(VALU_DEP_1)
	v_mad_nc_u64_u32 v[90:91], v88, s20, s[38:39]
	v_mad_u32 v89, v89, s20, v91
	s_delay_alu instid0(VALU_DEP_1) | instskip(NEXT) | instid1(VALU_DEP_1)
	v_mad_u32 v91, v88, s21, v89
	v_add_nc_u64_e32 v[88:89], v[90:91], v[2:3]
	s_delay_alu instid0(VALU_DEP_1)
	v_lshlrev_b64_e32 v[88:89], 3, v[88:89]
	s_and_saveexec_b32 s6, s89
	s_cbranch_execnz .LBB259_134
; %bb.83:                               ;   in Loop: Header=BB259_21 Depth=1
	s_or_b32 exec_lo, exec_lo, s6
	s_and_saveexec_b32 s6, s90
	s_cbranch_execnz .LBB259_135
.LBB259_84:                             ;   in Loop: Header=BB259_21 Depth=1
	s_or_b32 exec_lo, exec_lo, s6
	s_and_saveexec_b32 s6, s91
	s_cbranch_execnz .LBB259_136
.LBB259_85:                             ;   in Loop: Header=BB259_21 Depth=1
	s_or_b32 exec_lo, exec_lo, s6
	s_and_saveexec_b32 s6, s92
	s_cbranch_execnz .LBB259_137
.LBB259_86:                             ;   in Loop: Header=BB259_21 Depth=1
	s_or_b32 exec_lo, exec_lo, s6
	s_and_saveexec_b32 s6, s93
	s_cbranch_execnz .LBB259_138
.LBB259_87:                             ;   in Loop: Header=BB259_21 Depth=1
	s_or_b32 exec_lo, exec_lo, s6
	s_and_saveexec_b32 s6, s94
	s_cbranch_execnz .LBB259_139
.LBB259_88:                             ;   in Loop: Header=BB259_21 Depth=1
	s_or_b32 exec_lo, exec_lo, s6
	s_and_saveexec_b32 s6, s95
	s_cbranch_execnz .LBB259_140
.LBB259_89:                             ;   in Loop: Header=BB259_21 Depth=1
	s_or_b32 exec_lo, exec_lo, s6
	s_and_saveexec_b32 s6, s8
	s_cbranch_execz .LBB259_91
.LBB259_90:                             ;   in Loop: Header=BB259_21 Depth=1
	v_add_nc_u64_e32 v[90:91], v[86:87], v[0:1]
	v_add_nc_u64_e32 v[92:93], 0x600, v[72:73]
	s_delay_alu instid0(VALU_DEP_2) | instskip(NEXT) | instid1(VALU_DEP_1)
	v_add_nc_u64_e32 v[90:91], 0x700, v[90:91]
	v_dual_cndmask_b32 v91, v93, v91, s0 :: v_dual_cndmask_b32 v90, v92, v90, s0
	v_add_nc_u64_e32 v[92:93], s[26:27], v[88:89]
	v_add_nc_u64_e32 v[88:89], s[34:35], v[88:89]
	global_load_b64 v[90:91], v[90:91], off
	global_store_b64 v[92:93], v[68:69], off offset:1792
	s_wait_loadcnt 0x0
	global_store_b64 v[88:89], v[90:91], off offset:1792
.LBB259_91:                             ;   in Loop: Header=BB259_21 Depth=1
	s_wait_xcnt 0x0
	s_or_b32 exec_lo, exec_lo, s6
	v_add_nc_u64_e32 v[88:89], s[4:5], v[50:51]
	v_lshl_add_u64 v[86:87], s[40:41], 3, v[86:87]
	s_delay_alu instid0(VALU_DEP_2) | instskip(NEXT) | instid1(VALU_DEP_1)
	v_mad_nc_u64_u32 v[90:91], v88, s20, s[38:39]
	v_mad_u32 v89, v89, s20, v91
	s_delay_alu instid0(VALU_DEP_1) | instskip(NEXT) | instid1(VALU_DEP_1)
	v_mad_u32 v91, v88, s21, v89
	v_add_nc_u64_e32 v[88:89], v[90:91], v[2:3]
	s_delay_alu instid0(VALU_DEP_1)
	v_lshlrev_b64_e32 v[88:89], 3, v[88:89]
	s_and_saveexec_b32 s4, s96
	s_cbranch_execnz .LBB259_141
; %bb.92:                               ;   in Loop: Header=BB259_21 Depth=1
	s_or_b32 exec_lo, exec_lo, s4
	s_and_saveexec_b32 s4, s1
	s_cbranch_execnz .LBB259_142
.LBB259_93:                             ;   in Loop: Header=BB259_21 Depth=1
	s_or_b32 exec_lo, exec_lo, s4
	s_and_saveexec_b32 s4, s10
	s_cbranch_execnz .LBB259_143
.LBB259_94:                             ;   in Loop: Header=BB259_21 Depth=1
	s_or_b32 exec_lo, exec_lo, s4
	s_and_saveexec_b32 s4, s11
	s_cbranch_execnz .LBB259_144
.LBB259_95:                             ;   in Loop: Header=BB259_21 Depth=1
	s_or_b32 exec_lo, exec_lo, s4
	s_and_saveexec_b32 s4, s12
	s_cbranch_execnz .LBB259_145
.LBB259_96:                             ;   in Loop: Header=BB259_21 Depth=1
	s_or_b32 exec_lo, exec_lo, s4
	s_and_saveexec_b32 s4, s13
	s_cbranch_execnz .LBB259_146
.LBB259_97:                             ;   in Loop: Header=BB259_21 Depth=1
	s_or_b32 exec_lo, exec_lo, s4
	s_and_saveexec_b32 s4, s14
	s_cbranch_execnz .LBB259_147
.LBB259_98:                             ;   in Loop: Header=BB259_21 Depth=1
	s_or_b32 exec_lo, exec_lo, s4
	s_and_saveexec_b32 s4, s9
	s_cbranch_execz .LBB259_20
	s_branch .LBB259_148
.LBB259_99:                             ;   in Loop: Header=BB259_21 Depth=1
	v_add_nc_u64_e32 v[90:91], v[86:87], v[0:1]
	v_add_nc_u64_e32 v[92:93], 0x100, v[70:71]
	s_delay_alu instid0(VALU_DEP_3) | instskip(NEXT) | instid1(VALU_DEP_2)
	v_add_nc_u64_e32 v[94:95], s[34:35], v[88:89]
	v_dual_cndmask_b32 v91, v93, v91, s0 :: v_dual_cndmask_b32 v90, v92, v90, s0
	v_add_nc_u64_e32 v[92:93], s[26:27], v[88:89]
	global_load_b64 v[90:91], v[90:91], off
	global_store_b64 v[92:93], v[54:55], off
	s_wait_loadcnt 0x0
	global_store_b64 v[94:95], v[90:91], off
	s_wait_xcnt 0x0
	s_or_b32 exec_lo, exec_lo, s6
	s_and_saveexec_b32 s6, s43
	s_cbranch_execz .LBB259_39
.LBB259_100:                            ;   in Loop: Header=BB259_21 Depth=1
	v_add_nc_u64_e32 v[90:91], v[86:87], v[0:1]
	v_add_nc_u64_e32 v[92:93], s[26:27], v[88:89]
	;; [unrolled: 1-line block ×3, first 2 shown]
	s_delay_alu instid0(VALU_DEP_3)
	v_dual_cndmask_b32 v91, v85, v91, s0 :: v_dual_cndmask_b32 v90, v84, v90, s0
	global_load_b64 v[90:91], v[90:91], off offset:256
	global_store_b64 v[92:93], v[56:57], off offset:256
	s_wait_loadcnt 0x0
	global_store_b64 v[94:95], v[90:91], off offset:256
	s_wait_xcnt 0x0
	s_or_b32 exec_lo, exec_lo, s6
	s_and_saveexec_b32 s6, s51
	s_cbranch_execz .LBB259_40
.LBB259_101:                            ;   in Loop: Header=BB259_21 Depth=1
	v_add_nc_u64_e32 v[90:91], v[86:87], v[0:1]
	v_add_nc_u64_e32 v[92:93], 0x100, v[82:83]
	;; [unrolled: 1-line block ×3, first 2 shown]
	s_delay_alu instid0(VALU_DEP_3) | instskip(NEXT) | instid1(VALU_DEP_1)
	v_add_nc_u64_e32 v[90:91], 0x200, v[90:91]
	v_dual_cndmask_b32 v91, v93, v91, s0 :: v_dual_cndmask_b32 v90, v92, v90, s0
	v_add_nc_u64_e32 v[92:93], s[26:27], v[88:89]
	global_load_b64 v[90:91], v[90:91], off
	global_store_b64 v[92:93], v[58:59], off offset:512
	s_wait_loadcnt 0x0
	global_store_b64 v[94:95], v[90:91], off offset:512
	s_wait_xcnt 0x0
	s_or_b32 exec_lo, exec_lo, s6
	s_and_saveexec_b32 s6, s52
	s_cbranch_execz .LBB259_41
.LBB259_102:                            ;   in Loop: Header=BB259_21 Depth=1
	v_add_nc_u64_e32 v[90:91], v[86:87], v[0:1]
	v_add_nc_u64_e32 v[92:93], 0x100, v[80:81]
	;; [unrolled: 1-line block ×3, first 2 shown]
	s_delay_alu instid0(VALU_DEP_3) | instskip(NEXT) | instid1(VALU_DEP_1)
	v_add_nc_u64_e32 v[90:91], 0x300, v[90:91]
	v_dual_cndmask_b32 v91, v93, v91, s0 :: v_dual_cndmask_b32 v90, v92, v90, s0
	v_add_nc_u64_e32 v[92:93], s[26:27], v[88:89]
	global_load_b64 v[90:91], v[90:91], off
	global_store_b64 v[92:93], v[60:61], off offset:768
	s_wait_loadcnt 0x0
	global_store_b64 v[94:95], v[90:91], off offset:768
	s_wait_xcnt 0x0
	s_or_b32 exec_lo, exec_lo, s6
	s_and_saveexec_b32 s6, s53
	s_cbranch_execz .LBB259_42
.LBB259_103:                            ;   in Loop: Header=BB259_21 Depth=1
	v_add_nc_u64_e32 v[90:91], v[86:87], v[0:1]
	v_add_nc_u64_e32 v[92:93], 0x100, v[78:79]
	;; [unrolled: 1-line block ×3, first 2 shown]
	s_delay_alu instid0(VALU_DEP_3) | instskip(NEXT) | instid1(VALU_DEP_1)
	v_add_nc_u64_e32 v[90:91], 0x400, v[90:91]
	v_dual_cndmask_b32 v91, v93, v91, s0 :: v_dual_cndmask_b32 v90, v92, v90, s0
	v_add_nc_u64_e32 v[92:93], s[26:27], v[88:89]
	global_load_b64 v[90:91], v[90:91], off
	global_store_b64 v[92:93], v[62:63], off offset:1024
	s_wait_loadcnt 0x0
	global_store_b64 v[94:95], v[90:91], off offset:1024
	s_wait_xcnt 0x0
	s_or_b32 exec_lo, exec_lo, s6
	s_and_saveexec_b32 s6, s54
	s_cbranch_execz .LBB259_43
.LBB259_104:                            ;   in Loop: Header=BB259_21 Depth=1
	v_add_nc_u64_e32 v[90:91], v[86:87], v[0:1]
	v_add_nc_u64_e32 v[92:93], 0x100, v[76:77]
	;; [unrolled: 1-line block ×3, first 2 shown]
	s_delay_alu instid0(VALU_DEP_3) | instskip(NEXT) | instid1(VALU_DEP_1)
	v_add_nc_u64_e32 v[90:91], 0x500, v[90:91]
	v_dual_cndmask_b32 v91, v93, v91, s0 :: v_dual_cndmask_b32 v90, v92, v90, s0
	v_add_nc_u64_e32 v[92:93], s[26:27], v[88:89]
	global_load_b64 v[90:91], v[90:91], off
	global_store_b64 v[92:93], v[64:65], off offset:1280
	s_wait_loadcnt 0x0
	global_store_b64 v[94:95], v[90:91], off offset:1280
	s_wait_xcnt 0x0
	s_or_b32 exec_lo, exec_lo, s6
	s_and_saveexec_b32 s6, s55
	s_cbranch_execz .LBB259_44
.LBB259_105:                            ;   in Loop: Header=BB259_21 Depth=1
	v_add_nc_u64_e32 v[90:91], v[86:87], v[0:1]
	v_add_nc_u64_e32 v[92:93], 0x100, v[74:75]
	;; [unrolled: 1-line block ×3, first 2 shown]
	s_delay_alu instid0(VALU_DEP_3) | instskip(NEXT) | instid1(VALU_DEP_1)
	v_add_nc_u64_e32 v[90:91], 0x600, v[90:91]
	v_dual_cndmask_b32 v91, v93, v91, s0 :: v_dual_cndmask_b32 v90, v92, v90, s0
	v_add_nc_u64_e32 v[92:93], s[26:27], v[88:89]
	global_load_b64 v[90:91], v[90:91], off
	global_store_b64 v[92:93], v[66:67], off offset:1536
	s_wait_loadcnt 0x0
	global_store_b64 v[94:95], v[90:91], off offset:1536
	s_wait_xcnt 0x0
	s_or_b32 exec_lo, exec_lo, s6
	s_and_saveexec_b32 s6, s56
	s_cbranch_execnz .LBB259_45
	s_branch .LBB259_46
.LBB259_106:                            ;   in Loop: Header=BB259_21 Depth=1
	v_add_nc_u64_e32 v[90:91], v[86:87], v[0:1]
	v_add_nc_u64_e32 v[92:93], 0x200, v[70:71]
	s_delay_alu instid0(VALU_DEP_3) | instskip(NEXT) | instid1(VALU_DEP_2)
	v_add_nc_u64_e32 v[94:95], s[34:35], v[88:89]
	v_dual_cndmask_b32 v91, v93, v91, s0 :: v_dual_cndmask_b32 v90, v92, v90, s0
	v_add_nc_u64_e32 v[92:93], s[26:27], v[88:89]
	global_load_b64 v[90:91], v[90:91], off
	global_store_b64 v[92:93], v[54:55], off
	s_wait_loadcnt 0x0
	global_store_b64 v[94:95], v[90:91], off
	s_wait_xcnt 0x0
	s_or_b32 exec_lo, exec_lo, s6
	s_and_saveexec_b32 s6, s58
	s_cbranch_execz .LBB259_48
.LBB259_107:                            ;   in Loop: Header=BB259_21 Depth=1
	v_add_nc_u64_e32 v[90:91], v[86:87], v[0:1]
	v_add_nc_u64_e32 v[92:93], 0x200, v[84:85]
	;; [unrolled: 1-line block ×3, first 2 shown]
	s_delay_alu instid0(VALU_DEP_3) | instskip(NEXT) | instid1(VALU_DEP_1)
	v_add_nc_u64_e32 v[90:91], 0x100, v[90:91]
	v_dual_cndmask_b32 v91, v93, v91, s0 :: v_dual_cndmask_b32 v90, v92, v90, s0
	v_add_nc_u64_e32 v[92:93], s[26:27], v[88:89]
	global_load_b64 v[90:91], v[90:91], off
	global_store_b64 v[92:93], v[56:57], off offset:256
	s_wait_loadcnt 0x0
	global_store_b64 v[94:95], v[90:91], off offset:256
	s_wait_xcnt 0x0
	s_or_b32 exec_lo, exec_lo, s6
	s_and_saveexec_b32 s6, s59
	s_cbranch_execz .LBB259_49
.LBB259_108:                            ;   in Loop: Header=BB259_21 Depth=1
	v_add_nc_u64_e32 v[90:91], v[86:87], v[0:1]
	v_add_nc_u64_e32 v[92:93], s[26:27], v[88:89]
	;; [unrolled: 1-line block ×3, first 2 shown]
	s_delay_alu instid0(VALU_DEP_3)
	v_dual_cndmask_b32 v91, v83, v91, s0 :: v_dual_cndmask_b32 v90, v82, v90, s0
	global_load_b64 v[90:91], v[90:91], off offset:512
	global_store_b64 v[92:93], v[58:59], off offset:512
	s_wait_loadcnt 0x0
	global_store_b64 v[94:95], v[90:91], off offset:512
	s_wait_xcnt 0x0
	s_or_b32 exec_lo, exec_lo, s6
	s_and_saveexec_b32 s6, s60
	s_cbranch_execz .LBB259_50
.LBB259_109:                            ;   in Loop: Header=BB259_21 Depth=1
	v_add_nc_u64_e32 v[90:91], v[86:87], v[0:1]
	v_add_nc_u64_e32 v[92:93], 0x200, v[80:81]
	;; [unrolled: 1-line block ×3, first 2 shown]
	s_delay_alu instid0(VALU_DEP_3) | instskip(NEXT) | instid1(VALU_DEP_1)
	v_add_nc_u64_e32 v[90:91], 0x300, v[90:91]
	v_dual_cndmask_b32 v91, v93, v91, s0 :: v_dual_cndmask_b32 v90, v92, v90, s0
	v_add_nc_u64_e32 v[92:93], s[26:27], v[88:89]
	global_load_b64 v[90:91], v[90:91], off
	global_store_b64 v[92:93], v[60:61], off offset:768
	s_wait_loadcnt 0x0
	global_store_b64 v[94:95], v[90:91], off offset:768
	s_wait_xcnt 0x0
	s_or_b32 exec_lo, exec_lo, s6
	s_and_saveexec_b32 s6, s61
	s_cbranch_execz .LBB259_51
.LBB259_110:                            ;   in Loop: Header=BB259_21 Depth=1
	v_add_nc_u64_e32 v[90:91], v[86:87], v[0:1]
	v_add_nc_u64_e32 v[92:93], 0x200, v[78:79]
	;; [unrolled: 1-line block ×3, first 2 shown]
	s_delay_alu instid0(VALU_DEP_3) | instskip(NEXT) | instid1(VALU_DEP_1)
	v_add_nc_u64_e32 v[90:91], 0x400, v[90:91]
	v_dual_cndmask_b32 v91, v93, v91, s0 :: v_dual_cndmask_b32 v90, v92, v90, s0
	v_add_nc_u64_e32 v[92:93], s[26:27], v[88:89]
	global_load_b64 v[90:91], v[90:91], off
	global_store_b64 v[92:93], v[62:63], off offset:1024
	s_wait_loadcnt 0x0
	global_store_b64 v[94:95], v[90:91], off offset:1024
	s_wait_xcnt 0x0
	s_or_b32 exec_lo, exec_lo, s6
	s_and_saveexec_b32 s6, s62
	s_cbranch_execz .LBB259_52
.LBB259_111:                            ;   in Loop: Header=BB259_21 Depth=1
	v_add_nc_u64_e32 v[90:91], v[86:87], v[0:1]
	v_add_nc_u64_e32 v[92:93], 0x200, v[76:77]
	;; [unrolled: 1-line block ×3, first 2 shown]
	s_delay_alu instid0(VALU_DEP_3) | instskip(NEXT) | instid1(VALU_DEP_1)
	v_add_nc_u64_e32 v[90:91], 0x500, v[90:91]
	v_dual_cndmask_b32 v91, v93, v91, s0 :: v_dual_cndmask_b32 v90, v92, v90, s0
	v_add_nc_u64_e32 v[92:93], s[26:27], v[88:89]
	global_load_b64 v[90:91], v[90:91], off
	global_store_b64 v[92:93], v[64:65], off offset:1280
	s_wait_loadcnt 0x0
	global_store_b64 v[94:95], v[90:91], off offset:1280
	s_wait_xcnt 0x0
	s_or_b32 exec_lo, exec_lo, s6
	s_and_saveexec_b32 s6, s63
	s_cbranch_execz .LBB259_53
.LBB259_112:                            ;   in Loop: Header=BB259_21 Depth=1
	v_add_nc_u64_e32 v[90:91], v[86:87], v[0:1]
	v_add_nc_u64_e32 v[92:93], 0x200, v[74:75]
	;; [unrolled: 1-line block ×3, first 2 shown]
	s_delay_alu instid0(VALU_DEP_3) | instskip(NEXT) | instid1(VALU_DEP_1)
	v_add_nc_u64_e32 v[90:91], 0x600, v[90:91]
	v_dual_cndmask_b32 v91, v93, v91, s0 :: v_dual_cndmask_b32 v90, v92, v90, s0
	v_add_nc_u64_e32 v[92:93], s[26:27], v[88:89]
	global_load_b64 v[90:91], v[90:91], off
	global_store_b64 v[92:93], v[66:67], off offset:1536
	s_wait_loadcnt 0x0
	global_store_b64 v[94:95], v[90:91], off offset:1536
	s_wait_xcnt 0x0
	s_or_b32 exec_lo, exec_lo, s6
	s_and_saveexec_b32 s6, s64
	s_cbranch_execnz .LBB259_54
	s_branch .LBB259_55
.LBB259_113:                            ;   in Loop: Header=BB259_21 Depth=1
	v_add_nc_u64_e32 v[90:91], v[86:87], v[0:1]
	v_add_nc_u64_e32 v[92:93], 0x300, v[70:71]
	s_delay_alu instid0(VALU_DEP_3) | instskip(NEXT) | instid1(VALU_DEP_2)
	v_add_nc_u64_e32 v[94:95], s[34:35], v[88:89]
	v_dual_cndmask_b32 v91, v93, v91, s0 :: v_dual_cndmask_b32 v90, v92, v90, s0
	v_add_nc_u64_e32 v[92:93], s[26:27], v[88:89]
	global_load_b64 v[90:91], v[90:91], off
	global_store_b64 v[92:93], v[54:55], off
	s_wait_loadcnt 0x0
	global_store_b64 v[94:95], v[90:91], off
	s_wait_xcnt 0x0
	s_or_b32 exec_lo, exec_lo, s6
	s_and_saveexec_b32 s6, s66
	s_cbranch_execz .LBB259_57
.LBB259_114:                            ;   in Loop: Header=BB259_21 Depth=1
	v_add_nc_u64_e32 v[90:91], v[86:87], v[0:1]
	v_add_nc_u64_e32 v[92:93], 0x300, v[84:85]
	;; [unrolled: 1-line block ×3, first 2 shown]
	s_delay_alu instid0(VALU_DEP_3) | instskip(NEXT) | instid1(VALU_DEP_1)
	v_add_nc_u64_e32 v[90:91], 0x100, v[90:91]
	v_dual_cndmask_b32 v91, v93, v91, s0 :: v_dual_cndmask_b32 v90, v92, v90, s0
	v_add_nc_u64_e32 v[92:93], s[26:27], v[88:89]
	global_load_b64 v[90:91], v[90:91], off
	global_store_b64 v[92:93], v[56:57], off offset:256
	s_wait_loadcnt 0x0
	global_store_b64 v[94:95], v[90:91], off offset:256
	s_wait_xcnt 0x0
	s_or_b32 exec_lo, exec_lo, s6
	s_and_saveexec_b32 s6, s67
	s_cbranch_execz .LBB259_58
.LBB259_115:                            ;   in Loop: Header=BB259_21 Depth=1
	v_add_nc_u64_e32 v[90:91], v[86:87], v[0:1]
	v_add_nc_u64_e32 v[92:93], 0x300, v[82:83]
	;; [unrolled: 1-line block ×3, first 2 shown]
	s_delay_alu instid0(VALU_DEP_3) | instskip(NEXT) | instid1(VALU_DEP_1)
	v_add_nc_u64_e32 v[90:91], 0x200, v[90:91]
	v_dual_cndmask_b32 v91, v93, v91, s0 :: v_dual_cndmask_b32 v90, v92, v90, s0
	v_add_nc_u64_e32 v[92:93], s[26:27], v[88:89]
	global_load_b64 v[90:91], v[90:91], off
	global_store_b64 v[92:93], v[58:59], off offset:512
	s_wait_loadcnt 0x0
	global_store_b64 v[94:95], v[90:91], off offset:512
	s_wait_xcnt 0x0
	s_or_b32 exec_lo, exec_lo, s6
	s_and_saveexec_b32 s6, s68
	s_cbranch_execz .LBB259_59
.LBB259_116:                            ;   in Loop: Header=BB259_21 Depth=1
	v_add_nc_u64_e32 v[90:91], v[86:87], v[0:1]
	v_add_nc_u64_e32 v[92:93], s[26:27], v[88:89]
	;; [unrolled: 1-line block ×3, first 2 shown]
	s_delay_alu instid0(VALU_DEP_3)
	v_dual_cndmask_b32 v91, v81, v91, s0 :: v_dual_cndmask_b32 v90, v80, v90, s0
	global_load_b64 v[90:91], v[90:91], off offset:768
	global_store_b64 v[92:93], v[60:61], off offset:768
	s_wait_loadcnt 0x0
	global_store_b64 v[94:95], v[90:91], off offset:768
	s_wait_xcnt 0x0
	s_or_b32 exec_lo, exec_lo, s6
	s_and_saveexec_b32 s6, s69
	s_cbranch_execz .LBB259_60
.LBB259_117:                            ;   in Loop: Header=BB259_21 Depth=1
	v_add_nc_u64_e32 v[90:91], v[86:87], v[0:1]
	v_add_nc_u64_e32 v[92:93], 0x300, v[78:79]
	;; [unrolled: 1-line block ×3, first 2 shown]
	s_delay_alu instid0(VALU_DEP_3) | instskip(NEXT) | instid1(VALU_DEP_1)
	v_add_nc_u64_e32 v[90:91], 0x400, v[90:91]
	v_dual_cndmask_b32 v91, v93, v91, s0 :: v_dual_cndmask_b32 v90, v92, v90, s0
	v_add_nc_u64_e32 v[92:93], s[26:27], v[88:89]
	global_load_b64 v[90:91], v[90:91], off
	global_store_b64 v[92:93], v[62:63], off offset:1024
	s_wait_loadcnt 0x0
	global_store_b64 v[94:95], v[90:91], off offset:1024
	s_wait_xcnt 0x0
	s_or_b32 exec_lo, exec_lo, s6
	s_and_saveexec_b32 s6, s70
	s_cbranch_execz .LBB259_61
.LBB259_118:                            ;   in Loop: Header=BB259_21 Depth=1
	v_add_nc_u64_e32 v[90:91], v[86:87], v[0:1]
	v_add_nc_u64_e32 v[92:93], 0x300, v[76:77]
	;; [unrolled: 1-line block ×3, first 2 shown]
	s_delay_alu instid0(VALU_DEP_3) | instskip(NEXT) | instid1(VALU_DEP_1)
	v_add_nc_u64_e32 v[90:91], 0x500, v[90:91]
	v_dual_cndmask_b32 v91, v93, v91, s0 :: v_dual_cndmask_b32 v90, v92, v90, s0
	v_add_nc_u64_e32 v[92:93], s[26:27], v[88:89]
	global_load_b64 v[90:91], v[90:91], off
	global_store_b64 v[92:93], v[64:65], off offset:1280
	s_wait_loadcnt 0x0
	global_store_b64 v[94:95], v[90:91], off offset:1280
	s_wait_xcnt 0x0
	s_or_b32 exec_lo, exec_lo, s6
	s_and_saveexec_b32 s6, s71
	s_cbranch_execz .LBB259_62
.LBB259_119:                            ;   in Loop: Header=BB259_21 Depth=1
	v_add_nc_u64_e32 v[90:91], v[86:87], v[0:1]
	v_add_nc_u64_e32 v[92:93], 0x300, v[74:75]
	;; [unrolled: 1-line block ×3, first 2 shown]
	s_delay_alu instid0(VALU_DEP_3) | instskip(NEXT) | instid1(VALU_DEP_1)
	v_add_nc_u64_e32 v[90:91], 0x600, v[90:91]
	v_dual_cndmask_b32 v91, v93, v91, s0 :: v_dual_cndmask_b32 v90, v92, v90, s0
	v_add_nc_u64_e32 v[92:93], s[26:27], v[88:89]
	global_load_b64 v[90:91], v[90:91], off
	global_store_b64 v[92:93], v[66:67], off offset:1536
	s_wait_loadcnt 0x0
	global_store_b64 v[94:95], v[90:91], off offset:1536
	s_wait_xcnt 0x0
	s_or_b32 exec_lo, exec_lo, s6
	s_and_saveexec_b32 s6, s72
	s_cbranch_execnz .LBB259_63
	s_branch .LBB259_64
.LBB259_120:                            ;   in Loop: Header=BB259_21 Depth=1
	v_add_nc_u64_e32 v[90:91], v[86:87], v[0:1]
	v_add_nc_u64_e32 v[92:93], 0x400, v[70:71]
	s_delay_alu instid0(VALU_DEP_3) | instskip(NEXT) | instid1(VALU_DEP_2)
	v_add_nc_u64_e32 v[94:95], s[34:35], v[88:89]
	v_dual_cndmask_b32 v91, v93, v91, s0 :: v_dual_cndmask_b32 v90, v92, v90, s0
	v_add_nc_u64_e32 v[92:93], s[26:27], v[88:89]
	global_load_b64 v[90:91], v[90:91], off
	global_store_b64 v[92:93], v[54:55], off
	s_wait_loadcnt 0x0
	global_store_b64 v[94:95], v[90:91], off
	s_wait_xcnt 0x0
	s_or_b32 exec_lo, exec_lo, s6
	s_and_saveexec_b32 s6, s74
	s_cbranch_execz .LBB259_66
.LBB259_121:                            ;   in Loop: Header=BB259_21 Depth=1
	v_add_nc_u64_e32 v[90:91], v[86:87], v[0:1]
	v_add_nc_u64_e32 v[92:93], 0x400, v[84:85]
	;; [unrolled: 1-line block ×3, first 2 shown]
	s_delay_alu instid0(VALU_DEP_3) | instskip(NEXT) | instid1(VALU_DEP_1)
	v_add_nc_u64_e32 v[90:91], 0x100, v[90:91]
	v_dual_cndmask_b32 v91, v93, v91, s0 :: v_dual_cndmask_b32 v90, v92, v90, s0
	v_add_nc_u64_e32 v[92:93], s[26:27], v[88:89]
	global_load_b64 v[90:91], v[90:91], off
	global_store_b64 v[92:93], v[56:57], off offset:256
	s_wait_loadcnt 0x0
	global_store_b64 v[94:95], v[90:91], off offset:256
	s_wait_xcnt 0x0
	s_or_b32 exec_lo, exec_lo, s6
	s_and_saveexec_b32 s6, s75
	s_cbranch_execz .LBB259_67
.LBB259_122:                            ;   in Loop: Header=BB259_21 Depth=1
	v_add_nc_u64_e32 v[90:91], v[86:87], v[0:1]
	v_add_nc_u64_e32 v[92:93], 0x400, v[82:83]
	v_add_nc_u64_e32 v[94:95], s[34:35], v[88:89]
	s_delay_alu instid0(VALU_DEP_3) | instskip(NEXT) | instid1(VALU_DEP_1)
	v_add_nc_u64_e32 v[90:91], 0x200, v[90:91]
	v_dual_cndmask_b32 v91, v93, v91, s0 :: v_dual_cndmask_b32 v90, v92, v90, s0
	v_add_nc_u64_e32 v[92:93], s[26:27], v[88:89]
	global_load_b64 v[90:91], v[90:91], off
	global_store_b64 v[92:93], v[58:59], off offset:512
	s_wait_loadcnt 0x0
	global_store_b64 v[94:95], v[90:91], off offset:512
	s_wait_xcnt 0x0
	s_or_b32 exec_lo, exec_lo, s6
	s_and_saveexec_b32 s6, s76
	s_cbranch_execz .LBB259_68
.LBB259_123:                            ;   in Loop: Header=BB259_21 Depth=1
	v_add_nc_u64_e32 v[90:91], v[86:87], v[0:1]
	v_add_nc_u64_e32 v[92:93], 0x400, v[80:81]
	;; [unrolled: 1-line block ×3, first 2 shown]
	s_delay_alu instid0(VALU_DEP_3) | instskip(NEXT) | instid1(VALU_DEP_1)
	v_add_nc_u64_e32 v[90:91], 0x300, v[90:91]
	v_dual_cndmask_b32 v91, v93, v91, s0 :: v_dual_cndmask_b32 v90, v92, v90, s0
	v_add_nc_u64_e32 v[92:93], s[26:27], v[88:89]
	global_load_b64 v[90:91], v[90:91], off
	global_store_b64 v[92:93], v[60:61], off offset:768
	s_wait_loadcnt 0x0
	global_store_b64 v[94:95], v[90:91], off offset:768
	s_wait_xcnt 0x0
	s_or_b32 exec_lo, exec_lo, s6
	s_and_saveexec_b32 s6, s77
	s_cbranch_execz .LBB259_69
.LBB259_124:                            ;   in Loop: Header=BB259_21 Depth=1
	v_add_nc_u64_e32 v[90:91], v[86:87], v[0:1]
	v_add_nc_u64_e32 v[92:93], s[26:27], v[88:89]
	;; [unrolled: 1-line block ×3, first 2 shown]
	s_delay_alu instid0(VALU_DEP_3)
	v_dual_cndmask_b32 v91, v79, v91, s0 :: v_dual_cndmask_b32 v90, v78, v90, s0
	global_load_b64 v[90:91], v[90:91], off offset:1024
	global_store_b64 v[92:93], v[62:63], off offset:1024
	s_wait_loadcnt 0x0
	global_store_b64 v[94:95], v[90:91], off offset:1024
	s_wait_xcnt 0x0
	s_or_b32 exec_lo, exec_lo, s6
	s_and_saveexec_b32 s6, s78
	s_cbranch_execz .LBB259_70
.LBB259_125:                            ;   in Loop: Header=BB259_21 Depth=1
	v_add_nc_u64_e32 v[90:91], v[86:87], v[0:1]
	v_add_nc_u64_e32 v[92:93], 0x400, v[76:77]
	;; [unrolled: 1-line block ×3, first 2 shown]
	s_delay_alu instid0(VALU_DEP_3) | instskip(NEXT) | instid1(VALU_DEP_1)
	v_add_nc_u64_e32 v[90:91], 0x500, v[90:91]
	v_dual_cndmask_b32 v91, v93, v91, s0 :: v_dual_cndmask_b32 v90, v92, v90, s0
	v_add_nc_u64_e32 v[92:93], s[26:27], v[88:89]
	global_load_b64 v[90:91], v[90:91], off
	global_store_b64 v[92:93], v[64:65], off offset:1280
	s_wait_loadcnt 0x0
	global_store_b64 v[94:95], v[90:91], off offset:1280
	s_wait_xcnt 0x0
	s_or_b32 exec_lo, exec_lo, s6
	s_and_saveexec_b32 s6, s79
	s_cbranch_execz .LBB259_71
.LBB259_126:                            ;   in Loop: Header=BB259_21 Depth=1
	v_add_nc_u64_e32 v[90:91], v[86:87], v[0:1]
	v_add_nc_u64_e32 v[92:93], 0x400, v[74:75]
	;; [unrolled: 1-line block ×3, first 2 shown]
	s_delay_alu instid0(VALU_DEP_3) | instskip(NEXT) | instid1(VALU_DEP_1)
	v_add_nc_u64_e32 v[90:91], 0x600, v[90:91]
	v_dual_cndmask_b32 v91, v93, v91, s0 :: v_dual_cndmask_b32 v90, v92, v90, s0
	v_add_nc_u64_e32 v[92:93], s[26:27], v[88:89]
	global_load_b64 v[90:91], v[90:91], off
	global_store_b64 v[92:93], v[66:67], off offset:1536
	s_wait_loadcnt 0x0
	global_store_b64 v[94:95], v[90:91], off offset:1536
	s_wait_xcnt 0x0
	s_or_b32 exec_lo, exec_lo, s6
	s_and_saveexec_b32 s6, s80
	s_cbranch_execnz .LBB259_72
	s_branch .LBB259_73
.LBB259_127:                            ;   in Loop: Header=BB259_21 Depth=1
	v_add_nc_u64_e32 v[90:91], v[86:87], v[0:1]
	v_add_nc_u64_e32 v[92:93], 0x500, v[70:71]
	s_delay_alu instid0(VALU_DEP_3) | instskip(NEXT) | instid1(VALU_DEP_2)
	v_add_nc_u64_e32 v[94:95], s[34:35], v[88:89]
	v_dual_cndmask_b32 v91, v93, v91, s0 :: v_dual_cndmask_b32 v90, v92, v90, s0
	v_add_nc_u64_e32 v[92:93], s[26:27], v[88:89]
	global_load_b64 v[90:91], v[90:91], off
	global_store_b64 v[92:93], v[54:55], off
	s_wait_loadcnt 0x0
	global_store_b64 v[94:95], v[90:91], off
	s_wait_xcnt 0x0
	s_or_b32 exec_lo, exec_lo, s6
	s_and_saveexec_b32 s6, s82
	s_cbranch_execz .LBB259_75
.LBB259_128:                            ;   in Loop: Header=BB259_21 Depth=1
	v_add_nc_u64_e32 v[90:91], v[86:87], v[0:1]
	v_add_nc_u64_e32 v[92:93], 0x500, v[84:85]
	;; [unrolled: 1-line block ×3, first 2 shown]
	s_delay_alu instid0(VALU_DEP_3) | instskip(NEXT) | instid1(VALU_DEP_1)
	v_add_nc_u64_e32 v[90:91], 0x100, v[90:91]
	v_dual_cndmask_b32 v91, v93, v91, s0 :: v_dual_cndmask_b32 v90, v92, v90, s0
	v_add_nc_u64_e32 v[92:93], s[26:27], v[88:89]
	global_load_b64 v[90:91], v[90:91], off
	global_store_b64 v[92:93], v[56:57], off offset:256
	s_wait_loadcnt 0x0
	global_store_b64 v[94:95], v[90:91], off offset:256
	s_wait_xcnt 0x0
	s_or_b32 exec_lo, exec_lo, s6
	s_and_saveexec_b32 s6, s83
	s_cbranch_execz .LBB259_76
.LBB259_129:                            ;   in Loop: Header=BB259_21 Depth=1
	v_add_nc_u64_e32 v[90:91], v[86:87], v[0:1]
	v_add_nc_u64_e32 v[92:93], 0x500, v[82:83]
	;; [unrolled: 1-line block ×3, first 2 shown]
	s_delay_alu instid0(VALU_DEP_3) | instskip(NEXT) | instid1(VALU_DEP_1)
	v_add_nc_u64_e32 v[90:91], 0x200, v[90:91]
	v_dual_cndmask_b32 v91, v93, v91, s0 :: v_dual_cndmask_b32 v90, v92, v90, s0
	v_add_nc_u64_e32 v[92:93], s[26:27], v[88:89]
	global_load_b64 v[90:91], v[90:91], off
	global_store_b64 v[92:93], v[58:59], off offset:512
	s_wait_loadcnt 0x0
	global_store_b64 v[94:95], v[90:91], off offset:512
	s_wait_xcnt 0x0
	s_or_b32 exec_lo, exec_lo, s6
	s_and_saveexec_b32 s6, s84
	s_cbranch_execz .LBB259_77
.LBB259_130:                            ;   in Loop: Header=BB259_21 Depth=1
	v_add_nc_u64_e32 v[90:91], v[86:87], v[0:1]
	v_add_nc_u64_e32 v[92:93], 0x500, v[80:81]
	;; [unrolled: 1-line block ×3, first 2 shown]
	s_delay_alu instid0(VALU_DEP_3) | instskip(NEXT) | instid1(VALU_DEP_1)
	v_add_nc_u64_e32 v[90:91], 0x300, v[90:91]
	v_dual_cndmask_b32 v91, v93, v91, s0 :: v_dual_cndmask_b32 v90, v92, v90, s0
	v_add_nc_u64_e32 v[92:93], s[26:27], v[88:89]
	global_load_b64 v[90:91], v[90:91], off
	global_store_b64 v[92:93], v[60:61], off offset:768
	s_wait_loadcnt 0x0
	global_store_b64 v[94:95], v[90:91], off offset:768
	s_wait_xcnt 0x0
	s_or_b32 exec_lo, exec_lo, s6
	s_and_saveexec_b32 s6, s85
	s_cbranch_execz .LBB259_78
.LBB259_131:                            ;   in Loop: Header=BB259_21 Depth=1
	v_add_nc_u64_e32 v[90:91], v[86:87], v[0:1]
	v_add_nc_u64_e32 v[92:93], 0x500, v[78:79]
	;; [unrolled: 1-line block ×3, first 2 shown]
	s_delay_alu instid0(VALU_DEP_3) | instskip(NEXT) | instid1(VALU_DEP_1)
	v_add_nc_u64_e32 v[90:91], 0x400, v[90:91]
	v_dual_cndmask_b32 v91, v93, v91, s0 :: v_dual_cndmask_b32 v90, v92, v90, s0
	v_add_nc_u64_e32 v[92:93], s[26:27], v[88:89]
	global_load_b64 v[90:91], v[90:91], off
	global_store_b64 v[92:93], v[62:63], off offset:1024
	s_wait_loadcnt 0x0
	global_store_b64 v[94:95], v[90:91], off offset:1024
	s_wait_xcnt 0x0
	s_or_b32 exec_lo, exec_lo, s6
	s_and_saveexec_b32 s6, s86
	s_cbranch_execz .LBB259_79
.LBB259_132:                            ;   in Loop: Header=BB259_21 Depth=1
	v_add_nc_u64_e32 v[90:91], v[86:87], v[0:1]
	v_add_nc_u64_e32 v[92:93], s[26:27], v[88:89]
	;; [unrolled: 1-line block ×3, first 2 shown]
	s_delay_alu instid0(VALU_DEP_3)
	v_dual_cndmask_b32 v91, v77, v91, s0 :: v_dual_cndmask_b32 v90, v76, v90, s0
	global_load_b64 v[90:91], v[90:91], off offset:1280
	global_store_b64 v[92:93], v[64:65], off offset:1280
	s_wait_loadcnt 0x0
	global_store_b64 v[94:95], v[90:91], off offset:1280
	s_wait_xcnt 0x0
	s_or_b32 exec_lo, exec_lo, s6
	s_and_saveexec_b32 s6, s87
	s_cbranch_execz .LBB259_80
.LBB259_133:                            ;   in Loop: Header=BB259_21 Depth=1
	v_add_nc_u64_e32 v[90:91], v[86:87], v[0:1]
	v_add_nc_u64_e32 v[92:93], 0x500, v[74:75]
	;; [unrolled: 1-line block ×3, first 2 shown]
	s_delay_alu instid0(VALU_DEP_3) | instskip(NEXT) | instid1(VALU_DEP_1)
	v_add_nc_u64_e32 v[90:91], 0x600, v[90:91]
	v_dual_cndmask_b32 v91, v93, v91, s0 :: v_dual_cndmask_b32 v90, v92, v90, s0
	v_add_nc_u64_e32 v[92:93], s[26:27], v[88:89]
	global_load_b64 v[90:91], v[90:91], off
	global_store_b64 v[92:93], v[66:67], off offset:1536
	s_wait_loadcnt 0x0
	global_store_b64 v[94:95], v[90:91], off offset:1536
	s_wait_xcnt 0x0
	s_or_b32 exec_lo, exec_lo, s6
	s_and_saveexec_b32 s6, s88
	s_cbranch_execnz .LBB259_81
	s_branch .LBB259_82
.LBB259_134:                            ;   in Loop: Header=BB259_21 Depth=1
	v_add_nc_u64_e32 v[90:91], v[86:87], v[0:1]
	v_add_nc_u64_e32 v[92:93], 0x600, v[70:71]
	s_delay_alu instid0(VALU_DEP_3) | instskip(NEXT) | instid1(VALU_DEP_2)
	v_add_nc_u64_e32 v[94:95], s[34:35], v[88:89]
	v_dual_cndmask_b32 v91, v93, v91, s0 :: v_dual_cndmask_b32 v90, v92, v90, s0
	v_add_nc_u64_e32 v[92:93], s[26:27], v[88:89]
	global_load_b64 v[90:91], v[90:91], off
	global_store_b64 v[92:93], v[54:55], off
	s_wait_loadcnt 0x0
	global_store_b64 v[94:95], v[90:91], off
	s_wait_xcnt 0x0
	s_or_b32 exec_lo, exec_lo, s6
	s_and_saveexec_b32 s6, s90
	s_cbranch_execz .LBB259_84
.LBB259_135:                            ;   in Loop: Header=BB259_21 Depth=1
	v_add_nc_u64_e32 v[90:91], v[86:87], v[0:1]
	v_add_nc_u64_e32 v[92:93], 0x600, v[84:85]
	;; [unrolled: 1-line block ×3, first 2 shown]
	s_delay_alu instid0(VALU_DEP_3) | instskip(NEXT) | instid1(VALU_DEP_1)
	v_add_nc_u64_e32 v[90:91], 0x100, v[90:91]
	v_dual_cndmask_b32 v91, v93, v91, s0 :: v_dual_cndmask_b32 v90, v92, v90, s0
	v_add_nc_u64_e32 v[92:93], s[26:27], v[88:89]
	global_load_b64 v[90:91], v[90:91], off
	global_store_b64 v[92:93], v[56:57], off offset:256
	s_wait_loadcnt 0x0
	global_store_b64 v[94:95], v[90:91], off offset:256
	s_wait_xcnt 0x0
	s_or_b32 exec_lo, exec_lo, s6
	s_and_saveexec_b32 s6, s91
	s_cbranch_execz .LBB259_85
.LBB259_136:                            ;   in Loop: Header=BB259_21 Depth=1
	v_add_nc_u64_e32 v[90:91], v[86:87], v[0:1]
	v_add_nc_u64_e32 v[92:93], 0x600, v[82:83]
	;; [unrolled: 1-line block ×3, first 2 shown]
	s_delay_alu instid0(VALU_DEP_3) | instskip(NEXT) | instid1(VALU_DEP_1)
	v_add_nc_u64_e32 v[90:91], 0x200, v[90:91]
	v_dual_cndmask_b32 v91, v93, v91, s0 :: v_dual_cndmask_b32 v90, v92, v90, s0
	v_add_nc_u64_e32 v[92:93], s[26:27], v[88:89]
	global_load_b64 v[90:91], v[90:91], off
	global_store_b64 v[92:93], v[58:59], off offset:512
	s_wait_loadcnt 0x0
	global_store_b64 v[94:95], v[90:91], off offset:512
	s_wait_xcnt 0x0
	s_or_b32 exec_lo, exec_lo, s6
	s_and_saveexec_b32 s6, s92
	s_cbranch_execz .LBB259_86
.LBB259_137:                            ;   in Loop: Header=BB259_21 Depth=1
	v_add_nc_u64_e32 v[90:91], v[86:87], v[0:1]
	v_add_nc_u64_e32 v[92:93], 0x600, v[80:81]
	;; [unrolled: 1-line block ×3, first 2 shown]
	s_delay_alu instid0(VALU_DEP_3) | instskip(NEXT) | instid1(VALU_DEP_1)
	v_add_nc_u64_e32 v[90:91], 0x300, v[90:91]
	v_dual_cndmask_b32 v91, v93, v91, s0 :: v_dual_cndmask_b32 v90, v92, v90, s0
	v_add_nc_u64_e32 v[92:93], s[26:27], v[88:89]
	global_load_b64 v[90:91], v[90:91], off
	global_store_b64 v[92:93], v[60:61], off offset:768
	s_wait_loadcnt 0x0
	global_store_b64 v[94:95], v[90:91], off offset:768
	s_wait_xcnt 0x0
	s_or_b32 exec_lo, exec_lo, s6
	s_and_saveexec_b32 s6, s93
	s_cbranch_execz .LBB259_87
.LBB259_138:                            ;   in Loop: Header=BB259_21 Depth=1
	v_add_nc_u64_e32 v[90:91], v[86:87], v[0:1]
	v_add_nc_u64_e32 v[92:93], 0x600, v[78:79]
	;; [unrolled: 1-line block ×3, first 2 shown]
	s_delay_alu instid0(VALU_DEP_3) | instskip(NEXT) | instid1(VALU_DEP_1)
	v_add_nc_u64_e32 v[90:91], 0x400, v[90:91]
	v_dual_cndmask_b32 v91, v93, v91, s0 :: v_dual_cndmask_b32 v90, v92, v90, s0
	v_add_nc_u64_e32 v[92:93], s[26:27], v[88:89]
	global_load_b64 v[90:91], v[90:91], off
	global_store_b64 v[92:93], v[62:63], off offset:1024
	s_wait_loadcnt 0x0
	global_store_b64 v[94:95], v[90:91], off offset:1024
	s_wait_xcnt 0x0
	s_or_b32 exec_lo, exec_lo, s6
	s_and_saveexec_b32 s6, s94
	s_cbranch_execz .LBB259_88
.LBB259_139:                            ;   in Loop: Header=BB259_21 Depth=1
	v_add_nc_u64_e32 v[90:91], v[86:87], v[0:1]
	v_add_nc_u64_e32 v[92:93], 0x600, v[76:77]
	;; [unrolled: 1-line block ×3, first 2 shown]
	s_delay_alu instid0(VALU_DEP_3) | instskip(NEXT) | instid1(VALU_DEP_1)
	v_add_nc_u64_e32 v[90:91], 0x500, v[90:91]
	v_dual_cndmask_b32 v91, v93, v91, s0 :: v_dual_cndmask_b32 v90, v92, v90, s0
	v_add_nc_u64_e32 v[92:93], s[26:27], v[88:89]
	global_load_b64 v[90:91], v[90:91], off
	global_store_b64 v[92:93], v[64:65], off offset:1280
	s_wait_loadcnt 0x0
	global_store_b64 v[94:95], v[90:91], off offset:1280
	s_wait_xcnt 0x0
	s_or_b32 exec_lo, exec_lo, s6
	s_and_saveexec_b32 s6, s95
	s_cbranch_execz .LBB259_89
.LBB259_140:                            ;   in Loop: Header=BB259_21 Depth=1
	v_add_nc_u64_e32 v[90:91], v[86:87], v[0:1]
	v_add_nc_u64_e32 v[92:93], s[26:27], v[88:89]
	;; [unrolled: 1-line block ×3, first 2 shown]
	s_delay_alu instid0(VALU_DEP_3)
	v_dual_cndmask_b32 v91, v75, v91, s0 :: v_dual_cndmask_b32 v90, v74, v90, s0
	global_load_b64 v[90:91], v[90:91], off offset:1536
	global_store_b64 v[92:93], v[66:67], off offset:1536
	s_wait_loadcnt 0x0
	global_store_b64 v[94:95], v[90:91], off offset:1536
	s_wait_xcnt 0x0
	s_or_b32 exec_lo, exec_lo, s6
	s_and_saveexec_b32 s6, s8
	s_cbranch_execnz .LBB259_90
	s_branch .LBB259_91
.LBB259_141:                            ;   in Loop: Header=BB259_21 Depth=1
	v_add_nc_u64_e32 v[90:91], v[86:87], v[0:1]
	v_add_nc_u64_e32 v[70:71], 0x700, v[70:71]
	s_delay_alu instid0(VALU_DEP_3) | instskip(NEXT) | instid1(VALU_DEP_2)
	v_add_nc_u64_e32 v[92:93], s[34:35], v[88:89]
	v_dual_cndmask_b32 v71, v71, v91, s0 :: v_dual_cndmask_b32 v70, v70, v90, s0
	v_add_nc_u64_e32 v[90:91], s[26:27], v[88:89]
	global_load_b64 v[70:71], v[70:71], off
	global_store_b64 v[90:91], v[54:55], off
	s_wait_loadcnt 0x0
	global_store_b64 v[92:93], v[70:71], off
	s_wait_xcnt 0x0
	s_or_b32 exec_lo, exec_lo, s4
	s_and_saveexec_b32 s4, s1
	s_cbranch_execz .LBB259_93
.LBB259_142:                            ;   in Loop: Header=BB259_21 Depth=1
	v_add_nc_u64_e32 v[54:55], v[86:87], v[0:1]
	v_add_nc_u64_e32 v[70:71], 0x700, v[84:85]
	;; [unrolled: 1-line block ×3, first 2 shown]
	s_delay_alu instid0(VALU_DEP_3) | instskip(NEXT) | instid1(VALU_DEP_1)
	v_add_nc_u64_e32 v[54:55], 0x100, v[54:55]
	v_dual_cndmask_b32 v55, v71, v55, s0 :: v_dual_cndmask_b32 v54, v70, v54, s0
	v_add_nc_u64_e32 v[70:71], s[26:27], v[88:89]
	global_load_b64 v[54:55], v[54:55], off
	global_store_b64 v[70:71], v[56:57], off offset:256
	s_wait_loadcnt 0x0
	global_store_b64 v[84:85], v[54:55], off offset:256
	s_wait_xcnt 0x0
	s_or_b32 exec_lo, exec_lo, s4
	s_and_saveexec_b32 s4, s10
	s_cbranch_execz .LBB259_94
.LBB259_143:                            ;   in Loop: Header=BB259_21 Depth=1
	v_add_nc_u64_e32 v[54:55], v[86:87], v[0:1]
	v_add_nc_u64_e32 v[56:57], 0x700, v[82:83]
	;; [unrolled: 1-line block ×3, first 2 shown]
	s_delay_alu instid0(VALU_DEP_3) | instskip(NEXT) | instid1(VALU_DEP_1)
	v_add_nc_u64_e32 v[54:55], 0x200, v[54:55]
	v_dual_cndmask_b32 v55, v57, v55, s0 :: v_dual_cndmask_b32 v54, v56, v54, s0
	v_add_nc_u64_e32 v[56:57], s[26:27], v[88:89]
	global_load_b64 v[54:55], v[54:55], off
	global_store_b64 v[56:57], v[58:59], off offset:512
	s_wait_loadcnt 0x0
	global_store_b64 v[70:71], v[54:55], off offset:512
	s_wait_xcnt 0x0
	s_or_b32 exec_lo, exec_lo, s4
	s_and_saveexec_b32 s4, s11
	s_cbranch_execz .LBB259_95
.LBB259_144:                            ;   in Loop: Header=BB259_21 Depth=1
	v_add_nc_u64_e32 v[54:55], v[86:87], v[0:1]
	v_add_nc_u64_e32 v[56:57], 0x700, v[80:81]
	;; [unrolled: 1-line block ×3, first 2 shown]
	s_delay_alu instid0(VALU_DEP_3) | instskip(NEXT) | instid1(VALU_DEP_1)
	v_add_nc_u64_e32 v[54:55], 0x300, v[54:55]
	v_dual_cndmask_b32 v55, v57, v55, s0 :: v_dual_cndmask_b32 v54, v56, v54, s0
	v_add_nc_u64_e32 v[56:57], s[26:27], v[88:89]
	global_load_b64 v[54:55], v[54:55], off
	global_store_b64 v[56:57], v[60:61], off offset:768
	s_wait_loadcnt 0x0
	global_store_b64 v[58:59], v[54:55], off offset:768
	s_wait_xcnt 0x0
	s_or_b32 exec_lo, exec_lo, s4
	s_and_saveexec_b32 s4, s12
	s_cbranch_execz .LBB259_96
.LBB259_145:                            ;   in Loop: Header=BB259_21 Depth=1
	v_add_nc_u64_e32 v[54:55], v[86:87], v[0:1]
	v_add_nc_u64_e32 v[56:57], 0x700, v[78:79]
	;; [unrolled: 1-line block ×3, first 2 shown]
	s_delay_alu instid0(VALU_DEP_3) | instskip(NEXT) | instid1(VALU_DEP_1)
	v_add_nc_u64_e32 v[54:55], 0x400, v[54:55]
	v_dual_cndmask_b32 v55, v57, v55, s0 :: v_dual_cndmask_b32 v54, v56, v54, s0
	v_add_nc_u64_e32 v[56:57], s[26:27], v[88:89]
	global_load_b64 v[54:55], v[54:55], off
	global_store_b64 v[56:57], v[62:63], off offset:1024
	s_wait_loadcnt 0x0
	global_store_b64 v[58:59], v[54:55], off offset:1024
	s_wait_xcnt 0x0
	s_or_b32 exec_lo, exec_lo, s4
	s_and_saveexec_b32 s4, s13
	s_cbranch_execz .LBB259_97
.LBB259_146:                            ;   in Loop: Header=BB259_21 Depth=1
	v_add_nc_u64_e32 v[54:55], v[86:87], v[0:1]
	v_add_nc_u64_e32 v[56:57], 0x700, v[76:77]
	;; [unrolled: 1-line block ×3, first 2 shown]
	s_delay_alu instid0(VALU_DEP_3) | instskip(NEXT) | instid1(VALU_DEP_1)
	v_add_nc_u64_e32 v[54:55], 0x500, v[54:55]
	v_dual_cndmask_b32 v55, v57, v55, s0 :: v_dual_cndmask_b32 v54, v56, v54, s0
	v_add_nc_u64_e32 v[56:57], s[26:27], v[88:89]
	global_load_b64 v[54:55], v[54:55], off
	global_store_b64 v[56:57], v[64:65], off offset:1280
	s_wait_loadcnt 0x0
	global_store_b64 v[58:59], v[54:55], off offset:1280
	s_wait_xcnt 0x0
	s_or_b32 exec_lo, exec_lo, s4
	s_and_saveexec_b32 s4, s14
	s_cbranch_execz .LBB259_98
.LBB259_147:                            ;   in Loop: Header=BB259_21 Depth=1
	v_add_nc_u64_e32 v[54:55], v[86:87], v[0:1]
	v_add_nc_u64_e32 v[56:57], 0x700, v[74:75]
	;; [unrolled: 1-line block ×3, first 2 shown]
	s_delay_alu instid0(VALU_DEP_3) | instskip(NEXT) | instid1(VALU_DEP_1)
	v_add_nc_u64_e32 v[54:55], 0x600, v[54:55]
	v_dual_cndmask_b32 v55, v57, v55, s0 :: v_dual_cndmask_b32 v54, v56, v54, s0
	v_add_nc_u64_e32 v[56:57], s[26:27], v[88:89]
	global_load_b64 v[54:55], v[54:55], off
	global_store_b64 v[56:57], v[66:67], off offset:1536
	s_wait_loadcnt 0x0
	global_store_b64 v[58:59], v[54:55], off offset:1536
	s_wait_xcnt 0x0
	s_or_b32 exec_lo, exec_lo, s4
	s_and_saveexec_b32 s4, s9
	s_cbranch_execz .LBB259_20
.LBB259_148:                            ;   in Loop: Header=BB259_21 Depth=1
	v_add_nc_u64_e32 v[54:55], v[86:87], v[0:1]
	v_add_nc_u64_e32 v[56:57], s[26:27], v[88:89]
	;; [unrolled: 1-line block ×3, first 2 shown]
	s_delay_alu instid0(VALU_DEP_3)
	v_dual_cndmask_b32 v55, v73, v55, s0 :: v_dual_cndmask_b32 v54, v72, v54, s0
	global_load_b64 v[54:55], v[54:55], off offset:1792
	global_store_b64 v[56:57], v[68:69], off offset:1792
	s_wait_loadcnt 0x0
	global_store_b64 v[58:59], v[54:55], off offset:1792
	s_branch .LBB259_20
.LBB259_149:
	s_sendmsg sendmsg(MSG_DEALLOC_VGPRS)
	s_endpgm
	.section	.rodata,"a",@progbits
	.p2align	6, 0x0
	.amdhsa_kernel _ZN9rocsparseL35bsr2csr_block_per_row_33_256_kernelILj1024ELj256ELj32EdllEEv20rocsparse_direction_T4_S2_21rocsparse_index_base_PKT2_PKT3_PKS2_S2_S3_PS4_PS7_PS2_
		.amdhsa_group_segment_fixed_size 0
		.amdhsa_private_segment_fixed_size 0
		.amdhsa_kernarg_size 96
		.amdhsa_user_sgpr_count 2
		.amdhsa_user_sgpr_dispatch_ptr 0
		.amdhsa_user_sgpr_queue_ptr 0
		.amdhsa_user_sgpr_kernarg_segment_ptr 1
		.amdhsa_user_sgpr_dispatch_id 0
		.amdhsa_user_sgpr_kernarg_preload_length 0
		.amdhsa_user_sgpr_kernarg_preload_offset 0
		.amdhsa_user_sgpr_private_segment_size 0
		.amdhsa_wavefront_size32 1
		.amdhsa_uses_dynamic_stack 0
		.amdhsa_enable_private_segment 0
		.amdhsa_system_sgpr_workgroup_id_x 1
		.amdhsa_system_sgpr_workgroup_id_y 0
		.amdhsa_system_sgpr_workgroup_id_z 0
		.amdhsa_system_sgpr_workgroup_info 0
		.amdhsa_system_vgpr_workitem_id 0
		.amdhsa_next_free_vgpr 96
		.amdhsa_next_free_sgpr 100
		.amdhsa_named_barrier_count 0
		.amdhsa_reserve_vcc 1
		.amdhsa_float_round_mode_32 0
		.amdhsa_float_round_mode_16_64 0
		.amdhsa_float_denorm_mode_32 3
		.amdhsa_float_denorm_mode_16_64 3
		.amdhsa_fp16_overflow 0
		.amdhsa_memory_ordered 1
		.amdhsa_forward_progress 1
		.amdhsa_inst_pref_size 69
		.amdhsa_round_robin_scheduling 0
		.amdhsa_exception_fp_ieee_invalid_op 0
		.amdhsa_exception_fp_denorm_src 0
		.amdhsa_exception_fp_ieee_div_zero 0
		.amdhsa_exception_fp_ieee_overflow 0
		.amdhsa_exception_fp_ieee_underflow 0
		.amdhsa_exception_fp_ieee_inexact 0
		.amdhsa_exception_int_div_zero 0
	.end_amdhsa_kernel
	.section	.text._ZN9rocsparseL35bsr2csr_block_per_row_33_256_kernelILj1024ELj256ELj32EdllEEv20rocsparse_direction_T4_S2_21rocsparse_index_base_PKT2_PKT3_PKS2_S2_S3_PS4_PS7_PS2_,"axG",@progbits,_ZN9rocsparseL35bsr2csr_block_per_row_33_256_kernelILj1024ELj256ELj32EdllEEv20rocsparse_direction_T4_S2_21rocsparse_index_base_PKT2_PKT3_PKS2_S2_S3_PS4_PS7_PS2_,comdat
.Lfunc_end259:
	.size	_ZN9rocsparseL35bsr2csr_block_per_row_33_256_kernelILj1024ELj256ELj32EdllEEv20rocsparse_direction_T4_S2_21rocsparse_index_base_PKT2_PKT3_PKS2_S2_S3_PS4_PS7_PS2_, .Lfunc_end259-_ZN9rocsparseL35bsr2csr_block_per_row_33_256_kernelILj1024ELj256ELj32EdllEEv20rocsparse_direction_T4_S2_21rocsparse_index_base_PKT2_PKT3_PKS2_S2_S3_PS4_PS7_PS2_
                                        ; -- End function
	.set _ZN9rocsparseL35bsr2csr_block_per_row_33_256_kernelILj1024ELj256ELj32EdllEEv20rocsparse_direction_T4_S2_21rocsparse_index_base_PKT2_PKT3_PKS2_S2_S3_PS4_PS7_PS2_.num_vgpr, 96
	.set _ZN9rocsparseL35bsr2csr_block_per_row_33_256_kernelILj1024ELj256ELj32EdllEEv20rocsparse_direction_T4_S2_21rocsparse_index_base_PKT2_PKT3_PKS2_S2_S3_PS4_PS7_PS2_.num_agpr, 0
	.set _ZN9rocsparseL35bsr2csr_block_per_row_33_256_kernelILj1024ELj256ELj32EdllEEv20rocsparse_direction_T4_S2_21rocsparse_index_base_PKT2_PKT3_PKS2_S2_S3_PS4_PS7_PS2_.numbered_sgpr, 100
	.set _ZN9rocsparseL35bsr2csr_block_per_row_33_256_kernelILj1024ELj256ELj32EdllEEv20rocsparse_direction_T4_S2_21rocsparse_index_base_PKT2_PKT3_PKS2_S2_S3_PS4_PS7_PS2_.num_named_barrier, 0
	.set _ZN9rocsparseL35bsr2csr_block_per_row_33_256_kernelILj1024ELj256ELj32EdllEEv20rocsparse_direction_T4_S2_21rocsparse_index_base_PKT2_PKT3_PKS2_S2_S3_PS4_PS7_PS2_.private_seg_size, 0
	.set _ZN9rocsparseL35bsr2csr_block_per_row_33_256_kernelILj1024ELj256ELj32EdllEEv20rocsparse_direction_T4_S2_21rocsparse_index_base_PKT2_PKT3_PKS2_S2_S3_PS4_PS7_PS2_.uses_vcc, 1
	.set _ZN9rocsparseL35bsr2csr_block_per_row_33_256_kernelILj1024ELj256ELj32EdllEEv20rocsparse_direction_T4_S2_21rocsparse_index_base_PKT2_PKT3_PKS2_S2_S3_PS4_PS7_PS2_.uses_flat_scratch, 0
	.set _ZN9rocsparseL35bsr2csr_block_per_row_33_256_kernelILj1024ELj256ELj32EdllEEv20rocsparse_direction_T4_S2_21rocsparse_index_base_PKT2_PKT3_PKS2_S2_S3_PS4_PS7_PS2_.has_dyn_sized_stack, 0
	.set _ZN9rocsparseL35bsr2csr_block_per_row_33_256_kernelILj1024ELj256ELj32EdllEEv20rocsparse_direction_T4_S2_21rocsparse_index_base_PKT2_PKT3_PKS2_S2_S3_PS4_PS7_PS2_.has_recursion, 0
	.set _ZN9rocsparseL35bsr2csr_block_per_row_33_256_kernelILj1024ELj256ELj32EdllEEv20rocsparse_direction_T4_S2_21rocsparse_index_base_PKT2_PKT3_PKS2_S2_S3_PS4_PS7_PS2_.has_indirect_call, 0
	.section	.AMDGPU.csdata,"",@progbits
; Kernel info:
; codeLenInByte = 8808
; TotalNumSgprs: 102
; NumVgprs: 96
; ScratchSize: 0
; MemoryBound: 0
; FloatMode: 240
; IeeeMode: 1
; LDSByteSize: 0 bytes/workgroup (compile time only)
; SGPRBlocks: 0
; VGPRBlocks: 5
; NumSGPRsForWavesPerEU: 102
; NumVGPRsForWavesPerEU: 96
; NamedBarCnt: 0
; Occupancy: 10
; WaveLimiterHint : 1
; COMPUTE_PGM_RSRC2:SCRATCH_EN: 0
; COMPUTE_PGM_RSRC2:USER_SGPR: 2
; COMPUTE_PGM_RSRC2:TRAP_HANDLER: 0
; COMPUTE_PGM_RSRC2:TGID_X_EN: 1
; COMPUTE_PGM_RSRC2:TGID_Y_EN: 0
; COMPUTE_PGM_RSRC2:TGID_Z_EN: 0
; COMPUTE_PGM_RSRC2:TIDIG_COMP_CNT: 0
	.section	.text._ZN9rocsparseL35bsr2csr_block_dim_equals_one_kernelILj1024E21rocsparse_complex_numIdEiiEEvT2_S3_21rocsparse_index_base_PKT0_PKT1_PKS3_S4_PS5_PS8_PS3_,"axG",@progbits,_ZN9rocsparseL35bsr2csr_block_dim_equals_one_kernelILj1024E21rocsparse_complex_numIdEiiEEvT2_S3_21rocsparse_index_base_PKT0_PKT1_PKS3_S4_PS5_PS8_PS3_,comdat
	.globl	_ZN9rocsparseL35bsr2csr_block_dim_equals_one_kernelILj1024E21rocsparse_complex_numIdEiiEEvT2_S3_21rocsparse_index_base_PKT0_PKT1_PKS3_S4_PS5_PS8_PS3_ ; -- Begin function _ZN9rocsparseL35bsr2csr_block_dim_equals_one_kernelILj1024E21rocsparse_complex_numIdEiiEEvT2_S3_21rocsparse_index_base_PKT0_PKT1_PKS3_S4_PS5_PS8_PS3_
	.p2align	8
	.type	_ZN9rocsparseL35bsr2csr_block_dim_equals_one_kernelILj1024E21rocsparse_complex_numIdEiiEEvT2_S3_21rocsparse_index_base_PKT0_PKT1_PKS3_S4_PS5_PS8_PS3_,@function
_ZN9rocsparseL35bsr2csr_block_dim_equals_one_kernelILj1024E21rocsparse_complex_numIdEiiEEvT2_S3_21rocsparse_index_base_PKT0_PKT1_PKS3_S4_PS5_PS8_PS3_: ; @_ZN9rocsparseL35bsr2csr_block_dim_equals_one_kernelILj1024E21rocsparse_complex_numIdEiiEEvT2_S3_21rocsparse_index_base_PKT0_PKT1_PKS3_S4_PS5_PS8_PS3_
; %bb.0:
	s_clause 0x5
	s_load_b64 s[2:3], s[0:1], 0x40
	s_load_b32 s14, s[0:1], 0x0
	s_load_b32 s11, s[0:1], 0x8
	s_load_b128 s[4:7], s[0:1], 0x10
	s_load_b96 s[8:10], s[0:1], 0x20
	s_load_b64 s[12:13], s[0:1], 0x30
	s_bfe_u32 s15, ttmp6, 0x4000c
	s_and_b32 s16, ttmp6, 15
	s_add_co_i32 s15, s15, 1
	s_getreg_b32 s17, hwreg(HW_REG_IB_STS2, 6, 4)
	s_mul_i32 s15, ttmp9, s15
	s_delay_alu instid0(SALU_CYCLE_1) | instskip(SKIP_2) | instid1(SALU_CYCLE_1)
	s_add_co_i32 s16, s16, s15
	s_cmp_eq_u32 s17, 0
	s_cselect_b32 s15, ttmp9, s16
	v_lshl_or_b32 v0, s15, 10, v0
	s_mov_b32 s15, exec_lo
	s_wait_kmcnt 0x0
	s_delay_alu instid0(VALU_DEP_1)
	v_cmpx_gt_i32_e64 s14, v0
	s_cbranch_execz .LBB260_6
; %bb.1:
	s_load_b64 s[16:17], s[0:1], 0x38
	s_mov_b32 s18, exec_lo
                                        ; implicit-def: $sgpr19
	v_cmpx_ne_u32_e32 0, v0
	s_xor_b32 s18, exec_lo, s18
; %bb.2:
	s_sub_co_i32 s19, s10, s11
; %bb.3:
	s_or_saveexec_b32 s18, s18
	v_mov_b32_e32 v1, s19
	s_xor_b32 exec_lo, exec_lo, s18
	s_cbranch_execz .LBB260_5
; %bb.4:
	s_load_b32 s19, s[6:7], 0x0
	s_sub_co_i32 s20, s10, s11
	s_delay_alu instid0(SALU_CYCLE_1) | instskip(SKIP_2) | instid1(SALU_CYCLE_1)
	v_mov_b32_e32 v1, s20
	s_wait_kmcnt 0x0
	s_add_co_i32 s19, s20, s19
	v_dual_mov_b32 v2, 0 :: v_dual_mov_b32 v3, s19
	global_store_b32 v2, v3, s[16:17]
.LBB260_5:
	s_wait_xcnt 0x0
	s_or_b32 exec_lo, exec_lo, s18
	global_load_b32 v2, v0, s[6:7] offset:4 scale_offset
	s_wait_loadcnt 0x0
	v_add_nc_u32_e32 v1, v1, v2
	s_wait_kmcnt 0x0
	global_store_b32 v0, v1, s[16:17] offset:4 scale_offset
.LBB260_6:
	s_wait_xcnt 0x0
	s_or_b32 exec_lo, exec_lo, s15
	s_ashr_i32 s15, s14, 31
	s_delay_alu instid0(SALU_CYCLE_1) | instskip(NEXT) | instid1(SALU_CYCLE_1)
	s_lshl_b64 s[14:15], s[14:15], 2
	s_add_nc_u64 s[14:15], s[6:7], s[14:15]
	s_clause 0x1
	s_load_b32 s16, s[14:15], 0x0
	s_load_b32 s17, s[6:7], 0x0
	s_wait_xcnt 0x0
	s_mov_b32 s7, exec_lo
	s_wait_kmcnt 0x0
	s_sub_co_i32 s6, s16, s17
	s_delay_alu instid0(SALU_CYCLE_1)
	v_cmpx_gt_i32_e64 s6, v0
	s_cbranch_execz .LBB260_9
; %bb.7:
	s_load_b32 s1, s[0:1], 0x48
	s_wait_xcnt 0x0
	s_sub_co_i32 s0, s10, s11
	s_mov_b32 s7, 0
	s_wait_kmcnt 0x0
	s_lshl_b32 s1, s1, 10
.LBB260_8:                              ; =>This Inner Loop Header: Depth=1
	s_clause 0x1
	global_load_b32 v1, v0, s[8:9] scale_offset
	global_load_b128 v[2:5], v0, s[4:5] scale_offset
	s_wait_loadcnt 0x1
	v_add_nc_u32_e32 v1, s0, v1
	global_store_b32 v0, v1, s[2:3] scale_offset
	s_wait_loadcnt 0x0
	global_store_b128 v0, v[2:5], s[12:13] scale_offset
	s_wait_xcnt 0x0
	v_add_nc_u32_e32 v0, s1, v0
	s_delay_alu instid0(VALU_DEP_1) | instskip(SKIP_1) | instid1(SALU_CYCLE_1)
	v_cmp_le_i32_e32 vcc_lo, s6, v0
	s_or_b32 s7, vcc_lo, s7
	s_and_not1_b32 exec_lo, exec_lo, s7
	s_cbranch_execnz .LBB260_8
.LBB260_9:
	s_endpgm
	.section	.rodata,"a",@progbits
	.p2align	6, 0x0
	.amdhsa_kernel _ZN9rocsparseL35bsr2csr_block_dim_equals_one_kernelILj1024E21rocsparse_complex_numIdEiiEEvT2_S3_21rocsparse_index_base_PKT0_PKT1_PKS3_S4_PS5_PS8_PS3_
		.amdhsa_group_segment_fixed_size 0
		.amdhsa_private_segment_fixed_size 0
		.amdhsa_kernarg_size 328
		.amdhsa_user_sgpr_count 2
		.amdhsa_user_sgpr_dispatch_ptr 0
		.amdhsa_user_sgpr_queue_ptr 0
		.amdhsa_user_sgpr_kernarg_segment_ptr 1
		.amdhsa_user_sgpr_dispatch_id 0
		.amdhsa_user_sgpr_kernarg_preload_length 0
		.amdhsa_user_sgpr_kernarg_preload_offset 0
		.amdhsa_user_sgpr_private_segment_size 0
		.amdhsa_wavefront_size32 1
		.amdhsa_uses_dynamic_stack 0
		.amdhsa_enable_private_segment 0
		.amdhsa_system_sgpr_workgroup_id_x 1
		.amdhsa_system_sgpr_workgroup_id_y 0
		.amdhsa_system_sgpr_workgroup_id_z 0
		.amdhsa_system_sgpr_workgroup_info 0
		.amdhsa_system_vgpr_workitem_id 0
		.amdhsa_next_free_vgpr 6
		.amdhsa_next_free_sgpr 21
		.amdhsa_named_barrier_count 0
		.amdhsa_reserve_vcc 1
		.amdhsa_float_round_mode_32 0
		.amdhsa_float_round_mode_16_64 0
		.amdhsa_float_denorm_mode_32 3
		.amdhsa_float_denorm_mode_16_64 3
		.amdhsa_fp16_overflow 0
		.amdhsa_memory_ordered 1
		.amdhsa_forward_progress 1
		.amdhsa_inst_pref_size 4
		.amdhsa_round_robin_scheduling 0
		.amdhsa_exception_fp_ieee_invalid_op 0
		.amdhsa_exception_fp_denorm_src 0
		.amdhsa_exception_fp_ieee_div_zero 0
		.amdhsa_exception_fp_ieee_overflow 0
		.amdhsa_exception_fp_ieee_underflow 0
		.amdhsa_exception_fp_ieee_inexact 0
		.amdhsa_exception_int_div_zero 0
	.end_amdhsa_kernel
	.section	.text._ZN9rocsparseL35bsr2csr_block_dim_equals_one_kernelILj1024E21rocsparse_complex_numIdEiiEEvT2_S3_21rocsparse_index_base_PKT0_PKT1_PKS3_S4_PS5_PS8_PS3_,"axG",@progbits,_ZN9rocsparseL35bsr2csr_block_dim_equals_one_kernelILj1024E21rocsparse_complex_numIdEiiEEvT2_S3_21rocsparse_index_base_PKT0_PKT1_PKS3_S4_PS5_PS8_PS3_,comdat
.Lfunc_end260:
	.size	_ZN9rocsparseL35bsr2csr_block_dim_equals_one_kernelILj1024E21rocsparse_complex_numIdEiiEEvT2_S3_21rocsparse_index_base_PKT0_PKT1_PKS3_S4_PS5_PS8_PS3_, .Lfunc_end260-_ZN9rocsparseL35bsr2csr_block_dim_equals_one_kernelILj1024E21rocsparse_complex_numIdEiiEEvT2_S3_21rocsparse_index_base_PKT0_PKT1_PKS3_S4_PS5_PS8_PS3_
                                        ; -- End function
	.set _ZN9rocsparseL35bsr2csr_block_dim_equals_one_kernelILj1024E21rocsparse_complex_numIdEiiEEvT2_S3_21rocsparse_index_base_PKT0_PKT1_PKS3_S4_PS5_PS8_PS3_.num_vgpr, 6
	.set _ZN9rocsparseL35bsr2csr_block_dim_equals_one_kernelILj1024E21rocsparse_complex_numIdEiiEEvT2_S3_21rocsparse_index_base_PKT0_PKT1_PKS3_S4_PS5_PS8_PS3_.num_agpr, 0
	.set _ZN9rocsparseL35bsr2csr_block_dim_equals_one_kernelILj1024E21rocsparse_complex_numIdEiiEEvT2_S3_21rocsparse_index_base_PKT0_PKT1_PKS3_S4_PS5_PS8_PS3_.numbered_sgpr, 21
	.set _ZN9rocsparseL35bsr2csr_block_dim_equals_one_kernelILj1024E21rocsparse_complex_numIdEiiEEvT2_S3_21rocsparse_index_base_PKT0_PKT1_PKS3_S4_PS5_PS8_PS3_.num_named_barrier, 0
	.set _ZN9rocsparseL35bsr2csr_block_dim_equals_one_kernelILj1024E21rocsparse_complex_numIdEiiEEvT2_S3_21rocsparse_index_base_PKT0_PKT1_PKS3_S4_PS5_PS8_PS3_.private_seg_size, 0
	.set _ZN9rocsparseL35bsr2csr_block_dim_equals_one_kernelILj1024E21rocsparse_complex_numIdEiiEEvT2_S3_21rocsparse_index_base_PKT0_PKT1_PKS3_S4_PS5_PS8_PS3_.uses_vcc, 1
	.set _ZN9rocsparseL35bsr2csr_block_dim_equals_one_kernelILj1024E21rocsparse_complex_numIdEiiEEvT2_S3_21rocsparse_index_base_PKT0_PKT1_PKS3_S4_PS5_PS8_PS3_.uses_flat_scratch, 0
	.set _ZN9rocsparseL35bsr2csr_block_dim_equals_one_kernelILj1024E21rocsparse_complex_numIdEiiEEvT2_S3_21rocsparse_index_base_PKT0_PKT1_PKS3_S4_PS5_PS8_PS3_.has_dyn_sized_stack, 0
	.set _ZN9rocsparseL35bsr2csr_block_dim_equals_one_kernelILj1024E21rocsparse_complex_numIdEiiEEvT2_S3_21rocsparse_index_base_PKT0_PKT1_PKS3_S4_PS5_PS8_PS3_.has_recursion, 0
	.set _ZN9rocsparseL35bsr2csr_block_dim_equals_one_kernelILj1024E21rocsparse_complex_numIdEiiEEvT2_S3_21rocsparse_index_base_PKT0_PKT1_PKS3_S4_PS5_PS8_PS3_.has_indirect_call, 0
	.section	.AMDGPU.csdata,"",@progbits
; Kernel info:
; codeLenInByte = 456
; TotalNumSgprs: 23
; NumVgprs: 6
; ScratchSize: 0
; MemoryBound: 0
; FloatMode: 240
; IeeeMode: 1
; LDSByteSize: 0 bytes/workgroup (compile time only)
; SGPRBlocks: 0
; VGPRBlocks: 0
; NumSGPRsForWavesPerEU: 23
; NumVGPRsForWavesPerEU: 6
; NamedBarCnt: 0
; Occupancy: 16
; WaveLimiterHint : 0
; COMPUTE_PGM_RSRC2:SCRATCH_EN: 0
; COMPUTE_PGM_RSRC2:USER_SGPR: 2
; COMPUTE_PGM_RSRC2:TRAP_HANDLER: 0
; COMPUTE_PGM_RSRC2:TGID_X_EN: 1
; COMPUTE_PGM_RSRC2:TGID_Y_EN: 0
; COMPUTE_PGM_RSRC2:TGID_Z_EN: 0
; COMPUTE_PGM_RSRC2:TIDIG_COMP_CNT: 0
	.section	.text._ZN9rocsparseL32bsr2csr_block_per_row_2_7_kernelILj256ELj2E21rocsparse_complex_numIdEiiEEv20rocsparse_direction_T3_S4_21rocsparse_index_base_PKT1_PKT2_PKS4_S4_S5_PS6_PS9_PS4_,"axG",@progbits,_ZN9rocsparseL32bsr2csr_block_per_row_2_7_kernelILj256ELj2E21rocsparse_complex_numIdEiiEEv20rocsparse_direction_T3_S4_21rocsparse_index_base_PKT1_PKT2_PKS4_S4_S5_PS6_PS9_PS4_,comdat
	.globl	_ZN9rocsparseL32bsr2csr_block_per_row_2_7_kernelILj256ELj2E21rocsparse_complex_numIdEiiEEv20rocsparse_direction_T3_S4_21rocsparse_index_base_PKT1_PKT2_PKS4_S4_S5_PS6_PS9_PS4_ ; -- Begin function _ZN9rocsparseL32bsr2csr_block_per_row_2_7_kernelILj256ELj2E21rocsparse_complex_numIdEiiEEv20rocsparse_direction_T3_S4_21rocsparse_index_base_PKT1_PKT2_PKS4_S4_S5_PS6_PS9_PS4_
	.p2align	8
	.type	_ZN9rocsparseL32bsr2csr_block_per_row_2_7_kernelILj256ELj2E21rocsparse_complex_numIdEiiEEv20rocsparse_direction_T3_S4_21rocsparse_index_base_PKT1_PKT2_PKS4_S4_S5_PS6_PS9_PS4_,@function
_ZN9rocsparseL32bsr2csr_block_per_row_2_7_kernelILj256ELj2E21rocsparse_complex_numIdEiiEEv20rocsparse_direction_T3_S4_21rocsparse_index_base_PKT1_PKT2_PKS4_S4_S5_PS6_PS9_PS4_: ; @_ZN9rocsparseL32bsr2csr_block_per_row_2_7_kernelILj256ELj2E21rocsparse_complex_numIdEiiEEv20rocsparse_direction_T3_S4_21rocsparse_index_base_PKT1_PKT2_PKS4_S4_S5_PS6_PS9_PS4_
; %bb.0:
	s_load_b64 s[6:7], s[0:1], 0x18
	s_bfe_u32 s2, ttmp6, 0x4000c
	s_and_b32 s3, ttmp6, 15
	s_add_co_i32 s2, s2, 1
	s_getreg_b32 s4, hwreg(HW_REG_IB_STS2, 6, 4)
	s_mul_i32 s2, ttmp9, s2
	s_delay_alu instid0(SALU_CYCLE_1)
	s_add_co_i32 s3, s3, s2
	s_cmp_eq_u32 s4, 0
	s_cselect_b32 s4, ttmp9, s3
	s_clause 0x1
	s_load_b32 s12, s[0:1], 0x2c
	s_load_b64 s[2:3], s[0:1], 0x38
	s_ashr_i32 s5, s4, 31
	v_or_b32_e32 v1, s4, v0
	s_lshl_b64 s[8:9], s[4:5], 2
	s_mov_b32 s5, exec_lo
	s_wait_kmcnt 0x0
	s_add_nc_u64 s[6:7], s[6:7], s[8:9]
	s_load_b64 s[10:11], s[6:7], 0x0
	v_cmpx_eq_u32_e32 0, v1
	s_cbranch_execz .LBB261_2
; %bb.1:
	v_dual_mov_b32 v1, 0 :: v_dual_mov_b32 v2, s12
	global_store_b32 v1, v2, s[2:3]
.LBB261_2:
	s_wait_xcnt 0x0
	s_or_b32 exec_lo, exec_lo, s5
	s_load_b32 s13, s[0:1], 0xc
	v_dual_lshrrev_b32 v0, 1, v0 :: v_dual_bitop2_b32 v1, 1, v0 bitop3:0x40
	s_delay_alu instid0(VALU_DEP_1) | instskip(NEXT) | instid1(VALU_DEP_1)
	v_lshl_or_b32 v4, s4, 1, v1
	v_add_nc_u32_e32 v4, 1, v4
	s_wait_kmcnt 0x0
	s_sub_co_i32 s5, s10, s13
	s_sub_co_i32 s11, s11, s13
	s_lshl_b32 s4, s5, 2
	s_sub_co_i32 s6, s11, s5
	v_add_nc_u32_e32 v2, s5, v0
	s_lshl_b32 s6, s6, 1
	s_delay_alu instid0(SALU_CYCLE_1)
	v_mul_lo_u32 v3, s6, v1
	s_add_co_i32 s6, s6, s12
	s_delay_alu instid0(VALU_DEP_1) | instid1(SALU_CYCLE_1)
	v_add3_u32 v5, s6, s4, v3
	global_store_b32 v4, v5, s[2:3] scale_offset
	s_wait_xcnt 0x0
	s_mov_b32 s2, exec_lo
	v_cmpx_gt_i32_e64 s11, v2
	s_cbranch_execz .LBB261_5
; %bb.3:
	s_clause 0x4
	s_load_b64 s[2:3], s[0:1], 0x20
	s_load_b64 s[4:5], s[0:1], 0x30
	s_load_b32 s14, s[0:1], 0x0
	s_load_b64 s[6:7], s[0:1], 0x10
	s_load_b64 s[8:9], s[0:1], 0x40
	v_dual_lshlrev_b32 v0, 1, v0 :: v_dual_lshlrev_b32 v4, 2, v2
	s_wait_xcnt 0x0
	s_mov_b32 s1, 0
	s_wait_kmcnt 0x0
	s_cmp_eq_u32 s14, 0
	s_cselect_b32 vcc_lo, -1, 0
	s_lshl_b32 s0, s10, 2
	s_delay_alu instid0(SALU_CYCLE_1) | instskip(SKIP_3) | instid1(VALU_DEP_3)
	v_add3_u32 v0, v3, s0, v0
	s_lshl_b32 s0, s13, 2
	v_lshl_or_b32 v3, v1, 1, v4
	v_or_b32_e32 v4, v4, v1
	v_subrev_nc_u32_e32 v0, s0, v0
.LBB261_4:                              ; =>This Inner Loop Header: Depth=1
	global_load_b32 v5, v2, s[2:3] scale_offset
	v_dual_add_nc_u32 v1, 1, v3 :: v_dual_add_nc_u32 v6, 2, v4
	v_cndmask_b32_e32 v14, v4, v3, vcc_lo
	s_wait_xcnt 0x0
	v_add_nc_u32_e32 v2, 0x80, v2
	v_add_nc_u32_e32 v3, 0x200, v3
	v_dual_cndmask_b32 v1, v6, v1 :: v_dual_add_nc_u32 v4, 0x200, v4
	s_clause 0x1
	global_load_b128 v[6:9], v14, s[6:7] scale_offset
	global_load_b128 v[10:13], v1, s[6:7] scale_offset
	v_cmp_le_i32_e64 s0, s11, v2
	s_or_b32 s1, s0, s1
	s_wait_loadcnt 0x2
	v_subrev_nc_u32_e32 v5, s13, v5
	s_wait_xcnt 0x1
	s_delay_alu instid0(VALU_DEP_1) | instskip(SKIP_1) | instid1(VALU_DEP_1)
	v_lshl_add_u32 v14, v5, 1, s12
	s_wait_xcnt 0x0
	v_dual_ashrrev_i32 v1, 31, v0 :: v_dual_add_nc_u32 v15, 1, v14
	s_delay_alu instid0(VALU_DEP_1)
	v_lshl_add_u64 v[16:17], v[0:1], 2, s[8:9]
	s_wait_loadcnt 0x1
	global_store_b128 v0, v[6:9], s[4:5] scale_offset
	s_wait_loadcnt 0x0
	global_store_b128 v0, v[10:13], s[4:5] offset:16 scale_offset
	s_wait_xcnt 0x0
	v_add_nc_u32_e32 v0, 0x100, v0
	global_store_b64 v[16:17], v[14:15], off
	s_wait_xcnt 0x0
	s_and_not1_b32 exec_lo, exec_lo, s1
	s_cbranch_execnz .LBB261_4
.LBB261_5:
	s_endpgm
	.section	.rodata,"a",@progbits
	.p2align	6, 0x0
	.amdhsa_kernel _ZN9rocsparseL32bsr2csr_block_per_row_2_7_kernelILj256ELj2E21rocsparse_complex_numIdEiiEEv20rocsparse_direction_T3_S4_21rocsparse_index_base_PKT1_PKT2_PKS4_S4_S5_PS6_PS9_PS4_
		.amdhsa_group_segment_fixed_size 0
		.amdhsa_private_segment_fixed_size 0
		.amdhsa_kernarg_size 72
		.amdhsa_user_sgpr_count 2
		.amdhsa_user_sgpr_dispatch_ptr 0
		.amdhsa_user_sgpr_queue_ptr 0
		.amdhsa_user_sgpr_kernarg_segment_ptr 1
		.amdhsa_user_sgpr_dispatch_id 0
		.amdhsa_user_sgpr_kernarg_preload_length 0
		.amdhsa_user_sgpr_kernarg_preload_offset 0
		.amdhsa_user_sgpr_private_segment_size 0
		.amdhsa_wavefront_size32 1
		.amdhsa_uses_dynamic_stack 0
		.amdhsa_enable_private_segment 0
		.amdhsa_system_sgpr_workgroup_id_x 1
		.amdhsa_system_sgpr_workgroup_id_y 0
		.amdhsa_system_sgpr_workgroup_id_z 0
		.amdhsa_system_sgpr_workgroup_info 0
		.amdhsa_system_vgpr_workitem_id 0
		.amdhsa_next_free_vgpr 18
		.amdhsa_next_free_sgpr 15
		.amdhsa_named_barrier_count 0
		.amdhsa_reserve_vcc 1
		.amdhsa_float_round_mode_32 0
		.amdhsa_float_round_mode_16_64 0
		.amdhsa_float_denorm_mode_32 3
		.amdhsa_float_denorm_mode_16_64 3
		.amdhsa_fp16_overflow 0
		.amdhsa_memory_ordered 1
		.amdhsa_forward_progress 1
		.amdhsa_inst_pref_size 5
		.amdhsa_round_robin_scheduling 0
		.amdhsa_exception_fp_ieee_invalid_op 0
		.amdhsa_exception_fp_denorm_src 0
		.amdhsa_exception_fp_ieee_div_zero 0
		.amdhsa_exception_fp_ieee_overflow 0
		.amdhsa_exception_fp_ieee_underflow 0
		.amdhsa_exception_fp_ieee_inexact 0
		.amdhsa_exception_int_div_zero 0
	.end_amdhsa_kernel
	.section	.text._ZN9rocsparseL32bsr2csr_block_per_row_2_7_kernelILj256ELj2E21rocsparse_complex_numIdEiiEEv20rocsparse_direction_T3_S4_21rocsparse_index_base_PKT1_PKT2_PKS4_S4_S5_PS6_PS9_PS4_,"axG",@progbits,_ZN9rocsparseL32bsr2csr_block_per_row_2_7_kernelILj256ELj2E21rocsparse_complex_numIdEiiEEv20rocsparse_direction_T3_S4_21rocsparse_index_base_PKT1_PKT2_PKS4_S4_S5_PS6_PS9_PS4_,comdat
.Lfunc_end261:
	.size	_ZN9rocsparseL32bsr2csr_block_per_row_2_7_kernelILj256ELj2E21rocsparse_complex_numIdEiiEEv20rocsparse_direction_T3_S4_21rocsparse_index_base_PKT1_PKT2_PKS4_S4_S5_PS6_PS9_PS4_, .Lfunc_end261-_ZN9rocsparseL32bsr2csr_block_per_row_2_7_kernelILj256ELj2E21rocsparse_complex_numIdEiiEEv20rocsparse_direction_T3_S4_21rocsparse_index_base_PKT1_PKT2_PKS4_S4_S5_PS6_PS9_PS4_
                                        ; -- End function
	.set _ZN9rocsparseL32bsr2csr_block_per_row_2_7_kernelILj256ELj2E21rocsparse_complex_numIdEiiEEv20rocsparse_direction_T3_S4_21rocsparse_index_base_PKT1_PKT2_PKS4_S4_S5_PS6_PS9_PS4_.num_vgpr, 18
	.set _ZN9rocsparseL32bsr2csr_block_per_row_2_7_kernelILj256ELj2E21rocsparse_complex_numIdEiiEEv20rocsparse_direction_T3_S4_21rocsparse_index_base_PKT1_PKT2_PKS4_S4_S5_PS6_PS9_PS4_.num_agpr, 0
	.set _ZN9rocsparseL32bsr2csr_block_per_row_2_7_kernelILj256ELj2E21rocsparse_complex_numIdEiiEEv20rocsparse_direction_T3_S4_21rocsparse_index_base_PKT1_PKT2_PKS4_S4_S5_PS6_PS9_PS4_.numbered_sgpr, 15
	.set _ZN9rocsparseL32bsr2csr_block_per_row_2_7_kernelILj256ELj2E21rocsparse_complex_numIdEiiEEv20rocsparse_direction_T3_S4_21rocsparse_index_base_PKT1_PKT2_PKS4_S4_S5_PS6_PS9_PS4_.num_named_barrier, 0
	.set _ZN9rocsparseL32bsr2csr_block_per_row_2_7_kernelILj256ELj2E21rocsparse_complex_numIdEiiEEv20rocsparse_direction_T3_S4_21rocsparse_index_base_PKT1_PKT2_PKS4_S4_S5_PS6_PS9_PS4_.private_seg_size, 0
	.set _ZN9rocsparseL32bsr2csr_block_per_row_2_7_kernelILj256ELj2E21rocsparse_complex_numIdEiiEEv20rocsparse_direction_T3_S4_21rocsparse_index_base_PKT1_PKT2_PKS4_S4_S5_PS6_PS9_PS4_.uses_vcc, 1
	.set _ZN9rocsparseL32bsr2csr_block_per_row_2_7_kernelILj256ELj2E21rocsparse_complex_numIdEiiEEv20rocsparse_direction_T3_S4_21rocsparse_index_base_PKT1_PKT2_PKS4_S4_S5_PS6_PS9_PS4_.uses_flat_scratch, 0
	.set _ZN9rocsparseL32bsr2csr_block_per_row_2_7_kernelILj256ELj2E21rocsparse_complex_numIdEiiEEv20rocsparse_direction_T3_S4_21rocsparse_index_base_PKT1_PKT2_PKS4_S4_S5_PS6_PS9_PS4_.has_dyn_sized_stack, 0
	.set _ZN9rocsparseL32bsr2csr_block_per_row_2_7_kernelILj256ELj2E21rocsparse_complex_numIdEiiEEv20rocsparse_direction_T3_S4_21rocsparse_index_base_PKT1_PKT2_PKS4_S4_S5_PS6_PS9_PS4_.has_recursion, 0
	.set _ZN9rocsparseL32bsr2csr_block_per_row_2_7_kernelILj256ELj2E21rocsparse_complex_numIdEiiEEv20rocsparse_direction_T3_S4_21rocsparse_index_base_PKT1_PKT2_PKS4_S4_S5_PS6_PS9_PS4_.has_indirect_call, 0
	.section	.AMDGPU.csdata,"",@progbits
; Kernel info:
; codeLenInByte = 596
; TotalNumSgprs: 17
; NumVgprs: 18
; ScratchSize: 0
; MemoryBound: 0
; FloatMode: 240
; IeeeMode: 1
; LDSByteSize: 0 bytes/workgroup (compile time only)
; SGPRBlocks: 0
; VGPRBlocks: 1
; NumSGPRsForWavesPerEU: 17
; NumVGPRsForWavesPerEU: 18
; NamedBarCnt: 0
; Occupancy: 16
; WaveLimiterHint : 0
; COMPUTE_PGM_RSRC2:SCRATCH_EN: 0
; COMPUTE_PGM_RSRC2:USER_SGPR: 2
; COMPUTE_PGM_RSRC2:TRAP_HANDLER: 0
; COMPUTE_PGM_RSRC2:TGID_X_EN: 1
; COMPUTE_PGM_RSRC2:TGID_Y_EN: 0
; COMPUTE_PGM_RSRC2:TGID_Z_EN: 0
; COMPUTE_PGM_RSRC2:TIDIG_COMP_CNT: 0
	.section	.text._ZN9rocsparseL32bsr2csr_block_per_row_2_7_kernelILj256ELj3E21rocsparse_complex_numIdEiiEEv20rocsparse_direction_T3_S4_21rocsparse_index_base_PKT1_PKT2_PKS4_S4_S5_PS6_PS9_PS4_,"axG",@progbits,_ZN9rocsparseL32bsr2csr_block_per_row_2_7_kernelILj256ELj3E21rocsparse_complex_numIdEiiEEv20rocsparse_direction_T3_S4_21rocsparse_index_base_PKT1_PKT2_PKS4_S4_S5_PS6_PS9_PS4_,comdat
	.globl	_ZN9rocsparseL32bsr2csr_block_per_row_2_7_kernelILj256ELj3E21rocsparse_complex_numIdEiiEEv20rocsparse_direction_T3_S4_21rocsparse_index_base_PKT1_PKT2_PKS4_S4_S5_PS6_PS9_PS4_ ; -- Begin function _ZN9rocsparseL32bsr2csr_block_per_row_2_7_kernelILj256ELj3E21rocsparse_complex_numIdEiiEEv20rocsparse_direction_T3_S4_21rocsparse_index_base_PKT1_PKT2_PKS4_S4_S5_PS6_PS9_PS4_
	.p2align	8
	.type	_ZN9rocsparseL32bsr2csr_block_per_row_2_7_kernelILj256ELj3E21rocsparse_complex_numIdEiiEEv20rocsparse_direction_T3_S4_21rocsparse_index_base_PKT1_PKT2_PKS4_S4_S5_PS6_PS9_PS4_,@function
_ZN9rocsparseL32bsr2csr_block_per_row_2_7_kernelILj256ELj3E21rocsparse_complex_numIdEiiEEv20rocsparse_direction_T3_S4_21rocsparse_index_base_PKT1_PKT2_PKS4_S4_S5_PS6_PS9_PS4_: ; @_ZN9rocsparseL32bsr2csr_block_per_row_2_7_kernelILj256ELj3E21rocsparse_complex_numIdEiiEEv20rocsparse_direction_T3_S4_21rocsparse_index_base_PKT1_PKT2_PKS4_S4_S5_PS6_PS9_PS4_
; %bb.0:
	s_clause 0x1
	s_load_b32 s12, s[0:1], 0x2c
	s_load_b64 s[2:3], s[0:1], 0x38
	s_bfe_u32 s4, ttmp6, 0x4000c
	s_and_b32 s5, ttmp6, 15
	s_add_co_i32 s4, s4, 1
	s_getreg_b32 s6, hwreg(HW_REG_IB_STS2, 6, 4)
	s_mul_i32 s4, ttmp9, s4
	s_delay_alu instid0(SALU_CYCLE_1) | instskip(SKIP_4) | instid1(VALU_DEP_1)
	s_add_co_i32 s5, s5, s4
	s_cmp_eq_u32 s6, 0
	s_cselect_b32 s4, ttmp9, s5
	s_mov_b32 s5, exec_lo
	v_or_b32_e32 v1, s4, v0
	v_cmpx_eq_u32_e32 0, v1
	s_cbranch_execz .LBB262_2
; %bb.1:
	s_wait_kmcnt 0x0
	v_dual_mov_b32 v1, 0 :: v_dual_mov_b32 v2, s12
	global_store_b32 v1, v2, s[2:3]
.LBB262_2:
	s_wait_xcnt 0x0
	s_or_b32 exec_lo, exec_lo, s5
	v_and_b32_e32 v1, 3, v0
	s_mov_b32 s5, exec_lo
	s_delay_alu instid0(VALU_DEP_1)
	v_cmpx_ne_u32_e32 3, v1
	s_cbranch_execz .LBB262_6
; %bb.3:
	s_clause 0x1
	s_load_b64 s[6:7], s[0:1], 0x18
	s_load_b32 s13, s[0:1], 0xc
	s_ashr_i32 s5, s4, 31
	v_lshrrev_b32_e32 v0, 2, v0
	s_lshl_b64 s[8:9], s[4:5], 2
	s_mul_i32 s4, s4, 3
	s_delay_alu instid0(SALU_CYCLE_1)
	v_add3_u32 v5, v1, s4, 1
	s_wait_kmcnt 0x0
	s_add_nc_u64 s[6:7], s[6:7], s[8:9]
	s_load_b64 s[10:11], s[6:7], 0x0
	s_wait_kmcnt 0x0
	s_sub_co_i32 s5, s10, s13
	s_sub_co_i32 s11, s11, s13
	v_add_nc_u32_e32 v2, s5, v0
	s_sub_co_i32 s6, s11, s5
	s_mul_i32 s7, s5, 9
	s_mul_i32 s6, s6, 3
	s_delay_alu instid0(SALU_CYCLE_1) | instskip(SKIP_2) | instid1(VALU_DEP_2)
	v_mul_lo_u32 v3, s6, v1
	s_add_co_i32 s6, s6, s12
	v_cmp_gt_i32_e32 vcc_lo, s11, v2
	v_add3_u32 v4, s6, s7, v3
	global_store_b32 v5, v4, s[2:3] scale_offset
	s_wait_xcnt 0x0
	s_and_b32 exec_lo, exec_lo, vcc_lo
	s_cbranch_execz .LBB262_6
; %bb.4:
	s_clause 0x2
	s_load_b64 s[2:3], s[0:1], 0x20
	s_load_b64 s[4:5], s[0:1], 0x30
	s_load_b32 s14, s[0:1], 0x0
	v_add_nc_u32_e32 v4, s10, v0
	v_mul_u32_u24_e32 v5, 3, v1
	s_clause 0x1
	s_load_b64 s[6:7], s[0:1], 0x10
	s_load_b64 s[8:9], s[0:1], 0x40
	v_mul_u32_u24_e32 v0, 3, v0
	s_wait_xcnt 0x0
	s_mul_i32 s0, s10, 9
	s_mov_b32 s1, 0
	v_mad_u32 v4, v4, 9, v5
	s_mov_b32 s10, 0
	v_add3_u32 v0, v3, s0, v0
	v_mad_u32 v3, v2, 9, v1
	s_mul_i32 s0, s13, 9
	s_delay_alu instid0(VALU_DEP_2) | instid1(SALU_CYCLE_1)
	v_subrev_nc_u32_e32 v0, s0, v0
	s_delay_alu instid0(VALU_DEP_4)
	v_subrev_nc_u32_e32 v4, s0, v4
	s_wait_kmcnt 0x0
	s_cmp_eq_u32 s14, 0
	s_cselect_b32 vcc_lo, -1, 0
.LBB262_5:                              ; =>This Inner Loop Header: Depth=1
	global_load_b32 v18, v2, s[2:3] scale_offset
	v_dual_add_nc_u32 v1, s10, v4 :: v_dual_add_nc_u32 v5, s10, v3
	s_addk_co_i32 s10, 0x240
	s_wait_xcnt 0x0
	s_delay_alu instid0(VALU_DEP_1) | instskip(SKIP_3) | instid1(VALU_DEP_4)
	v_dual_add_nc_u32 v2, 64, v2 :: v_dual_add_nc_u32 v6, 1, v1
	v_add_nc_u32_e32 v8, 2, v1
	v_dual_add_nc_u32 v7, 3, v5 :: v_dual_add_nc_u32 v9, 6, v5
	v_cndmask_b32_e32 v1, v5, v1, vcc_lo
	v_cmp_le_i32_e64 s0, s11, v2
	s_delay_alu instid0(VALU_DEP_3)
	v_dual_cndmask_b32 v5, v7, v6, vcc_lo :: v_dual_cndmask_b32 v19, v9, v8, vcc_lo
	s_clause 0x2
	global_load_b128 v[6:9], v1, s[6:7] scale_offset
	global_load_b128 v[10:13], v5, s[6:7] scale_offset
	;; [unrolled: 1-line block ×3, first 2 shown]
	s_or_b32 s1, s0, s1
	s_wait_loadcnt 0x2
	global_store_b128 v0, v[6:9], s[4:5] scale_offset
	s_wait_loadcnt 0x1
	global_store_b128 v0, v[10:13], s[4:5] offset:16 scale_offset
	s_wait_loadcnt 0x0
	global_store_b128 v0, v[14:17], s[4:5] offset:32 scale_offset
	s_wait_xcnt 0x4
	v_subrev_nc_u32_e32 v5, s13, v18
	s_delay_alu instid0(VALU_DEP_1) | instskip(SKIP_1) | instid1(VALU_DEP_1)
	v_mad_u32 v18, v5, 3, s12
	s_wait_xcnt 0x3
	v_dual_ashrrev_i32 v1, 31, v0 :: v_dual_add_nc_u32 v19, 1, v18
	s_delay_alu instid0(VALU_DEP_1)
	v_lshl_add_u64 v[22:23], v[0:1], 2, s[8:9]
	v_add_nc_u32_e32 v20, 2, v18
	s_wait_xcnt 0x0
	v_add_nc_u32_e32 v0, 0xc0, v0
	global_store_b96 v[22:23], v[18:20], off
	s_wait_xcnt 0x0
	s_and_not1_b32 exec_lo, exec_lo, s1
	s_cbranch_execnz .LBB262_5
.LBB262_6:
	s_endpgm
	.section	.rodata,"a",@progbits
	.p2align	6, 0x0
	.amdhsa_kernel _ZN9rocsparseL32bsr2csr_block_per_row_2_7_kernelILj256ELj3E21rocsparse_complex_numIdEiiEEv20rocsparse_direction_T3_S4_21rocsparse_index_base_PKT1_PKT2_PKS4_S4_S5_PS6_PS9_PS4_
		.amdhsa_group_segment_fixed_size 0
		.amdhsa_private_segment_fixed_size 0
		.amdhsa_kernarg_size 72
		.amdhsa_user_sgpr_count 2
		.amdhsa_user_sgpr_dispatch_ptr 0
		.amdhsa_user_sgpr_queue_ptr 0
		.amdhsa_user_sgpr_kernarg_segment_ptr 1
		.amdhsa_user_sgpr_dispatch_id 0
		.amdhsa_user_sgpr_kernarg_preload_length 0
		.amdhsa_user_sgpr_kernarg_preload_offset 0
		.amdhsa_user_sgpr_private_segment_size 0
		.amdhsa_wavefront_size32 1
		.amdhsa_uses_dynamic_stack 0
		.amdhsa_enable_private_segment 0
		.amdhsa_system_sgpr_workgroup_id_x 1
		.amdhsa_system_sgpr_workgroup_id_y 0
		.amdhsa_system_sgpr_workgroup_id_z 0
		.amdhsa_system_sgpr_workgroup_info 0
		.amdhsa_system_vgpr_workitem_id 0
		.amdhsa_next_free_vgpr 24
		.amdhsa_next_free_sgpr 15
		.amdhsa_named_barrier_count 0
		.amdhsa_reserve_vcc 1
		.amdhsa_float_round_mode_32 0
		.amdhsa_float_round_mode_16_64 0
		.amdhsa_float_denorm_mode_32 3
		.amdhsa_float_denorm_mode_16_64 3
		.amdhsa_fp16_overflow 0
		.amdhsa_memory_ordered 1
		.amdhsa_forward_progress 1
		.amdhsa_inst_pref_size 6
		.amdhsa_round_robin_scheduling 0
		.amdhsa_exception_fp_ieee_invalid_op 0
		.amdhsa_exception_fp_denorm_src 0
		.amdhsa_exception_fp_ieee_div_zero 0
		.amdhsa_exception_fp_ieee_overflow 0
		.amdhsa_exception_fp_ieee_underflow 0
		.amdhsa_exception_fp_ieee_inexact 0
		.amdhsa_exception_int_div_zero 0
	.end_amdhsa_kernel
	.section	.text._ZN9rocsparseL32bsr2csr_block_per_row_2_7_kernelILj256ELj3E21rocsparse_complex_numIdEiiEEv20rocsparse_direction_T3_S4_21rocsparse_index_base_PKT1_PKT2_PKS4_S4_S5_PS6_PS9_PS4_,"axG",@progbits,_ZN9rocsparseL32bsr2csr_block_per_row_2_7_kernelILj256ELj3E21rocsparse_complex_numIdEiiEEv20rocsparse_direction_T3_S4_21rocsparse_index_base_PKT1_PKT2_PKS4_S4_S5_PS6_PS9_PS4_,comdat
.Lfunc_end262:
	.size	_ZN9rocsparseL32bsr2csr_block_per_row_2_7_kernelILj256ELj3E21rocsparse_complex_numIdEiiEEv20rocsparse_direction_T3_S4_21rocsparse_index_base_PKT1_PKT2_PKS4_S4_S5_PS6_PS9_PS4_, .Lfunc_end262-_ZN9rocsparseL32bsr2csr_block_per_row_2_7_kernelILj256ELj3E21rocsparse_complex_numIdEiiEEv20rocsparse_direction_T3_S4_21rocsparse_index_base_PKT1_PKT2_PKS4_S4_S5_PS6_PS9_PS4_
                                        ; -- End function
	.set _ZN9rocsparseL32bsr2csr_block_per_row_2_7_kernelILj256ELj3E21rocsparse_complex_numIdEiiEEv20rocsparse_direction_T3_S4_21rocsparse_index_base_PKT1_PKT2_PKS4_S4_S5_PS6_PS9_PS4_.num_vgpr, 24
	.set _ZN9rocsparseL32bsr2csr_block_per_row_2_7_kernelILj256ELj3E21rocsparse_complex_numIdEiiEEv20rocsparse_direction_T3_S4_21rocsparse_index_base_PKT1_PKT2_PKS4_S4_S5_PS6_PS9_PS4_.num_agpr, 0
	.set _ZN9rocsparseL32bsr2csr_block_per_row_2_7_kernelILj256ELj3E21rocsparse_complex_numIdEiiEEv20rocsparse_direction_T3_S4_21rocsparse_index_base_PKT1_PKT2_PKS4_S4_S5_PS6_PS9_PS4_.numbered_sgpr, 15
	.set _ZN9rocsparseL32bsr2csr_block_per_row_2_7_kernelILj256ELj3E21rocsparse_complex_numIdEiiEEv20rocsparse_direction_T3_S4_21rocsparse_index_base_PKT1_PKT2_PKS4_S4_S5_PS6_PS9_PS4_.num_named_barrier, 0
	.set _ZN9rocsparseL32bsr2csr_block_per_row_2_7_kernelILj256ELj3E21rocsparse_complex_numIdEiiEEv20rocsparse_direction_T3_S4_21rocsparse_index_base_PKT1_PKT2_PKS4_S4_S5_PS6_PS9_PS4_.private_seg_size, 0
	.set _ZN9rocsparseL32bsr2csr_block_per_row_2_7_kernelILj256ELj3E21rocsparse_complex_numIdEiiEEv20rocsparse_direction_T3_S4_21rocsparse_index_base_PKT1_PKT2_PKS4_S4_S5_PS6_PS9_PS4_.uses_vcc, 1
	.set _ZN9rocsparseL32bsr2csr_block_per_row_2_7_kernelILj256ELj3E21rocsparse_complex_numIdEiiEEv20rocsparse_direction_T3_S4_21rocsparse_index_base_PKT1_PKT2_PKS4_S4_S5_PS6_PS9_PS4_.uses_flat_scratch, 0
	.set _ZN9rocsparseL32bsr2csr_block_per_row_2_7_kernelILj256ELj3E21rocsparse_complex_numIdEiiEEv20rocsparse_direction_T3_S4_21rocsparse_index_base_PKT1_PKT2_PKS4_S4_S5_PS6_PS9_PS4_.has_dyn_sized_stack, 0
	.set _ZN9rocsparseL32bsr2csr_block_per_row_2_7_kernelILj256ELj3E21rocsparse_complex_numIdEiiEEv20rocsparse_direction_T3_S4_21rocsparse_index_base_PKT1_PKT2_PKS4_S4_S5_PS6_PS9_PS4_.has_recursion, 0
	.set _ZN9rocsparseL32bsr2csr_block_per_row_2_7_kernelILj256ELj3E21rocsparse_complex_numIdEiiEEv20rocsparse_direction_T3_S4_21rocsparse_index_base_PKT1_PKT2_PKS4_S4_S5_PS6_PS9_PS4_.has_indirect_call, 0
	.section	.AMDGPU.csdata,"",@progbits
; Kernel info:
; codeLenInByte = 680
; TotalNumSgprs: 17
; NumVgprs: 24
; ScratchSize: 0
; MemoryBound: 0
; FloatMode: 240
; IeeeMode: 1
; LDSByteSize: 0 bytes/workgroup (compile time only)
; SGPRBlocks: 0
; VGPRBlocks: 1
; NumSGPRsForWavesPerEU: 17
; NumVGPRsForWavesPerEU: 24
; NamedBarCnt: 0
; Occupancy: 16
; WaveLimiterHint : 0
; COMPUTE_PGM_RSRC2:SCRATCH_EN: 0
; COMPUTE_PGM_RSRC2:USER_SGPR: 2
; COMPUTE_PGM_RSRC2:TRAP_HANDLER: 0
; COMPUTE_PGM_RSRC2:TGID_X_EN: 1
; COMPUTE_PGM_RSRC2:TGID_Y_EN: 0
; COMPUTE_PGM_RSRC2:TGID_Z_EN: 0
; COMPUTE_PGM_RSRC2:TIDIG_COMP_CNT: 0
	.section	.text._ZN9rocsparseL32bsr2csr_block_per_row_2_7_kernelILj256ELj4E21rocsparse_complex_numIdEiiEEv20rocsparse_direction_T3_S4_21rocsparse_index_base_PKT1_PKT2_PKS4_S4_S5_PS6_PS9_PS4_,"axG",@progbits,_ZN9rocsparseL32bsr2csr_block_per_row_2_7_kernelILj256ELj4E21rocsparse_complex_numIdEiiEEv20rocsparse_direction_T3_S4_21rocsparse_index_base_PKT1_PKT2_PKS4_S4_S5_PS6_PS9_PS4_,comdat
	.globl	_ZN9rocsparseL32bsr2csr_block_per_row_2_7_kernelILj256ELj4E21rocsparse_complex_numIdEiiEEv20rocsparse_direction_T3_S4_21rocsparse_index_base_PKT1_PKT2_PKS4_S4_S5_PS6_PS9_PS4_ ; -- Begin function _ZN9rocsparseL32bsr2csr_block_per_row_2_7_kernelILj256ELj4E21rocsparse_complex_numIdEiiEEv20rocsparse_direction_T3_S4_21rocsparse_index_base_PKT1_PKT2_PKS4_S4_S5_PS6_PS9_PS4_
	.p2align	8
	.type	_ZN9rocsparseL32bsr2csr_block_per_row_2_7_kernelILj256ELj4E21rocsparse_complex_numIdEiiEEv20rocsparse_direction_T3_S4_21rocsparse_index_base_PKT1_PKT2_PKS4_S4_S5_PS6_PS9_PS4_,@function
_ZN9rocsparseL32bsr2csr_block_per_row_2_7_kernelILj256ELj4E21rocsparse_complex_numIdEiiEEv20rocsparse_direction_T3_S4_21rocsparse_index_base_PKT1_PKT2_PKS4_S4_S5_PS6_PS9_PS4_: ; @_ZN9rocsparseL32bsr2csr_block_per_row_2_7_kernelILj256ELj4E21rocsparse_complex_numIdEiiEEv20rocsparse_direction_T3_S4_21rocsparse_index_base_PKT1_PKT2_PKS4_S4_S5_PS6_PS9_PS4_
; %bb.0:
	s_load_b64 s[6:7], s[0:1], 0x18
	s_bfe_u32 s2, ttmp6, 0x4000c
	s_and_b32 s3, ttmp6, 15
	s_add_co_i32 s2, s2, 1
	s_getreg_b32 s4, hwreg(HW_REG_IB_STS2, 6, 4)
	s_mul_i32 s2, ttmp9, s2
	s_delay_alu instid0(SALU_CYCLE_1)
	s_add_co_i32 s3, s3, s2
	s_cmp_eq_u32 s4, 0
	s_cselect_b32 s4, ttmp9, s3
	s_clause 0x1
	s_load_b32 s12, s[0:1], 0x2c
	s_load_b64 s[2:3], s[0:1], 0x38
	s_ashr_i32 s5, s4, 31
	v_or_b32_e32 v1, s4, v0
	s_lshl_b64 s[8:9], s[4:5], 2
	s_mov_b32 s5, exec_lo
	s_wait_kmcnt 0x0
	s_add_nc_u64 s[6:7], s[6:7], s[8:9]
	s_load_b64 s[10:11], s[6:7], 0x0
	v_cmpx_eq_u32_e32 0, v1
	s_cbranch_execz .LBB263_2
; %bb.1:
	v_dual_mov_b32 v1, 0 :: v_dual_mov_b32 v2, s12
	global_store_b32 v1, v2, s[2:3]
.LBB263_2:
	s_wait_xcnt 0x0
	s_or_b32 exec_lo, exec_lo, s5
	s_load_b32 s13, s[0:1], 0xc
	v_dual_lshrrev_b32 v0, 2, v0 :: v_dual_bitop2_b32 v2, 3, v0 bitop3:0x40
	s_delay_alu instid0(VALU_DEP_1) | instskip(NEXT) | instid1(VALU_DEP_1)
	v_lshl_or_b32 v4, s4, 2, v2
	v_add_nc_u32_e32 v4, 1, v4
	s_wait_kmcnt 0x0
	s_sub_co_i32 s5, s10, s13
	s_sub_co_i32 s11, s11, s13
	s_lshl_b32 s4, s5, 4
	s_sub_co_i32 s6, s11, s5
	v_add_nc_u32_e32 v3, s5, v0
	s_lshl_b32 s6, s6, 2
	s_delay_alu instid0(SALU_CYCLE_1)
	v_mul_lo_u32 v1, s6, v2
	s_add_co_i32 s6, s6, s12
	s_delay_alu instid0(VALU_DEP_1) | instid1(SALU_CYCLE_1)
	v_add3_u32 v5, s6, s4, v1
	global_store_b32 v4, v5, s[2:3] scale_offset
	s_wait_xcnt 0x0
	s_mov_b32 s2, exec_lo
	v_cmpx_gt_i32_e64 s11, v3
	s_cbranch_execz .LBB263_5
; %bb.3:
	s_clause 0x4
	s_load_b64 s[2:3], s[0:1], 0x20
	s_load_b64 s[4:5], s[0:1], 0x30
	s_load_b32 s14, s[0:1], 0x0
	s_load_b64 s[6:7], s[0:1], 0x10
	s_load_b64 s[8:9], s[0:1], 0x40
	v_dual_lshlrev_b32 v0, 2, v0 :: v_dual_lshlrev_b32 v4, 2, v2
	v_lshlrev_b32_e32 v5, 4, v3
	s_wait_xcnt 0x0
	s_mov_b32 s1, 0
	s_wait_kmcnt 0x0
	s_cmp_eq_u32 s14, 0
	s_cselect_b32 vcc_lo, -1, 0
	s_lshl_b32 s0, s10, 4
	s_delay_alu instid0(SALU_CYCLE_1)
	v_add3_u32 v0, v1, s0, v0
	s_lshl_b32 s0, s13, 4
	s_delay_alu instid0(VALU_DEP_1) | instid1(SALU_CYCLE_1)
	v_subrev_nc_u32_e32 v0, s0, v0
.LBB263_4:                              ; =>This Inner Loop Header: Depth=1
	v_dual_add_nc_u32 v1, v4, v5 :: v_dual_add_nc_u32 v6, v2, v5
	global_load_b32 v22, v3, s[2:3] scale_offset
	v_add_nc_u32_e32 v5, 0x400, v5
	s_wait_xcnt 0x0
	v_dual_add_nc_u32 v3, 64, v3 :: v_dual_add_nc_u32 v7, 1, v1
	v_dual_add_nc_u32 v8, 4, v6 :: v_dual_add_nc_u32 v9, 2, v1
	;; [unrolled: 1-line block ×3, first 2 shown]
	v_dual_cndmask_b32 v1, v6, v1 :: v_dual_add_nc_u32 v12, 12, v6
	s_delay_alu instid0(VALU_DEP_2) | instskip(SKIP_1) | instid1(VALU_DEP_3)
	v_dual_cndmask_b32 v23, v8, v7 :: v_dual_cndmask_b32 v24, v10, v9
	v_cmp_le_i32_e64 s0, s11, v3
	v_cndmask_b32_e32 v25, v12, v11, vcc_lo
	s_clause 0x3
	global_load_b128 v[6:9], v1, s[6:7] scale_offset
	global_load_b128 v[10:13], v23, s[6:7] scale_offset
	;; [unrolled: 1-line block ×4, first 2 shown]
	s_wait_xcnt 0x3
	v_ashrrev_i32_e32 v1, 31, v0
	s_or_b32 s1, s0, s1
	s_wait_loadcnt 0x3
	global_store_b128 v0, v[6:9], s[4:5] scale_offset
	s_wait_loadcnt 0x2
	global_store_b128 v0, v[10:13], s[4:5] offset:16 scale_offset
	s_wait_loadcnt 0x1
	global_store_b128 v0, v[14:17], s[4:5] offset:32 scale_offset
	;; [unrolled: 2-line block ×3, first 2 shown]
	v_lshl_add_u64 v[26:27], v[0:1], 2, s[8:9]
	v_subrev_nc_u32_e32 v1, s13, v22
	s_wait_xcnt 0x0
	v_add_nc_u32_e32 v0, 0x100, v0
	s_delay_alu instid0(VALU_DEP_2) | instskip(NEXT) | instid1(VALU_DEP_1)
	v_lshl_add_u32 v22, v1, 2, s12
	v_dual_add_nc_u32 v23, 1, v22 :: v_dual_add_nc_u32 v24, 2, v22
	v_add_nc_u32_e32 v25, 3, v22
	global_store_b128 v[26:27], v[22:25], off
	s_wait_xcnt 0x0
	s_and_not1_b32 exec_lo, exec_lo, s1
	s_cbranch_execnz .LBB263_4
.LBB263_5:
	s_endpgm
	.section	.rodata,"a",@progbits
	.p2align	6, 0x0
	.amdhsa_kernel _ZN9rocsparseL32bsr2csr_block_per_row_2_7_kernelILj256ELj4E21rocsparse_complex_numIdEiiEEv20rocsparse_direction_T3_S4_21rocsparse_index_base_PKT1_PKT2_PKS4_S4_S5_PS6_PS9_PS4_
		.amdhsa_group_segment_fixed_size 0
		.amdhsa_private_segment_fixed_size 0
		.amdhsa_kernarg_size 72
		.amdhsa_user_sgpr_count 2
		.amdhsa_user_sgpr_dispatch_ptr 0
		.amdhsa_user_sgpr_queue_ptr 0
		.amdhsa_user_sgpr_kernarg_segment_ptr 1
		.amdhsa_user_sgpr_dispatch_id 0
		.amdhsa_user_sgpr_kernarg_preload_length 0
		.amdhsa_user_sgpr_kernarg_preload_offset 0
		.amdhsa_user_sgpr_private_segment_size 0
		.amdhsa_wavefront_size32 1
		.amdhsa_uses_dynamic_stack 0
		.amdhsa_enable_private_segment 0
		.amdhsa_system_sgpr_workgroup_id_x 1
		.amdhsa_system_sgpr_workgroup_id_y 0
		.amdhsa_system_sgpr_workgroup_id_z 0
		.amdhsa_system_sgpr_workgroup_info 0
		.amdhsa_system_vgpr_workitem_id 0
		.amdhsa_next_free_vgpr 28
		.amdhsa_next_free_sgpr 15
		.amdhsa_named_barrier_count 0
		.amdhsa_reserve_vcc 1
		.amdhsa_float_round_mode_32 0
		.amdhsa_float_round_mode_16_64 0
		.amdhsa_float_denorm_mode_32 3
		.amdhsa_float_denorm_mode_16_64 3
		.amdhsa_fp16_overflow 0
		.amdhsa_memory_ordered 1
		.amdhsa_forward_progress 1
		.amdhsa_inst_pref_size 6
		.amdhsa_round_robin_scheduling 0
		.amdhsa_exception_fp_ieee_invalid_op 0
		.amdhsa_exception_fp_denorm_src 0
		.amdhsa_exception_fp_ieee_div_zero 0
		.amdhsa_exception_fp_ieee_overflow 0
		.amdhsa_exception_fp_ieee_underflow 0
		.amdhsa_exception_fp_ieee_inexact 0
		.amdhsa_exception_int_div_zero 0
	.end_amdhsa_kernel
	.section	.text._ZN9rocsparseL32bsr2csr_block_per_row_2_7_kernelILj256ELj4E21rocsparse_complex_numIdEiiEEv20rocsparse_direction_T3_S4_21rocsparse_index_base_PKT1_PKT2_PKS4_S4_S5_PS6_PS9_PS4_,"axG",@progbits,_ZN9rocsparseL32bsr2csr_block_per_row_2_7_kernelILj256ELj4E21rocsparse_complex_numIdEiiEEv20rocsparse_direction_T3_S4_21rocsparse_index_base_PKT1_PKT2_PKS4_S4_S5_PS6_PS9_PS4_,comdat
.Lfunc_end263:
	.size	_ZN9rocsparseL32bsr2csr_block_per_row_2_7_kernelILj256ELj4E21rocsparse_complex_numIdEiiEEv20rocsparse_direction_T3_S4_21rocsparse_index_base_PKT1_PKT2_PKS4_S4_S5_PS6_PS9_PS4_, .Lfunc_end263-_ZN9rocsparseL32bsr2csr_block_per_row_2_7_kernelILj256ELj4E21rocsparse_complex_numIdEiiEEv20rocsparse_direction_T3_S4_21rocsparse_index_base_PKT1_PKT2_PKS4_S4_S5_PS6_PS9_PS4_
                                        ; -- End function
	.set _ZN9rocsparseL32bsr2csr_block_per_row_2_7_kernelILj256ELj4E21rocsparse_complex_numIdEiiEEv20rocsparse_direction_T3_S4_21rocsparse_index_base_PKT1_PKT2_PKS4_S4_S5_PS6_PS9_PS4_.num_vgpr, 28
	.set _ZN9rocsparseL32bsr2csr_block_per_row_2_7_kernelILj256ELj4E21rocsparse_complex_numIdEiiEEv20rocsparse_direction_T3_S4_21rocsparse_index_base_PKT1_PKT2_PKS4_S4_S5_PS6_PS9_PS4_.num_agpr, 0
	.set _ZN9rocsparseL32bsr2csr_block_per_row_2_7_kernelILj256ELj4E21rocsparse_complex_numIdEiiEEv20rocsparse_direction_T3_S4_21rocsparse_index_base_PKT1_PKT2_PKS4_S4_S5_PS6_PS9_PS4_.numbered_sgpr, 15
	.set _ZN9rocsparseL32bsr2csr_block_per_row_2_7_kernelILj256ELj4E21rocsparse_complex_numIdEiiEEv20rocsparse_direction_T3_S4_21rocsparse_index_base_PKT1_PKT2_PKS4_S4_S5_PS6_PS9_PS4_.num_named_barrier, 0
	.set _ZN9rocsparseL32bsr2csr_block_per_row_2_7_kernelILj256ELj4E21rocsparse_complex_numIdEiiEEv20rocsparse_direction_T3_S4_21rocsparse_index_base_PKT1_PKT2_PKS4_S4_S5_PS6_PS9_PS4_.private_seg_size, 0
	.set _ZN9rocsparseL32bsr2csr_block_per_row_2_7_kernelILj256ELj4E21rocsparse_complex_numIdEiiEEv20rocsparse_direction_T3_S4_21rocsparse_index_base_PKT1_PKT2_PKS4_S4_S5_PS6_PS9_PS4_.uses_vcc, 1
	.set _ZN9rocsparseL32bsr2csr_block_per_row_2_7_kernelILj256ELj4E21rocsparse_complex_numIdEiiEEv20rocsparse_direction_T3_S4_21rocsparse_index_base_PKT1_PKT2_PKS4_S4_S5_PS6_PS9_PS4_.uses_flat_scratch, 0
	.set _ZN9rocsparseL32bsr2csr_block_per_row_2_7_kernelILj256ELj4E21rocsparse_complex_numIdEiiEEv20rocsparse_direction_T3_S4_21rocsparse_index_base_PKT1_PKT2_PKS4_S4_S5_PS6_PS9_PS4_.has_dyn_sized_stack, 0
	.set _ZN9rocsparseL32bsr2csr_block_per_row_2_7_kernelILj256ELj4E21rocsparse_complex_numIdEiiEEv20rocsparse_direction_T3_S4_21rocsparse_index_base_PKT1_PKT2_PKS4_S4_S5_PS6_PS9_PS4_.has_recursion, 0
	.set _ZN9rocsparseL32bsr2csr_block_per_row_2_7_kernelILj256ELj4E21rocsparse_complex_numIdEiiEEv20rocsparse_direction_T3_S4_21rocsparse_index_base_PKT1_PKT2_PKS4_S4_S5_PS6_PS9_PS4_.has_indirect_call, 0
	.section	.AMDGPU.csdata,"",@progbits
; Kernel info:
; codeLenInByte = 680
; TotalNumSgprs: 17
; NumVgprs: 28
; ScratchSize: 0
; MemoryBound: 0
; FloatMode: 240
; IeeeMode: 1
; LDSByteSize: 0 bytes/workgroup (compile time only)
; SGPRBlocks: 0
; VGPRBlocks: 1
; NumSGPRsForWavesPerEU: 17
; NumVGPRsForWavesPerEU: 28
; NamedBarCnt: 0
; Occupancy: 16
; WaveLimiterHint : 0
; COMPUTE_PGM_RSRC2:SCRATCH_EN: 0
; COMPUTE_PGM_RSRC2:USER_SGPR: 2
; COMPUTE_PGM_RSRC2:TRAP_HANDLER: 0
; COMPUTE_PGM_RSRC2:TGID_X_EN: 1
; COMPUTE_PGM_RSRC2:TGID_Y_EN: 0
; COMPUTE_PGM_RSRC2:TGID_Z_EN: 0
; COMPUTE_PGM_RSRC2:TIDIG_COMP_CNT: 0
	.section	.text._ZN9rocsparseL32bsr2csr_block_per_row_2_7_kernelILj256ELj5E21rocsparse_complex_numIdEiiEEv20rocsparse_direction_T3_S4_21rocsparse_index_base_PKT1_PKT2_PKS4_S4_S5_PS6_PS9_PS4_,"axG",@progbits,_ZN9rocsparseL32bsr2csr_block_per_row_2_7_kernelILj256ELj5E21rocsparse_complex_numIdEiiEEv20rocsparse_direction_T3_S4_21rocsparse_index_base_PKT1_PKT2_PKS4_S4_S5_PS6_PS9_PS4_,comdat
	.globl	_ZN9rocsparseL32bsr2csr_block_per_row_2_7_kernelILj256ELj5E21rocsparse_complex_numIdEiiEEv20rocsparse_direction_T3_S4_21rocsparse_index_base_PKT1_PKT2_PKS4_S4_S5_PS6_PS9_PS4_ ; -- Begin function _ZN9rocsparseL32bsr2csr_block_per_row_2_7_kernelILj256ELj5E21rocsparse_complex_numIdEiiEEv20rocsparse_direction_T3_S4_21rocsparse_index_base_PKT1_PKT2_PKS4_S4_S5_PS6_PS9_PS4_
	.p2align	8
	.type	_ZN9rocsparseL32bsr2csr_block_per_row_2_7_kernelILj256ELj5E21rocsparse_complex_numIdEiiEEv20rocsparse_direction_T3_S4_21rocsparse_index_base_PKT1_PKT2_PKS4_S4_S5_PS6_PS9_PS4_,@function
_ZN9rocsparseL32bsr2csr_block_per_row_2_7_kernelILj256ELj5E21rocsparse_complex_numIdEiiEEv20rocsparse_direction_T3_S4_21rocsparse_index_base_PKT1_PKT2_PKS4_S4_S5_PS6_PS9_PS4_: ; @_ZN9rocsparseL32bsr2csr_block_per_row_2_7_kernelILj256ELj5E21rocsparse_complex_numIdEiiEEv20rocsparse_direction_T3_S4_21rocsparse_index_base_PKT1_PKT2_PKS4_S4_S5_PS6_PS9_PS4_
; %bb.0:
	s_clause 0x1
	s_load_b32 s12, s[0:1], 0x2c
	s_load_b64 s[2:3], s[0:1], 0x38
	s_bfe_u32 s4, ttmp6, 0x4000c
	s_and_b32 s5, ttmp6, 15
	s_add_co_i32 s4, s4, 1
	s_getreg_b32 s6, hwreg(HW_REG_IB_STS2, 6, 4)
	s_mul_i32 s4, ttmp9, s4
	s_delay_alu instid0(SALU_CYCLE_1) | instskip(SKIP_4) | instid1(VALU_DEP_1)
	s_add_co_i32 s5, s5, s4
	s_cmp_eq_u32 s6, 0
	s_cselect_b32 s4, ttmp9, s5
	s_mov_b32 s5, exec_lo
	v_or_b32_e32 v1, s4, v0
	v_cmpx_eq_u32_e32 0, v1
	s_cbranch_execz .LBB264_2
; %bb.1:
	s_wait_kmcnt 0x0
	v_dual_mov_b32 v1, 0 :: v_dual_mov_b32 v2, s12
	global_store_b32 v1, v2, s[2:3]
.LBB264_2:
	s_wait_xcnt 0x0
	s_or_b32 exec_lo, exec_lo, s5
	v_and_b32_e32 v1, 7, v0
	s_mov_b32 s5, exec_lo
	s_delay_alu instid0(VALU_DEP_1)
	v_cmpx_gt_u32_e32 5, v1
	s_cbranch_execz .LBB264_6
; %bb.3:
	s_clause 0x1
	s_load_b64 s[6:7], s[0:1], 0x18
	s_load_b32 s13, s[0:1], 0xc
	s_ashr_i32 s5, s4, 31
	v_lshrrev_b32_e32 v0, 3, v0
	s_lshl_b64 s[8:9], s[4:5], 2
	s_mul_i32 s4, s4, 5
	s_delay_alu instid0(SALU_CYCLE_1)
	v_add3_u32 v5, v1, s4, 1
	s_wait_kmcnt 0x0
	s_add_nc_u64 s[6:7], s[6:7], s[8:9]
	s_load_b64 s[10:11], s[6:7], 0x0
	s_wait_kmcnt 0x0
	s_sub_co_i32 s5, s10, s13
	s_sub_co_i32 s11, s11, s13
	v_add_nc_u32_e32 v2, s5, v0
	s_sub_co_i32 s6, s11, s5
	s_mul_i32 s7, s5, 25
	s_mul_i32 s6, s6, 5
	s_delay_alu instid0(SALU_CYCLE_1) | instskip(SKIP_2) | instid1(VALU_DEP_2)
	v_mul_lo_u32 v3, s6, v1
	s_add_co_i32 s6, s6, s12
	v_cmp_gt_i32_e32 vcc_lo, s11, v2
	v_add3_u32 v4, s6, s7, v3
	global_store_b32 v5, v4, s[2:3] scale_offset
	s_wait_xcnt 0x0
	s_and_b32 exec_lo, exec_lo, vcc_lo
	s_cbranch_execz .LBB264_6
; %bb.4:
	s_clause 0x2
	s_load_b64 s[2:3], s[0:1], 0x20
	s_load_b64 s[4:5], s[0:1], 0x30
	s_load_b32 s14, s[0:1], 0x0
	v_add_nc_u32_e32 v4, s10, v0
	v_mul_u32_u24_e32 v5, 5, v1
	s_clause 0x1
	s_load_b64 s[6:7], s[0:1], 0x10
	s_load_b64 s[8:9], s[0:1], 0x40
	v_mul_u32_u24_e32 v0, 5, v0
	s_wait_xcnt 0x0
	s_mul_i32 s0, s10, 25
	s_mov_b32 s1, 0
	v_mad_u32 v4, v4, 25, v5
	s_mov_b32 s10, 0
	v_add3_u32 v0, v3, s0, v0
	v_mad_u32 v3, v2, 25, v1
	s_mul_i32 s0, s13, 25
	s_delay_alu instid0(VALU_DEP_2) | instid1(SALU_CYCLE_1)
	v_subrev_nc_u32_e32 v0, s0, v0
	s_delay_alu instid0(VALU_DEP_4)
	v_subrev_nc_u32_e32 v4, s0, v4
	s_wait_kmcnt 0x0
	s_cmp_eq_u32 s14, 0
	s_cselect_b32 vcc_lo, -1, 0
.LBB264_5:                              ; =>This Inner Loop Header: Depth=1
	global_load_b32 v26, v2, s[2:3] scale_offset
	v_dual_add_nc_u32 v1, s10, v4 :: v_dual_add_nc_u32 v5, s10, v3
	s_addk_co_i32 s10, 0x320
	s_wait_xcnt 0x0
	s_delay_alu instid0(VALU_DEP_1) | instskip(SKIP_4) | instid1(VALU_DEP_3)
	v_dual_add_nc_u32 v2, 32, v2 :: v_dual_add_nc_u32 v6, 1, v1
	v_add_nc_u32_e32 v8, 2, v1
	v_dual_add_nc_u32 v7, 5, v5 :: v_dual_add_nc_u32 v9, 10, v5
	v_dual_add_nc_u32 v10, 3, v1 :: v_dual_add_nc_u32 v12, 4, v1
	;; [unrolled: 1-line block ×3, first 2 shown]
	v_dual_cndmask_b32 v1, v5, v1, vcc_lo :: v_dual_cndmask_b32 v5, v7, v6, vcc_lo
	s_delay_alu instid0(VALU_DEP_2) | instskip(NEXT) | instid1(VALU_DEP_3)
	v_dual_cndmask_b32 v27, v9, v8 :: v_dual_cndmask_b32 v28, v11, v10
	v_cndmask_b32_e32 v29, v13, v12, vcc_lo
	s_clause 0x4
	global_load_b128 v[6:9], v1, s[6:7] scale_offset
	global_load_b128 v[10:13], v5, s[6:7] scale_offset
	;; [unrolled: 1-line block ×5, first 2 shown]
	v_cmp_le_i32_e64 s0, s11, v2
	s_wait_loadcnt 0x4
	global_store_b128 v0, v[6:9], s[4:5] scale_offset
	s_wait_loadcnt 0x3
	global_store_b128 v0, v[10:13], s[4:5] offset:16 scale_offset
	s_wait_loadcnt 0x2
	global_store_b128 v0, v[14:17], s[4:5] offset:32 scale_offset
	;; [unrolled: 2-line block ×3, first 2 shown]
	s_wait_xcnt 0x7
	v_subrev_nc_u32_e32 v5, s13, v26
	s_or_b32 s1, s0, s1
	s_delay_alu instid0(VALU_DEP_1) | instskip(SKIP_1) | instid1(VALU_DEP_1)
	v_mad_u32 v26, v5, 5, s12
	s_wait_xcnt 0x6
	v_dual_ashrrev_i32 v1, 31, v0 :: v_dual_add_nc_u32 v27, 1, v26
	s_delay_alu instid0(VALU_DEP_1)
	v_lshl_add_u64 v[30:31], v[0:1], 2, s[8:9]
	s_wait_xcnt 0x5
	v_dual_add_nc_u32 v1, 4, v26 :: v_dual_add_nc_u32 v28, 2, v26
	s_wait_xcnt 0x4
	v_add_nc_u32_e32 v29, 3, v26
	global_store_b32 v0, v1, s[8:9] offset:16 scale_offset
	s_wait_loadcnt 0x0
	global_store_b128 v0, v[22:25], s[4:5] offset:64 scale_offset
	s_wait_xcnt 0x0
	v_add_nc_u32_e32 v0, 0xa0, v0
	global_store_b128 v[30:31], v[26:29], off
	s_wait_xcnt 0x0
	s_and_not1_b32 exec_lo, exec_lo, s1
	s_cbranch_execnz .LBB264_5
.LBB264_6:
	s_endpgm
	.section	.rodata,"a",@progbits
	.p2align	6, 0x0
	.amdhsa_kernel _ZN9rocsparseL32bsr2csr_block_per_row_2_7_kernelILj256ELj5E21rocsparse_complex_numIdEiiEEv20rocsparse_direction_T3_S4_21rocsparse_index_base_PKT1_PKT2_PKS4_S4_S5_PS6_PS9_PS4_
		.amdhsa_group_segment_fixed_size 0
		.amdhsa_private_segment_fixed_size 0
		.amdhsa_kernarg_size 72
		.amdhsa_user_sgpr_count 2
		.amdhsa_user_sgpr_dispatch_ptr 0
		.amdhsa_user_sgpr_queue_ptr 0
		.amdhsa_user_sgpr_kernarg_segment_ptr 1
		.amdhsa_user_sgpr_dispatch_id 0
		.amdhsa_user_sgpr_kernarg_preload_length 0
		.amdhsa_user_sgpr_kernarg_preload_offset 0
		.amdhsa_user_sgpr_private_segment_size 0
		.amdhsa_wavefront_size32 1
		.amdhsa_uses_dynamic_stack 0
		.amdhsa_enable_private_segment 0
		.amdhsa_system_sgpr_workgroup_id_x 1
		.amdhsa_system_sgpr_workgroup_id_y 0
		.amdhsa_system_sgpr_workgroup_id_z 0
		.amdhsa_system_sgpr_workgroup_info 0
		.amdhsa_system_vgpr_workitem_id 0
		.amdhsa_next_free_vgpr 32
		.amdhsa_next_free_sgpr 15
		.amdhsa_named_barrier_count 0
		.amdhsa_reserve_vcc 1
		.amdhsa_float_round_mode_32 0
		.amdhsa_float_round_mode_16_64 0
		.amdhsa_float_denorm_mode_32 3
		.amdhsa_float_denorm_mode_16_64 3
		.amdhsa_fp16_overflow 0
		.amdhsa_memory_ordered 1
		.amdhsa_forward_progress 1
		.amdhsa_inst_pref_size 7
		.amdhsa_round_robin_scheduling 0
		.amdhsa_exception_fp_ieee_invalid_op 0
		.amdhsa_exception_fp_denorm_src 0
		.amdhsa_exception_fp_ieee_div_zero 0
		.amdhsa_exception_fp_ieee_overflow 0
		.amdhsa_exception_fp_ieee_underflow 0
		.amdhsa_exception_fp_ieee_inexact 0
		.amdhsa_exception_int_div_zero 0
	.end_amdhsa_kernel
	.section	.text._ZN9rocsparseL32bsr2csr_block_per_row_2_7_kernelILj256ELj5E21rocsparse_complex_numIdEiiEEv20rocsparse_direction_T3_S4_21rocsparse_index_base_PKT1_PKT2_PKS4_S4_S5_PS6_PS9_PS4_,"axG",@progbits,_ZN9rocsparseL32bsr2csr_block_per_row_2_7_kernelILj256ELj5E21rocsparse_complex_numIdEiiEEv20rocsparse_direction_T3_S4_21rocsparse_index_base_PKT1_PKT2_PKS4_S4_S5_PS6_PS9_PS4_,comdat
.Lfunc_end264:
	.size	_ZN9rocsparseL32bsr2csr_block_per_row_2_7_kernelILj256ELj5E21rocsparse_complex_numIdEiiEEv20rocsparse_direction_T3_S4_21rocsparse_index_base_PKT1_PKT2_PKS4_S4_S5_PS6_PS9_PS4_, .Lfunc_end264-_ZN9rocsparseL32bsr2csr_block_per_row_2_7_kernelILj256ELj5E21rocsparse_complex_numIdEiiEEv20rocsparse_direction_T3_S4_21rocsparse_index_base_PKT1_PKT2_PKS4_S4_S5_PS6_PS9_PS4_
                                        ; -- End function
	.set _ZN9rocsparseL32bsr2csr_block_per_row_2_7_kernelILj256ELj5E21rocsparse_complex_numIdEiiEEv20rocsparse_direction_T3_S4_21rocsparse_index_base_PKT1_PKT2_PKS4_S4_S5_PS6_PS9_PS4_.num_vgpr, 32
	.set _ZN9rocsparseL32bsr2csr_block_per_row_2_7_kernelILj256ELj5E21rocsparse_complex_numIdEiiEEv20rocsparse_direction_T3_S4_21rocsparse_index_base_PKT1_PKT2_PKS4_S4_S5_PS6_PS9_PS4_.num_agpr, 0
	.set _ZN9rocsparseL32bsr2csr_block_per_row_2_7_kernelILj256ELj5E21rocsparse_complex_numIdEiiEEv20rocsparse_direction_T3_S4_21rocsparse_index_base_PKT1_PKT2_PKS4_S4_S5_PS6_PS9_PS4_.numbered_sgpr, 15
	.set _ZN9rocsparseL32bsr2csr_block_per_row_2_7_kernelILj256ELj5E21rocsparse_complex_numIdEiiEEv20rocsparse_direction_T3_S4_21rocsparse_index_base_PKT1_PKT2_PKS4_S4_S5_PS6_PS9_PS4_.num_named_barrier, 0
	.set _ZN9rocsparseL32bsr2csr_block_per_row_2_7_kernelILj256ELj5E21rocsparse_complex_numIdEiiEEv20rocsparse_direction_T3_S4_21rocsparse_index_base_PKT1_PKT2_PKS4_S4_S5_PS6_PS9_PS4_.private_seg_size, 0
	.set _ZN9rocsparseL32bsr2csr_block_per_row_2_7_kernelILj256ELj5E21rocsparse_complex_numIdEiiEEv20rocsparse_direction_T3_S4_21rocsparse_index_base_PKT1_PKT2_PKS4_S4_S5_PS6_PS9_PS4_.uses_vcc, 1
	.set _ZN9rocsparseL32bsr2csr_block_per_row_2_7_kernelILj256ELj5E21rocsparse_complex_numIdEiiEEv20rocsparse_direction_T3_S4_21rocsparse_index_base_PKT1_PKT2_PKS4_S4_S5_PS6_PS9_PS4_.uses_flat_scratch, 0
	.set _ZN9rocsparseL32bsr2csr_block_per_row_2_7_kernelILj256ELj5E21rocsparse_complex_numIdEiiEEv20rocsparse_direction_T3_S4_21rocsparse_index_base_PKT1_PKT2_PKS4_S4_S5_PS6_PS9_PS4_.has_dyn_sized_stack, 0
	.set _ZN9rocsparseL32bsr2csr_block_per_row_2_7_kernelILj256ELj5E21rocsparse_complex_numIdEiiEEv20rocsparse_direction_T3_S4_21rocsparse_index_base_PKT1_PKT2_PKS4_S4_S5_PS6_PS9_PS4_.has_recursion, 0
	.set _ZN9rocsparseL32bsr2csr_block_per_row_2_7_kernelILj256ELj5E21rocsparse_complex_numIdEiiEEv20rocsparse_direction_T3_S4_21rocsparse_index_base_PKT1_PKT2_PKS4_S4_S5_PS6_PS9_PS4_.has_indirect_call, 0
	.section	.AMDGPU.csdata,"",@progbits
; Kernel info:
; codeLenInByte = 800
; TotalNumSgprs: 17
; NumVgprs: 32
; ScratchSize: 0
; MemoryBound: 0
; FloatMode: 240
; IeeeMode: 1
; LDSByteSize: 0 bytes/workgroup (compile time only)
; SGPRBlocks: 0
; VGPRBlocks: 1
; NumSGPRsForWavesPerEU: 17
; NumVGPRsForWavesPerEU: 32
; NamedBarCnt: 0
; Occupancy: 16
; WaveLimiterHint : 0
; COMPUTE_PGM_RSRC2:SCRATCH_EN: 0
; COMPUTE_PGM_RSRC2:USER_SGPR: 2
; COMPUTE_PGM_RSRC2:TRAP_HANDLER: 0
; COMPUTE_PGM_RSRC2:TGID_X_EN: 1
; COMPUTE_PGM_RSRC2:TGID_Y_EN: 0
; COMPUTE_PGM_RSRC2:TGID_Z_EN: 0
; COMPUTE_PGM_RSRC2:TIDIG_COMP_CNT: 0
	.section	.text._ZN9rocsparseL32bsr2csr_block_per_row_2_7_kernelILj256ELj6E21rocsparse_complex_numIdEiiEEv20rocsparse_direction_T3_S4_21rocsparse_index_base_PKT1_PKT2_PKS4_S4_S5_PS6_PS9_PS4_,"axG",@progbits,_ZN9rocsparseL32bsr2csr_block_per_row_2_7_kernelILj256ELj6E21rocsparse_complex_numIdEiiEEv20rocsparse_direction_T3_S4_21rocsparse_index_base_PKT1_PKT2_PKS4_S4_S5_PS6_PS9_PS4_,comdat
	.globl	_ZN9rocsparseL32bsr2csr_block_per_row_2_7_kernelILj256ELj6E21rocsparse_complex_numIdEiiEEv20rocsparse_direction_T3_S4_21rocsparse_index_base_PKT1_PKT2_PKS4_S4_S5_PS6_PS9_PS4_ ; -- Begin function _ZN9rocsparseL32bsr2csr_block_per_row_2_7_kernelILj256ELj6E21rocsparse_complex_numIdEiiEEv20rocsparse_direction_T3_S4_21rocsparse_index_base_PKT1_PKT2_PKS4_S4_S5_PS6_PS9_PS4_
	.p2align	8
	.type	_ZN9rocsparseL32bsr2csr_block_per_row_2_7_kernelILj256ELj6E21rocsparse_complex_numIdEiiEEv20rocsparse_direction_T3_S4_21rocsparse_index_base_PKT1_PKT2_PKS4_S4_S5_PS6_PS9_PS4_,@function
_ZN9rocsparseL32bsr2csr_block_per_row_2_7_kernelILj256ELj6E21rocsparse_complex_numIdEiiEEv20rocsparse_direction_T3_S4_21rocsparse_index_base_PKT1_PKT2_PKS4_S4_S5_PS6_PS9_PS4_: ; @_ZN9rocsparseL32bsr2csr_block_per_row_2_7_kernelILj256ELj6E21rocsparse_complex_numIdEiiEEv20rocsparse_direction_T3_S4_21rocsparse_index_base_PKT1_PKT2_PKS4_S4_S5_PS6_PS9_PS4_
; %bb.0:
	s_clause 0x1
	s_load_b32 s12, s[0:1], 0x2c
	s_load_b64 s[2:3], s[0:1], 0x38
	s_bfe_u32 s4, ttmp6, 0x4000c
	s_and_b32 s5, ttmp6, 15
	s_add_co_i32 s4, s4, 1
	s_getreg_b32 s6, hwreg(HW_REG_IB_STS2, 6, 4)
	s_mul_i32 s4, ttmp9, s4
	s_delay_alu instid0(SALU_CYCLE_1) | instskip(SKIP_4) | instid1(VALU_DEP_1)
	s_add_co_i32 s5, s5, s4
	s_cmp_eq_u32 s6, 0
	s_cselect_b32 s4, ttmp9, s5
	s_mov_b32 s5, exec_lo
	v_or_b32_e32 v1, s4, v0
	v_cmpx_eq_u32_e32 0, v1
	s_cbranch_execz .LBB265_2
; %bb.1:
	s_wait_kmcnt 0x0
	v_dual_mov_b32 v1, 0 :: v_dual_mov_b32 v2, s12
	global_store_b32 v1, v2, s[2:3]
.LBB265_2:
	s_wait_xcnt 0x0
	s_or_b32 exec_lo, exec_lo, s5
	v_and_b32_e32 v1, 7, v0
	s_mov_b32 s5, exec_lo
	s_delay_alu instid0(VALU_DEP_1)
	v_cmpx_gt_u32_e32 6, v1
	s_cbranch_execz .LBB265_6
; %bb.3:
	s_clause 0x1
	s_load_b64 s[6:7], s[0:1], 0x18
	s_load_b32 s13, s[0:1], 0xc
	s_ashr_i32 s5, s4, 31
	v_lshrrev_b32_e32 v0, 3, v0
	s_lshl_b64 s[8:9], s[4:5], 2
	s_mul_i32 s4, s4, 6
	s_delay_alu instid0(SALU_CYCLE_1)
	v_add3_u32 v5, v1, s4, 1
	s_wait_kmcnt 0x0
	s_add_nc_u64 s[6:7], s[6:7], s[8:9]
	s_load_b64 s[10:11], s[6:7], 0x0
	s_wait_kmcnt 0x0
	s_sub_co_i32 s5, s10, s13
	s_sub_co_i32 s11, s11, s13
	v_add_nc_u32_e32 v2, s5, v0
	s_sub_co_i32 s6, s11, s5
	s_mul_i32 s7, s5, 36
	s_mul_i32 s6, s6, 6
	s_delay_alu instid0(SALU_CYCLE_1) | instskip(SKIP_2) | instid1(VALU_DEP_2)
	v_mul_lo_u32 v4, s6, v1
	s_add_co_i32 s6, s6, s12
	v_cmp_gt_i32_e32 vcc_lo, s11, v2
	v_add3_u32 v3, s6, s7, v4
	global_store_b32 v5, v3, s[2:3] scale_offset
	s_wait_xcnt 0x0
	s_and_b32 exec_lo, exec_lo, vcc_lo
	s_cbranch_execz .LBB265_6
; %bb.4:
	s_clause 0x4
	s_load_b64 s[2:3], s[0:1], 0x20
	s_load_b64 s[4:5], s[0:1], 0x30
	s_load_b32 s14, s[0:1], 0x0
	s_load_b64 s[6:7], s[0:1], 0x10
	s_load_b64 s[8:9], s[0:1], 0x40
	v_mul_u32_u24_e32 v0, 6, v0
	s_wait_xcnt 0x0
	s_mul_i32 s0, s10, 36
	v_mad_u32 v3, v2, 36, v1
	s_mov_b32 s1, 0
	v_add3_u32 v0, v4, s0, v0
	s_mul_i32 s0, s13, 36
	v_mul_u32_u24_e32 v4, 5, v1
	s_delay_alu instid0(VALU_DEP_2)
	v_subrev_nc_u32_e32 v0, s0, v0
	s_wait_kmcnt 0x0
	s_cmp_eq_u32 s14, 0
	s_cselect_b32 vcc_lo, -1, 0
.LBB265_5:                              ; =>This Inner Loop Header: Depth=1
	global_load_b32 v5, v2, s[2:3] scale_offset
	v_dual_add_nc_u32 v1, v4, v3 :: v_dual_add_nc_u32 v6, 6, v3
	v_dual_add_nc_u32 v7, 12, v3 :: v_dual_add_nc_u32 v8, 18, v3
	;; [unrolled: 1-line block ×3, first 2 shown]
	s_delay_alu instid0(VALU_DEP_3) | instskip(SKIP_2) | instid1(VALU_DEP_2)
	v_dual_cndmask_b32 v30, v3, v1 :: v_dual_add_nc_u32 v11, 1, v1
	v_dual_add_nc_u32 v12, 2, v1 :: v_dual_add_nc_u32 v13, 3, v1
	v_dual_add_nc_u32 v14, 4, v1 :: v_dual_add_nc_u32 v1, 5, v1
	v_dual_cndmask_b32 v31, v6, v11 :: v_dual_cndmask_b32 v32, v7, v12
	s_delay_alu instid0(VALU_DEP_2) | instskip(SKIP_1) | instid1(VALU_DEP_3)
	v_dual_cndmask_b32 v33, v8, v13 :: v_dual_cndmask_b32 v34, v9, v14
	s_wait_xcnt 0x0
	v_dual_cndmask_b32 v1, v10, v1 :: v_dual_add_nc_u32 v2, 32, v2
	s_clause 0x5
	global_load_b128 v[6:9], v30, s[6:7] scale_offset
	global_load_b128 v[10:13], v31, s[6:7] scale_offset
	;; [unrolled: 1-line block ×6, first 2 shown]
	s_wait_xcnt 0x0
	v_ashrrev_i32_e32 v1, 31, v0
	v_add_nc_u32_e32 v3, 0x480, v3
	s_wait_loadcnt 0x5
	global_store_b128 v0, v[6:9], s[4:5] scale_offset
	s_wait_loadcnt 0x4
	global_store_b128 v0, v[10:13], s[4:5] offset:16 scale_offset
	s_wait_loadcnt 0x3
	global_store_b128 v0, v[14:17], s[4:5] offset:32 scale_offset
	s_wait_loadcnt 0x2
	global_store_b128 v0, v[18:21], s[4:5] offset:48 scale_offset
	s_wait_loadcnt 0x1
	global_store_b128 v0, v[22:25], s[4:5] offset:64 scale_offset
	s_wait_loadcnt 0x0
	global_store_b128 v0, v[26:29], s[4:5] offset:80 scale_offset
	v_lshl_add_u64 v[34:35], v[0:1], 2, s[8:9]
	v_subrev_nc_u32_e32 v1, s13, v5
	v_cmp_le_i32_e64 s0, s11, v2
	s_wait_xcnt 0x0
	v_add_nc_u32_e32 v0, 0xc0, v0
	s_delay_alu instid0(VALU_DEP_3) | instskip(SKIP_1) | instid1(VALU_DEP_1)
	v_mad_u32 v30, v1, 6, s12
	s_or_b32 s1, s0, s1
	v_dual_add_nc_u32 v31, 1, v30 :: v_dual_add_nc_u32 v32, 2, v30
	v_dual_add_nc_u32 v33, 3, v30 :: v_dual_add_nc_u32 v6, 4, v30
	v_add_nc_u32_e32 v7, 5, v30
	s_clause 0x1
	global_store_b128 v[34:35], v[30:33], off
	global_store_b64 v[34:35], v[6:7], off offset:16
	s_wait_xcnt 0x0
	s_and_not1_b32 exec_lo, exec_lo, s1
	s_cbranch_execnz .LBB265_5
.LBB265_6:
	s_endpgm
	.section	.rodata,"a",@progbits
	.p2align	6, 0x0
	.amdhsa_kernel _ZN9rocsparseL32bsr2csr_block_per_row_2_7_kernelILj256ELj6E21rocsparse_complex_numIdEiiEEv20rocsparse_direction_T3_S4_21rocsparse_index_base_PKT1_PKT2_PKS4_S4_S5_PS6_PS9_PS4_
		.amdhsa_group_segment_fixed_size 0
		.amdhsa_private_segment_fixed_size 0
		.amdhsa_kernarg_size 72
		.amdhsa_user_sgpr_count 2
		.amdhsa_user_sgpr_dispatch_ptr 0
		.amdhsa_user_sgpr_queue_ptr 0
		.amdhsa_user_sgpr_kernarg_segment_ptr 1
		.amdhsa_user_sgpr_dispatch_id 0
		.amdhsa_user_sgpr_kernarg_preload_length 0
		.amdhsa_user_sgpr_kernarg_preload_offset 0
		.amdhsa_user_sgpr_private_segment_size 0
		.amdhsa_wavefront_size32 1
		.amdhsa_uses_dynamic_stack 0
		.amdhsa_enable_private_segment 0
		.amdhsa_system_sgpr_workgroup_id_x 1
		.amdhsa_system_sgpr_workgroup_id_y 0
		.amdhsa_system_sgpr_workgroup_id_z 0
		.amdhsa_system_sgpr_workgroup_info 0
		.amdhsa_system_vgpr_workitem_id 0
		.amdhsa_next_free_vgpr 36
		.amdhsa_next_free_sgpr 15
		.amdhsa_named_barrier_count 0
		.amdhsa_reserve_vcc 1
		.amdhsa_float_round_mode_32 0
		.amdhsa_float_round_mode_16_64 0
		.amdhsa_float_denorm_mode_32 3
		.amdhsa_float_denorm_mode_16_64 3
		.amdhsa_fp16_overflow 0
		.amdhsa_memory_ordered 1
		.amdhsa_forward_progress 1
		.amdhsa_inst_pref_size 7
		.amdhsa_round_robin_scheduling 0
		.amdhsa_exception_fp_ieee_invalid_op 0
		.amdhsa_exception_fp_denorm_src 0
		.amdhsa_exception_fp_ieee_div_zero 0
		.amdhsa_exception_fp_ieee_overflow 0
		.amdhsa_exception_fp_ieee_underflow 0
		.amdhsa_exception_fp_ieee_inexact 0
		.amdhsa_exception_int_div_zero 0
	.end_amdhsa_kernel
	.section	.text._ZN9rocsparseL32bsr2csr_block_per_row_2_7_kernelILj256ELj6E21rocsparse_complex_numIdEiiEEv20rocsparse_direction_T3_S4_21rocsparse_index_base_PKT1_PKT2_PKS4_S4_S5_PS6_PS9_PS4_,"axG",@progbits,_ZN9rocsparseL32bsr2csr_block_per_row_2_7_kernelILj256ELj6E21rocsparse_complex_numIdEiiEEv20rocsparse_direction_T3_S4_21rocsparse_index_base_PKT1_PKT2_PKS4_S4_S5_PS6_PS9_PS4_,comdat
.Lfunc_end265:
	.size	_ZN9rocsparseL32bsr2csr_block_per_row_2_7_kernelILj256ELj6E21rocsparse_complex_numIdEiiEEv20rocsparse_direction_T3_S4_21rocsparse_index_base_PKT1_PKT2_PKS4_S4_S5_PS6_PS9_PS4_, .Lfunc_end265-_ZN9rocsparseL32bsr2csr_block_per_row_2_7_kernelILj256ELj6E21rocsparse_complex_numIdEiiEEv20rocsparse_direction_T3_S4_21rocsparse_index_base_PKT1_PKT2_PKS4_S4_S5_PS6_PS9_PS4_
                                        ; -- End function
	.set _ZN9rocsparseL32bsr2csr_block_per_row_2_7_kernelILj256ELj6E21rocsparse_complex_numIdEiiEEv20rocsparse_direction_T3_S4_21rocsparse_index_base_PKT1_PKT2_PKS4_S4_S5_PS6_PS9_PS4_.num_vgpr, 36
	.set _ZN9rocsparseL32bsr2csr_block_per_row_2_7_kernelILj256ELj6E21rocsparse_complex_numIdEiiEEv20rocsparse_direction_T3_S4_21rocsparse_index_base_PKT1_PKT2_PKS4_S4_S5_PS6_PS9_PS4_.num_agpr, 0
	.set _ZN9rocsparseL32bsr2csr_block_per_row_2_7_kernelILj256ELj6E21rocsparse_complex_numIdEiiEEv20rocsparse_direction_T3_S4_21rocsparse_index_base_PKT1_PKT2_PKS4_S4_S5_PS6_PS9_PS4_.numbered_sgpr, 15
	.set _ZN9rocsparseL32bsr2csr_block_per_row_2_7_kernelILj256ELj6E21rocsparse_complex_numIdEiiEEv20rocsparse_direction_T3_S4_21rocsparse_index_base_PKT1_PKT2_PKS4_S4_S5_PS6_PS9_PS4_.num_named_barrier, 0
	.set _ZN9rocsparseL32bsr2csr_block_per_row_2_7_kernelILj256ELj6E21rocsparse_complex_numIdEiiEEv20rocsparse_direction_T3_S4_21rocsparse_index_base_PKT1_PKT2_PKS4_S4_S5_PS6_PS9_PS4_.private_seg_size, 0
	.set _ZN9rocsparseL32bsr2csr_block_per_row_2_7_kernelILj256ELj6E21rocsparse_complex_numIdEiiEEv20rocsparse_direction_T3_S4_21rocsparse_index_base_PKT1_PKT2_PKS4_S4_S5_PS6_PS9_PS4_.uses_vcc, 1
	.set _ZN9rocsparseL32bsr2csr_block_per_row_2_7_kernelILj256ELj6E21rocsparse_complex_numIdEiiEEv20rocsparse_direction_T3_S4_21rocsparse_index_base_PKT1_PKT2_PKS4_S4_S5_PS6_PS9_PS4_.uses_flat_scratch, 0
	.set _ZN9rocsparseL32bsr2csr_block_per_row_2_7_kernelILj256ELj6E21rocsparse_complex_numIdEiiEEv20rocsparse_direction_T3_S4_21rocsparse_index_base_PKT1_PKT2_PKS4_S4_S5_PS6_PS9_PS4_.has_dyn_sized_stack, 0
	.set _ZN9rocsparseL32bsr2csr_block_per_row_2_7_kernelILj256ELj6E21rocsparse_complex_numIdEiiEEv20rocsparse_direction_T3_S4_21rocsparse_index_base_PKT1_PKT2_PKS4_S4_S5_PS6_PS9_PS4_.has_recursion, 0
	.set _ZN9rocsparseL32bsr2csr_block_per_row_2_7_kernelILj256ELj6E21rocsparse_complex_numIdEiiEEv20rocsparse_direction_T3_S4_21rocsparse_index_base_PKT1_PKT2_PKS4_S4_S5_PS6_PS9_PS4_.has_indirect_call, 0
	.section	.AMDGPU.csdata,"",@progbits
; Kernel info:
; codeLenInByte = 800
; TotalNumSgprs: 17
; NumVgprs: 36
; ScratchSize: 0
; MemoryBound: 0
; FloatMode: 240
; IeeeMode: 1
; LDSByteSize: 0 bytes/workgroup (compile time only)
; SGPRBlocks: 0
; VGPRBlocks: 2
; NumSGPRsForWavesPerEU: 17
; NumVGPRsForWavesPerEU: 36
; NamedBarCnt: 0
; Occupancy: 16
; WaveLimiterHint : 0
; COMPUTE_PGM_RSRC2:SCRATCH_EN: 0
; COMPUTE_PGM_RSRC2:USER_SGPR: 2
; COMPUTE_PGM_RSRC2:TRAP_HANDLER: 0
; COMPUTE_PGM_RSRC2:TGID_X_EN: 1
; COMPUTE_PGM_RSRC2:TGID_Y_EN: 0
; COMPUTE_PGM_RSRC2:TGID_Z_EN: 0
; COMPUTE_PGM_RSRC2:TIDIG_COMP_CNT: 0
	.section	.text._ZN9rocsparseL32bsr2csr_block_per_row_2_7_kernelILj256ELj7E21rocsparse_complex_numIdEiiEEv20rocsparse_direction_T3_S4_21rocsparse_index_base_PKT1_PKT2_PKS4_S4_S5_PS6_PS9_PS4_,"axG",@progbits,_ZN9rocsparseL32bsr2csr_block_per_row_2_7_kernelILj256ELj7E21rocsparse_complex_numIdEiiEEv20rocsparse_direction_T3_S4_21rocsparse_index_base_PKT1_PKT2_PKS4_S4_S5_PS6_PS9_PS4_,comdat
	.globl	_ZN9rocsparseL32bsr2csr_block_per_row_2_7_kernelILj256ELj7E21rocsparse_complex_numIdEiiEEv20rocsparse_direction_T3_S4_21rocsparse_index_base_PKT1_PKT2_PKS4_S4_S5_PS6_PS9_PS4_ ; -- Begin function _ZN9rocsparseL32bsr2csr_block_per_row_2_7_kernelILj256ELj7E21rocsparse_complex_numIdEiiEEv20rocsparse_direction_T3_S4_21rocsparse_index_base_PKT1_PKT2_PKS4_S4_S5_PS6_PS9_PS4_
	.p2align	8
	.type	_ZN9rocsparseL32bsr2csr_block_per_row_2_7_kernelILj256ELj7E21rocsparse_complex_numIdEiiEEv20rocsparse_direction_T3_S4_21rocsparse_index_base_PKT1_PKT2_PKS4_S4_S5_PS6_PS9_PS4_,@function
_ZN9rocsparseL32bsr2csr_block_per_row_2_7_kernelILj256ELj7E21rocsparse_complex_numIdEiiEEv20rocsparse_direction_T3_S4_21rocsparse_index_base_PKT1_PKT2_PKS4_S4_S5_PS6_PS9_PS4_: ; @_ZN9rocsparseL32bsr2csr_block_per_row_2_7_kernelILj256ELj7E21rocsparse_complex_numIdEiiEEv20rocsparse_direction_T3_S4_21rocsparse_index_base_PKT1_PKT2_PKS4_S4_S5_PS6_PS9_PS4_
; %bb.0:
	s_clause 0x1
	s_load_b32 s12, s[0:1], 0x2c
	s_load_b64 s[2:3], s[0:1], 0x38
	s_bfe_u32 s4, ttmp6, 0x4000c
	s_and_b32 s5, ttmp6, 15
	s_add_co_i32 s4, s4, 1
	s_getreg_b32 s6, hwreg(HW_REG_IB_STS2, 6, 4)
	s_mul_i32 s4, ttmp9, s4
	s_delay_alu instid0(SALU_CYCLE_1) | instskip(SKIP_4) | instid1(VALU_DEP_1)
	s_add_co_i32 s5, s5, s4
	s_cmp_eq_u32 s6, 0
	s_cselect_b32 s4, ttmp9, s5
	s_mov_b32 s5, exec_lo
	v_or_b32_e32 v1, s4, v0
	v_cmpx_eq_u32_e32 0, v1
	s_cbranch_execz .LBB266_2
; %bb.1:
	s_wait_kmcnt 0x0
	v_dual_mov_b32 v1, 0 :: v_dual_mov_b32 v2, s12
	global_store_b32 v1, v2, s[2:3]
.LBB266_2:
	s_wait_xcnt 0x0
	s_or_b32 exec_lo, exec_lo, s5
	v_and_b32_e32 v1, 7, v0
	s_mov_b32 s5, exec_lo
	s_delay_alu instid0(VALU_DEP_1)
	v_cmpx_ne_u32_e32 7, v1
	s_cbranch_execz .LBB266_6
; %bb.3:
	s_clause 0x1
	s_load_b64 s[6:7], s[0:1], 0x18
	s_load_b32 s13, s[0:1], 0xc
	s_ashr_i32 s5, s4, 31
	v_lshrrev_b32_e32 v0, 3, v0
	s_lshl_b64 s[8:9], s[4:5], 2
	s_mul_i32 s4, s4, 7
	s_delay_alu instid0(SALU_CYCLE_1)
	v_add3_u32 v5, v1, s4, 1
	s_wait_kmcnt 0x0
	s_add_nc_u64 s[6:7], s[6:7], s[8:9]
	s_load_b64 s[10:11], s[6:7], 0x0
	s_wait_kmcnt 0x0
	s_sub_co_i32 s5, s10, s13
	s_sub_co_i32 s11, s11, s13
	v_add_nc_u32_e32 v2, s5, v0
	s_sub_co_i32 s6, s11, s5
	s_mul_i32 s7, s5, 49
	s_mul_i32 s6, s6, 7
	s_delay_alu instid0(SALU_CYCLE_1) | instskip(SKIP_2) | instid1(VALU_DEP_2)
	v_mul_lo_u32 v4, s6, v1
	s_add_co_i32 s6, s6, s12
	v_cmp_gt_i32_e32 vcc_lo, s11, v2
	v_add3_u32 v3, s6, s7, v4
	global_store_b32 v5, v3, s[2:3] scale_offset
	s_wait_xcnt 0x0
	s_and_b32 exec_lo, exec_lo, vcc_lo
	s_cbranch_execz .LBB266_6
; %bb.4:
	s_clause 0x4
	s_load_b64 s[2:3], s[0:1], 0x20
	s_load_b64 s[4:5], s[0:1], 0x30
	s_load_b32 s14, s[0:1], 0x0
	s_load_b64 s[6:7], s[0:1], 0x10
	s_load_b64 s[8:9], s[0:1], 0x40
	v_mul_u32_u24_e32 v0, 7, v0
	s_wait_xcnt 0x0
	s_mul_i32 s0, s10, 49
	v_mad_u32 v3, v2, 49, v1
	s_mov_b32 s1, 0
	v_add3_u32 v0, v4, s0, v0
	s_mul_i32 s0, s13, 49
	v_mul_u32_u24_e32 v4, 6, v1
	s_delay_alu instid0(VALU_DEP_2)
	v_subrev_nc_u32_e32 v0, s0, v0
	s_wait_kmcnt 0x0
	s_cmp_eq_u32 s14, 0
	s_cselect_b32 vcc_lo, -1, 0
.LBB266_5:                              ; =>This Inner Loop Header: Depth=1
	global_load_b32 v5, v2, s[2:3] scale_offset
	v_dual_add_nc_u32 v1, v4, v3 :: v_dual_add_nc_u32 v6, 7, v3
	v_dual_add_nc_u32 v7, 14, v3 :: v_dual_add_nc_u32 v8, 21, v3
	;; [unrolled: 1-line block ×3, first 2 shown]
	s_delay_alu instid0(VALU_DEP_3) | instskip(SKIP_3) | instid1(VALU_DEP_4)
	v_dual_add_nc_u32 v12, 1, v1 :: v_dual_add_nc_u32 v13, 2, v1
	v_dual_add_nc_u32 v14, 3, v1 :: v_dual_add_nc_u32 v15, 4, v1
	v_dual_cndmask_b32 v34, v3, v1 :: v_dual_add_nc_u32 v11, 42, v3
	v_dual_add_nc_u32 v16, 5, v1 :: v_dual_add_nc_u32 v1, 6, v1
	v_dual_cndmask_b32 v35, v6, v12 :: v_dual_cndmask_b32 v36, v7, v13
	s_delay_alu instid0(VALU_DEP_4) | instskip(NEXT) | instid1(VALU_DEP_3)
	v_dual_cndmask_b32 v37, v8, v14 :: v_dual_cndmask_b32 v38, v9, v15
	v_dual_cndmask_b32 v39, v10, v16, vcc_lo :: v_dual_cndmask_b32 v1, v11, v1, vcc_lo
	s_clause 0x6
	global_load_b128 v[6:9], v34, s[6:7] scale_offset
	global_load_b128 v[10:13], v35, s[6:7] scale_offset
	;; [unrolled: 1-line block ×7, first 2 shown]
	s_wait_xcnt 0x0
	v_dual_ashrrev_i32 v1, 31, v0 :: v_dual_add_nc_u32 v2, 32, v2
	v_add_nc_u32_e32 v3, 0x620, v3
	s_wait_loadcnt 0x6
	global_store_b128 v0, v[6:9], s[4:5] scale_offset
	s_wait_loadcnt 0x5
	global_store_b128 v0, v[10:13], s[4:5] offset:16 scale_offset
	s_wait_loadcnt 0x4
	global_store_b128 v0, v[14:17], s[4:5] offset:32 scale_offset
	s_wait_loadcnt 0x3
	global_store_b128 v0, v[18:21], s[4:5] offset:48 scale_offset
	s_wait_loadcnt 0x2
	global_store_b128 v0, v[22:25], s[4:5] offset:64 scale_offset
	s_wait_loadcnt 0x1
	global_store_b128 v0, v[26:29], s[4:5] offset:80 scale_offset
	s_wait_loadcnt 0x0
	global_store_b128 v0, v[30:33], s[4:5] offset:96 scale_offset
	v_lshl_add_u64 v[38:39], v[0:1], 2, s[8:9]
	v_subrev_nc_u32_e32 v1, s13, v5
	v_cmp_le_i32_e64 s0, s11, v2
	s_wait_xcnt 0x0
	v_add_nc_u32_e32 v0, 0xe0, v0
	s_delay_alu instid0(VALU_DEP_3) | instskip(SKIP_1) | instid1(VALU_DEP_1)
	v_mad_u32 v34, v1, 7, s12
	s_or_b32 s1, s0, s1
	v_dual_add_nc_u32 v35, 1, v34 :: v_dual_add_nc_u32 v36, 2, v34
	v_dual_add_nc_u32 v37, 3, v34 :: v_dual_add_nc_u32 v6, 4, v34
	;; [unrolled: 1-line block ×3, first 2 shown]
	s_clause 0x1
	global_store_b128 v[38:39], v[34:37], off
	global_store_b96 v[38:39], v[6:8], off offset:16
	s_wait_xcnt 0x0
	s_and_not1_b32 exec_lo, exec_lo, s1
	s_cbranch_execnz .LBB266_5
.LBB266_6:
	s_endpgm
	.section	.rodata,"a",@progbits
	.p2align	6, 0x0
	.amdhsa_kernel _ZN9rocsparseL32bsr2csr_block_per_row_2_7_kernelILj256ELj7E21rocsparse_complex_numIdEiiEEv20rocsparse_direction_T3_S4_21rocsparse_index_base_PKT1_PKT2_PKS4_S4_S5_PS6_PS9_PS4_
		.amdhsa_group_segment_fixed_size 0
		.amdhsa_private_segment_fixed_size 0
		.amdhsa_kernarg_size 72
		.amdhsa_user_sgpr_count 2
		.amdhsa_user_sgpr_dispatch_ptr 0
		.amdhsa_user_sgpr_queue_ptr 0
		.amdhsa_user_sgpr_kernarg_segment_ptr 1
		.amdhsa_user_sgpr_dispatch_id 0
		.amdhsa_user_sgpr_kernarg_preload_length 0
		.amdhsa_user_sgpr_kernarg_preload_offset 0
		.amdhsa_user_sgpr_private_segment_size 0
		.amdhsa_wavefront_size32 1
		.amdhsa_uses_dynamic_stack 0
		.amdhsa_enable_private_segment 0
		.amdhsa_system_sgpr_workgroup_id_x 1
		.amdhsa_system_sgpr_workgroup_id_y 0
		.amdhsa_system_sgpr_workgroup_id_z 0
		.amdhsa_system_sgpr_workgroup_info 0
		.amdhsa_system_vgpr_workitem_id 0
		.amdhsa_next_free_vgpr 40
		.amdhsa_next_free_sgpr 15
		.amdhsa_named_barrier_count 0
		.amdhsa_reserve_vcc 1
		.amdhsa_float_round_mode_32 0
		.amdhsa_float_round_mode_16_64 0
		.amdhsa_float_denorm_mode_32 3
		.amdhsa_float_denorm_mode_16_64 3
		.amdhsa_fp16_overflow 0
		.amdhsa_memory_ordered 1
		.amdhsa_forward_progress 1
		.amdhsa_inst_pref_size 7
		.amdhsa_round_robin_scheduling 0
		.amdhsa_exception_fp_ieee_invalid_op 0
		.amdhsa_exception_fp_denorm_src 0
		.amdhsa_exception_fp_ieee_div_zero 0
		.amdhsa_exception_fp_ieee_overflow 0
		.amdhsa_exception_fp_ieee_underflow 0
		.amdhsa_exception_fp_ieee_inexact 0
		.amdhsa_exception_int_div_zero 0
	.end_amdhsa_kernel
	.section	.text._ZN9rocsparseL32bsr2csr_block_per_row_2_7_kernelILj256ELj7E21rocsparse_complex_numIdEiiEEv20rocsparse_direction_T3_S4_21rocsparse_index_base_PKT1_PKT2_PKS4_S4_S5_PS6_PS9_PS4_,"axG",@progbits,_ZN9rocsparseL32bsr2csr_block_per_row_2_7_kernelILj256ELj7E21rocsparse_complex_numIdEiiEEv20rocsparse_direction_T3_S4_21rocsparse_index_base_PKT1_PKT2_PKS4_S4_S5_PS6_PS9_PS4_,comdat
.Lfunc_end266:
	.size	_ZN9rocsparseL32bsr2csr_block_per_row_2_7_kernelILj256ELj7E21rocsparse_complex_numIdEiiEEv20rocsparse_direction_T3_S4_21rocsparse_index_base_PKT1_PKT2_PKS4_S4_S5_PS6_PS9_PS4_, .Lfunc_end266-_ZN9rocsparseL32bsr2csr_block_per_row_2_7_kernelILj256ELj7E21rocsparse_complex_numIdEiiEEv20rocsparse_direction_T3_S4_21rocsparse_index_base_PKT1_PKT2_PKS4_S4_S5_PS6_PS9_PS4_
                                        ; -- End function
	.set _ZN9rocsparseL32bsr2csr_block_per_row_2_7_kernelILj256ELj7E21rocsparse_complex_numIdEiiEEv20rocsparse_direction_T3_S4_21rocsparse_index_base_PKT1_PKT2_PKS4_S4_S5_PS6_PS9_PS4_.num_vgpr, 40
	.set _ZN9rocsparseL32bsr2csr_block_per_row_2_7_kernelILj256ELj7E21rocsparse_complex_numIdEiiEEv20rocsparse_direction_T3_S4_21rocsparse_index_base_PKT1_PKT2_PKS4_S4_S5_PS6_PS9_PS4_.num_agpr, 0
	.set _ZN9rocsparseL32bsr2csr_block_per_row_2_7_kernelILj256ELj7E21rocsparse_complex_numIdEiiEEv20rocsparse_direction_T3_S4_21rocsparse_index_base_PKT1_PKT2_PKS4_S4_S5_PS6_PS9_PS4_.numbered_sgpr, 15
	.set _ZN9rocsparseL32bsr2csr_block_per_row_2_7_kernelILj256ELj7E21rocsparse_complex_numIdEiiEEv20rocsparse_direction_T3_S4_21rocsparse_index_base_PKT1_PKT2_PKS4_S4_S5_PS6_PS9_PS4_.num_named_barrier, 0
	.set _ZN9rocsparseL32bsr2csr_block_per_row_2_7_kernelILj256ELj7E21rocsparse_complex_numIdEiiEEv20rocsparse_direction_T3_S4_21rocsparse_index_base_PKT1_PKT2_PKS4_S4_S5_PS6_PS9_PS4_.private_seg_size, 0
	.set _ZN9rocsparseL32bsr2csr_block_per_row_2_7_kernelILj256ELj7E21rocsparse_complex_numIdEiiEEv20rocsparse_direction_T3_S4_21rocsparse_index_base_PKT1_PKT2_PKS4_S4_S5_PS6_PS9_PS4_.uses_vcc, 1
	.set _ZN9rocsparseL32bsr2csr_block_per_row_2_7_kernelILj256ELj7E21rocsparse_complex_numIdEiiEEv20rocsparse_direction_T3_S4_21rocsparse_index_base_PKT1_PKT2_PKS4_S4_S5_PS6_PS9_PS4_.uses_flat_scratch, 0
	.set _ZN9rocsparseL32bsr2csr_block_per_row_2_7_kernelILj256ELj7E21rocsparse_complex_numIdEiiEEv20rocsparse_direction_T3_S4_21rocsparse_index_base_PKT1_PKT2_PKS4_S4_S5_PS6_PS9_PS4_.has_dyn_sized_stack, 0
	.set _ZN9rocsparseL32bsr2csr_block_per_row_2_7_kernelILj256ELj7E21rocsparse_complex_numIdEiiEEv20rocsparse_direction_T3_S4_21rocsparse_index_base_PKT1_PKT2_PKS4_S4_S5_PS6_PS9_PS4_.has_recursion, 0
	.set _ZN9rocsparseL32bsr2csr_block_per_row_2_7_kernelILj256ELj7E21rocsparse_complex_numIdEiiEEv20rocsparse_direction_T3_S4_21rocsparse_index_base_PKT1_PKT2_PKS4_S4_S5_PS6_PS9_PS4_.has_indirect_call, 0
	.section	.AMDGPU.csdata,"",@progbits
; Kernel info:
; codeLenInByte = 856
; TotalNumSgprs: 17
; NumVgprs: 40
; ScratchSize: 0
; MemoryBound: 0
; FloatMode: 240
; IeeeMode: 1
; LDSByteSize: 0 bytes/workgroup (compile time only)
; SGPRBlocks: 0
; VGPRBlocks: 2
; NumSGPRsForWavesPerEU: 17
; NumVGPRsForWavesPerEU: 40
; NamedBarCnt: 0
; Occupancy: 16
; WaveLimiterHint : 0
; COMPUTE_PGM_RSRC2:SCRATCH_EN: 0
; COMPUTE_PGM_RSRC2:USER_SGPR: 2
; COMPUTE_PGM_RSRC2:TRAP_HANDLER: 0
; COMPUTE_PGM_RSRC2:TGID_X_EN: 1
; COMPUTE_PGM_RSRC2:TGID_Y_EN: 0
; COMPUTE_PGM_RSRC2:TGID_Z_EN: 0
; COMPUTE_PGM_RSRC2:TIDIG_COMP_CNT: 0
	.section	.text._ZN9rocsparseL33bsr2csr_block_per_row_8_32_kernelILj1024ELj8E21rocsparse_complex_numIdEiiEEv20rocsparse_direction_T3_S4_21rocsparse_index_base_PKT1_PKT2_PKS4_S4_S5_PS6_PS9_PS4_,"axG",@progbits,_ZN9rocsparseL33bsr2csr_block_per_row_8_32_kernelILj1024ELj8E21rocsparse_complex_numIdEiiEEv20rocsparse_direction_T3_S4_21rocsparse_index_base_PKT1_PKT2_PKS4_S4_S5_PS6_PS9_PS4_,comdat
	.globl	_ZN9rocsparseL33bsr2csr_block_per_row_8_32_kernelILj1024ELj8E21rocsparse_complex_numIdEiiEEv20rocsparse_direction_T3_S4_21rocsparse_index_base_PKT1_PKT2_PKS4_S4_S5_PS6_PS9_PS4_ ; -- Begin function _ZN9rocsparseL33bsr2csr_block_per_row_8_32_kernelILj1024ELj8E21rocsparse_complex_numIdEiiEEv20rocsparse_direction_T3_S4_21rocsparse_index_base_PKT1_PKT2_PKS4_S4_S5_PS6_PS9_PS4_
	.p2align	8
	.type	_ZN9rocsparseL33bsr2csr_block_per_row_8_32_kernelILj1024ELj8E21rocsparse_complex_numIdEiiEEv20rocsparse_direction_T3_S4_21rocsparse_index_base_PKT1_PKT2_PKS4_S4_S5_PS6_PS9_PS4_,@function
_ZN9rocsparseL33bsr2csr_block_per_row_8_32_kernelILj1024ELj8E21rocsparse_complex_numIdEiiEEv20rocsparse_direction_T3_S4_21rocsparse_index_base_PKT1_PKT2_PKS4_S4_S5_PS6_PS9_PS4_: ; @_ZN9rocsparseL33bsr2csr_block_per_row_8_32_kernelILj1024ELj8E21rocsparse_complex_numIdEiiEEv20rocsparse_direction_T3_S4_21rocsparse_index_base_PKT1_PKT2_PKS4_S4_S5_PS6_PS9_PS4_
; %bb.0:
	s_clause 0x1
	s_load_b64 s[2:3], s[0:1], 0x28
	s_load_b64 s[4:5], s[0:1], 0x38
	s_bfe_u32 s6, ttmp6, 0x4000c
	s_and_b32 s7, ttmp6, 15
	s_add_co_i32 s6, s6, 1
	s_getreg_b32 s8, hwreg(HW_REG_IB_STS2, 6, 4)
	s_mul_i32 s6, ttmp9, s6
	s_delay_alu instid0(SALU_CYCLE_1) | instskip(SKIP_4) | instid1(VALU_DEP_1)
	s_add_co_i32 s7, s7, s6
	s_cmp_eq_u32 s8, 0
	s_cselect_b32 s6, ttmp9, s7
	s_mov_b32 s7, exec_lo
	v_or_b32_e32 v1, s6, v0
	v_cmpx_eq_u32_e32 0, v1
	s_cbranch_execz .LBB267_2
; %bb.1:
	s_wait_kmcnt 0x0
	v_dual_mov_b32 v1, 0 :: v_dual_mov_b32 v2, s3
	global_store_b32 v1, v2, s[4:5]
.LBB267_2:
	s_wait_xcnt 0x0
	s_or_b32 exec_lo, exec_lo, s7
	v_and_b32_e32 v1, 7, v0
	v_bfe_u32 v2, v0, 3, 3
	s_mov_b32 s7, exec_lo
	s_delay_alu instid0(VALU_DEP_1) | instskip(SKIP_1) | instid1(VALU_DEP_1)
	v_max_i32_e32 v3, v2, v1
	s_wait_kmcnt 0x0
	v_cmpx_gt_i32_e64 s2, v3
	s_cbranch_execz .LBB267_6
; %bb.3:
	s_clause 0x1
	s_load_b64 s[8:9], s[0:1], 0x18
	s_load_b32 s10, s[0:1], 0xc
	s_ashr_i32 s7, s6, 31
	v_lshrrev_b32_e32 v3, 6, v0
	s_lshl_b64 s[12:13], s[6:7], 2
	v_mad_u32 v5, s2, s6, v2
	s_wait_kmcnt 0x0
	s_add_nc_u64 s[8:9], s[8:9], s[12:13]
	s_load_b64 s[12:13], s[8:9], 0x0
	s_wait_kmcnt 0x0
	s_sub_co_i32 s8, s12, s10
	s_sub_co_i32 s11, s13, s10
	s_mul_i32 s12, s2, s2
	s_sub_co_i32 s13, s11, s8
	s_mul_i32 s9, s8, s12
	s_mul_i32 s7, s13, s2
	v_add_nc_u32_e32 v0, s8, v3
	s_add_co_i32 s14, s7, s3
	s_delay_alu instid0(SALU_CYCLE_1) | instskip(NEXT) | instid1(SALU_CYCLE_1)
	s_add_co_i32 s14, s14, s9
	v_mad_u32 v4, s7, v2, s14
	s_delay_alu instid0(VALU_DEP_2)
	v_cmp_gt_i32_e32 vcc_lo, s11, v0
	global_store_b32 v5, v4, s[4:5] offset:4 scale_offset
	s_wait_xcnt 0x0
	s_and_b32 exec_lo, exec_lo, vcc_lo
	s_cbranch_execz .LBB267_6
; %bb.4:
	s_clause 0x2
	s_load_b64 s[4:5], s[0:1], 0x20
	s_load_b64 s[6:7], s[0:1], 0x30
	s_load_b32 s14, s[0:1], 0x0
	v_mad_u32 v3, s2, s8, v3
	v_mad_u32 v4, s2, v1, v2
	;; [unrolled: 1-line block ×3, first 2 shown]
	s_load_b64 s[8:9], s[0:1], 0x10
	s_delay_alu instid0(VALU_DEP_3)
	v_mad_u32 v3, s13, v2, v3
	s_wait_xcnt 0x0
	s_load_b64 s[0:1], s[0:1], 0x40
	s_wait_kmcnt 0x0
	s_cmp_eq_u32 s14, 0
	s_cselect_b32 vcc_lo, -1, 0
	s_delay_alu instid0(VALU_DEP_1) | instskip(NEXT) | instid1(VALU_DEP_3)
	v_mad_u32 v3, s2, v3, v1
	v_cndmask_b32_e32 v2, v4, v5, vcc_lo
	v_add_nc_u32_e32 v1, s3, v1
	s_mov_b32 s3, 0
	s_lshl_b32 s13, s2, 4
	s_delay_alu instid0(VALU_DEP_2)
	v_mad_u32 v2, s12, v0, v2
	s_lshl_b32 s12, s12, 4
.LBB267_5:                              ; =>This Inner Loop Header: Depth=1
	global_load_b32 v8, v0, s[4:5] scale_offset
	global_load_b128 v[4:7], v2, s[8:9] scale_offset
	s_wait_xcnt 0x0
	v_dual_add_nc_u32 v0, 16, v0 :: v_dual_add_nc_u32 v2, s12, v2
	s_delay_alu instid0(VALU_DEP_1) | instskip(SKIP_3) | instid1(VALU_DEP_1)
	v_cmp_le_i32_e32 vcc_lo, s11, v0
	s_or_b32 s3, vcc_lo, s3
	s_wait_loadcnt 0x1
	v_subrev_nc_u32_e32 v8, s10, v8
	v_mad_u32 v8, v8, s2, v1
	global_store_b32 v3, v8, s[0:1] scale_offset
	s_wait_loadcnt 0x0
	global_store_b128 v3, v[4:7], s[6:7] scale_offset
	s_wait_xcnt 0x0
	v_add_nc_u32_e32 v3, s13, v3
	s_and_not1_b32 exec_lo, exec_lo, s3
	s_cbranch_execnz .LBB267_5
.LBB267_6:
	s_endpgm
	.section	.rodata,"a",@progbits
	.p2align	6, 0x0
	.amdhsa_kernel _ZN9rocsparseL33bsr2csr_block_per_row_8_32_kernelILj1024ELj8E21rocsparse_complex_numIdEiiEEv20rocsparse_direction_T3_S4_21rocsparse_index_base_PKT1_PKT2_PKS4_S4_S5_PS6_PS9_PS4_
		.amdhsa_group_segment_fixed_size 0
		.amdhsa_private_segment_fixed_size 0
		.amdhsa_kernarg_size 72
		.amdhsa_user_sgpr_count 2
		.amdhsa_user_sgpr_dispatch_ptr 0
		.amdhsa_user_sgpr_queue_ptr 0
		.amdhsa_user_sgpr_kernarg_segment_ptr 1
		.amdhsa_user_sgpr_dispatch_id 0
		.amdhsa_user_sgpr_kernarg_preload_length 0
		.amdhsa_user_sgpr_kernarg_preload_offset 0
		.amdhsa_user_sgpr_private_segment_size 0
		.amdhsa_wavefront_size32 1
		.amdhsa_uses_dynamic_stack 0
		.amdhsa_enable_private_segment 0
		.amdhsa_system_sgpr_workgroup_id_x 1
		.amdhsa_system_sgpr_workgroup_id_y 0
		.amdhsa_system_sgpr_workgroup_id_z 0
		.amdhsa_system_sgpr_workgroup_info 0
		.amdhsa_system_vgpr_workitem_id 0
		.amdhsa_next_free_vgpr 9
		.amdhsa_next_free_sgpr 15
		.amdhsa_named_barrier_count 0
		.amdhsa_reserve_vcc 1
		.amdhsa_float_round_mode_32 0
		.amdhsa_float_round_mode_16_64 0
		.amdhsa_float_denorm_mode_32 3
		.amdhsa_float_denorm_mode_16_64 3
		.amdhsa_fp16_overflow 0
		.amdhsa_memory_ordered 1
		.amdhsa_forward_progress 1
		.amdhsa_inst_pref_size 5
		.amdhsa_round_robin_scheduling 0
		.amdhsa_exception_fp_ieee_invalid_op 0
		.amdhsa_exception_fp_denorm_src 0
		.amdhsa_exception_fp_ieee_div_zero 0
		.amdhsa_exception_fp_ieee_overflow 0
		.amdhsa_exception_fp_ieee_underflow 0
		.amdhsa_exception_fp_ieee_inexact 0
		.amdhsa_exception_int_div_zero 0
	.end_amdhsa_kernel
	.section	.text._ZN9rocsparseL33bsr2csr_block_per_row_8_32_kernelILj1024ELj8E21rocsparse_complex_numIdEiiEEv20rocsparse_direction_T3_S4_21rocsparse_index_base_PKT1_PKT2_PKS4_S4_S5_PS6_PS9_PS4_,"axG",@progbits,_ZN9rocsparseL33bsr2csr_block_per_row_8_32_kernelILj1024ELj8E21rocsparse_complex_numIdEiiEEv20rocsparse_direction_T3_S4_21rocsparse_index_base_PKT1_PKT2_PKS4_S4_S5_PS6_PS9_PS4_,comdat
.Lfunc_end267:
	.size	_ZN9rocsparseL33bsr2csr_block_per_row_8_32_kernelILj1024ELj8E21rocsparse_complex_numIdEiiEEv20rocsparse_direction_T3_S4_21rocsparse_index_base_PKT1_PKT2_PKS4_S4_S5_PS6_PS9_PS4_, .Lfunc_end267-_ZN9rocsparseL33bsr2csr_block_per_row_8_32_kernelILj1024ELj8E21rocsparse_complex_numIdEiiEEv20rocsparse_direction_T3_S4_21rocsparse_index_base_PKT1_PKT2_PKS4_S4_S5_PS6_PS9_PS4_
                                        ; -- End function
	.set _ZN9rocsparseL33bsr2csr_block_per_row_8_32_kernelILj1024ELj8E21rocsparse_complex_numIdEiiEEv20rocsparse_direction_T3_S4_21rocsparse_index_base_PKT1_PKT2_PKS4_S4_S5_PS6_PS9_PS4_.num_vgpr, 9
	.set _ZN9rocsparseL33bsr2csr_block_per_row_8_32_kernelILj1024ELj8E21rocsparse_complex_numIdEiiEEv20rocsparse_direction_T3_S4_21rocsparse_index_base_PKT1_PKT2_PKS4_S4_S5_PS6_PS9_PS4_.num_agpr, 0
	.set _ZN9rocsparseL33bsr2csr_block_per_row_8_32_kernelILj1024ELj8E21rocsparse_complex_numIdEiiEEv20rocsparse_direction_T3_S4_21rocsparse_index_base_PKT1_PKT2_PKS4_S4_S5_PS6_PS9_PS4_.numbered_sgpr, 15
	.set _ZN9rocsparseL33bsr2csr_block_per_row_8_32_kernelILj1024ELj8E21rocsparse_complex_numIdEiiEEv20rocsparse_direction_T3_S4_21rocsparse_index_base_PKT1_PKT2_PKS4_S4_S5_PS6_PS9_PS4_.num_named_barrier, 0
	.set _ZN9rocsparseL33bsr2csr_block_per_row_8_32_kernelILj1024ELj8E21rocsparse_complex_numIdEiiEEv20rocsparse_direction_T3_S4_21rocsparse_index_base_PKT1_PKT2_PKS4_S4_S5_PS6_PS9_PS4_.private_seg_size, 0
	.set _ZN9rocsparseL33bsr2csr_block_per_row_8_32_kernelILj1024ELj8E21rocsparse_complex_numIdEiiEEv20rocsparse_direction_T3_S4_21rocsparse_index_base_PKT1_PKT2_PKS4_S4_S5_PS6_PS9_PS4_.uses_vcc, 1
	.set _ZN9rocsparseL33bsr2csr_block_per_row_8_32_kernelILj1024ELj8E21rocsparse_complex_numIdEiiEEv20rocsparse_direction_T3_S4_21rocsparse_index_base_PKT1_PKT2_PKS4_S4_S5_PS6_PS9_PS4_.uses_flat_scratch, 0
	.set _ZN9rocsparseL33bsr2csr_block_per_row_8_32_kernelILj1024ELj8E21rocsparse_complex_numIdEiiEEv20rocsparse_direction_T3_S4_21rocsparse_index_base_PKT1_PKT2_PKS4_S4_S5_PS6_PS9_PS4_.has_dyn_sized_stack, 0
	.set _ZN9rocsparseL33bsr2csr_block_per_row_8_32_kernelILj1024ELj8E21rocsparse_complex_numIdEiiEEv20rocsparse_direction_T3_S4_21rocsparse_index_base_PKT1_PKT2_PKS4_S4_S5_PS6_PS9_PS4_.has_recursion, 0
	.set _ZN9rocsparseL33bsr2csr_block_per_row_8_32_kernelILj1024ELj8E21rocsparse_complex_numIdEiiEEv20rocsparse_direction_T3_S4_21rocsparse_index_base_PKT1_PKT2_PKS4_S4_S5_PS6_PS9_PS4_.has_indirect_call, 0
	.section	.AMDGPU.csdata,"",@progbits
; Kernel info:
; codeLenInByte = 544
; TotalNumSgprs: 17
; NumVgprs: 9
; ScratchSize: 0
; MemoryBound: 0
; FloatMode: 240
; IeeeMode: 1
; LDSByteSize: 0 bytes/workgroup (compile time only)
; SGPRBlocks: 0
; VGPRBlocks: 0
; NumSGPRsForWavesPerEU: 17
; NumVGPRsForWavesPerEU: 9
; NamedBarCnt: 0
; Occupancy: 16
; WaveLimiterHint : 0
; COMPUTE_PGM_RSRC2:SCRATCH_EN: 0
; COMPUTE_PGM_RSRC2:USER_SGPR: 2
; COMPUTE_PGM_RSRC2:TRAP_HANDLER: 0
; COMPUTE_PGM_RSRC2:TGID_X_EN: 1
; COMPUTE_PGM_RSRC2:TGID_Y_EN: 0
; COMPUTE_PGM_RSRC2:TGID_Z_EN: 0
; COMPUTE_PGM_RSRC2:TIDIG_COMP_CNT: 0
	.section	.text._ZN9rocsparseL33bsr2csr_block_per_row_8_32_kernelILj1024ELj16E21rocsparse_complex_numIdEiiEEv20rocsparse_direction_T3_S4_21rocsparse_index_base_PKT1_PKT2_PKS4_S4_S5_PS6_PS9_PS4_,"axG",@progbits,_ZN9rocsparseL33bsr2csr_block_per_row_8_32_kernelILj1024ELj16E21rocsparse_complex_numIdEiiEEv20rocsparse_direction_T3_S4_21rocsparse_index_base_PKT1_PKT2_PKS4_S4_S5_PS6_PS9_PS4_,comdat
	.globl	_ZN9rocsparseL33bsr2csr_block_per_row_8_32_kernelILj1024ELj16E21rocsparse_complex_numIdEiiEEv20rocsparse_direction_T3_S4_21rocsparse_index_base_PKT1_PKT2_PKS4_S4_S5_PS6_PS9_PS4_ ; -- Begin function _ZN9rocsparseL33bsr2csr_block_per_row_8_32_kernelILj1024ELj16E21rocsparse_complex_numIdEiiEEv20rocsparse_direction_T3_S4_21rocsparse_index_base_PKT1_PKT2_PKS4_S4_S5_PS6_PS9_PS4_
	.p2align	8
	.type	_ZN9rocsparseL33bsr2csr_block_per_row_8_32_kernelILj1024ELj16E21rocsparse_complex_numIdEiiEEv20rocsparse_direction_T3_S4_21rocsparse_index_base_PKT1_PKT2_PKS4_S4_S5_PS6_PS9_PS4_,@function
_ZN9rocsparseL33bsr2csr_block_per_row_8_32_kernelILj1024ELj16E21rocsparse_complex_numIdEiiEEv20rocsparse_direction_T3_S4_21rocsparse_index_base_PKT1_PKT2_PKS4_S4_S5_PS6_PS9_PS4_: ; @_ZN9rocsparseL33bsr2csr_block_per_row_8_32_kernelILj1024ELj16E21rocsparse_complex_numIdEiiEEv20rocsparse_direction_T3_S4_21rocsparse_index_base_PKT1_PKT2_PKS4_S4_S5_PS6_PS9_PS4_
; %bb.0:
	s_clause 0x1
	s_load_b64 s[2:3], s[0:1], 0x28
	s_load_b64 s[4:5], s[0:1], 0x38
	s_bfe_u32 s6, ttmp6, 0x4000c
	s_and_b32 s7, ttmp6, 15
	s_add_co_i32 s6, s6, 1
	s_getreg_b32 s8, hwreg(HW_REG_IB_STS2, 6, 4)
	s_mul_i32 s6, ttmp9, s6
	s_delay_alu instid0(SALU_CYCLE_1) | instskip(SKIP_4) | instid1(VALU_DEP_1)
	s_add_co_i32 s7, s7, s6
	s_cmp_eq_u32 s8, 0
	s_cselect_b32 s6, ttmp9, s7
	s_mov_b32 s7, exec_lo
	v_or_b32_e32 v1, s6, v0
	v_cmpx_eq_u32_e32 0, v1
	s_cbranch_execz .LBB268_2
; %bb.1:
	s_wait_kmcnt 0x0
	v_dual_mov_b32 v1, 0 :: v_dual_mov_b32 v2, s3
	global_store_b32 v1, v2, s[4:5]
.LBB268_2:
	s_wait_xcnt 0x0
	s_or_b32 exec_lo, exec_lo, s7
	v_and_b32_e32 v1, 15, v0
	v_bfe_u32 v2, v0, 4, 4
	s_mov_b32 s7, exec_lo
	s_delay_alu instid0(VALU_DEP_1) | instskip(SKIP_1) | instid1(VALU_DEP_1)
	v_max_i32_e32 v3, v2, v1
	s_wait_kmcnt 0x0
	v_cmpx_gt_i32_e64 s2, v3
	s_cbranch_execz .LBB268_6
; %bb.3:
	s_clause 0x1
	s_load_b64 s[8:9], s[0:1], 0x18
	s_load_b32 s10, s[0:1], 0xc
	s_ashr_i32 s7, s6, 31
	v_lshrrev_b32_e32 v3, 8, v0
	s_lshl_b64 s[12:13], s[6:7], 2
	v_mad_u32 v5, s2, s6, v2
	s_wait_kmcnt 0x0
	s_add_nc_u64 s[8:9], s[8:9], s[12:13]
	s_load_b64 s[12:13], s[8:9], 0x0
	s_wait_kmcnt 0x0
	s_sub_co_i32 s8, s12, s10
	s_sub_co_i32 s11, s13, s10
	s_mul_i32 s12, s2, s2
	s_sub_co_i32 s13, s11, s8
	s_mul_i32 s9, s8, s12
	s_mul_i32 s7, s13, s2
	v_add_nc_u32_e32 v0, s8, v3
	s_add_co_i32 s14, s7, s3
	s_delay_alu instid0(SALU_CYCLE_1) | instskip(NEXT) | instid1(SALU_CYCLE_1)
	s_add_co_i32 s14, s14, s9
	v_mad_u32 v4, s7, v2, s14
	s_delay_alu instid0(VALU_DEP_2)
	v_cmp_gt_i32_e32 vcc_lo, s11, v0
	global_store_b32 v5, v4, s[4:5] offset:4 scale_offset
	s_wait_xcnt 0x0
	s_and_b32 exec_lo, exec_lo, vcc_lo
	s_cbranch_execz .LBB268_6
; %bb.4:
	s_clause 0x2
	s_load_b64 s[4:5], s[0:1], 0x20
	s_load_b64 s[6:7], s[0:1], 0x30
	s_load_b32 s14, s[0:1], 0x0
	v_mad_u32 v3, s2, s8, v3
	v_mad_u32 v4, s2, v1, v2
	;; [unrolled: 1-line block ×3, first 2 shown]
	s_load_b64 s[8:9], s[0:1], 0x10
	s_delay_alu instid0(VALU_DEP_3)
	v_mad_u32 v3, s13, v2, v3
	s_wait_xcnt 0x0
	s_load_b64 s[0:1], s[0:1], 0x40
	s_wait_kmcnt 0x0
	s_cmp_eq_u32 s14, 0
	s_cselect_b32 vcc_lo, -1, 0
	s_delay_alu instid0(VALU_DEP_1) | instskip(NEXT) | instid1(VALU_DEP_3)
	v_mad_u32 v3, s2, v3, v1
	v_cndmask_b32_e32 v2, v4, v5, vcc_lo
	v_add_nc_u32_e32 v1, s3, v1
	s_mov_b32 s3, 0
	s_lshl_b32 s13, s2, 2
	s_delay_alu instid0(VALU_DEP_2)
	v_mad_u32 v2, s12, v0, v2
	s_lshl_b32 s12, s12, 2
.LBB268_5:                              ; =>This Inner Loop Header: Depth=1
	global_load_b32 v8, v0, s[4:5] scale_offset
	global_load_b128 v[4:7], v2, s[8:9] scale_offset
	s_wait_xcnt 0x0
	v_dual_add_nc_u32 v0, 4, v0 :: v_dual_add_nc_u32 v2, s12, v2
	s_delay_alu instid0(VALU_DEP_1) | instskip(SKIP_3) | instid1(VALU_DEP_1)
	v_cmp_le_i32_e32 vcc_lo, s11, v0
	s_or_b32 s3, vcc_lo, s3
	s_wait_loadcnt 0x1
	v_subrev_nc_u32_e32 v8, s10, v8
	v_mad_u32 v8, v8, s2, v1
	global_store_b32 v3, v8, s[0:1] scale_offset
	s_wait_loadcnt 0x0
	global_store_b128 v3, v[4:7], s[6:7] scale_offset
	s_wait_xcnt 0x0
	v_add_nc_u32_e32 v3, s13, v3
	s_and_not1_b32 exec_lo, exec_lo, s3
	s_cbranch_execnz .LBB268_5
.LBB268_6:
	s_endpgm
	.section	.rodata,"a",@progbits
	.p2align	6, 0x0
	.amdhsa_kernel _ZN9rocsparseL33bsr2csr_block_per_row_8_32_kernelILj1024ELj16E21rocsparse_complex_numIdEiiEEv20rocsparse_direction_T3_S4_21rocsparse_index_base_PKT1_PKT2_PKS4_S4_S5_PS6_PS9_PS4_
		.amdhsa_group_segment_fixed_size 0
		.amdhsa_private_segment_fixed_size 0
		.amdhsa_kernarg_size 72
		.amdhsa_user_sgpr_count 2
		.amdhsa_user_sgpr_dispatch_ptr 0
		.amdhsa_user_sgpr_queue_ptr 0
		.amdhsa_user_sgpr_kernarg_segment_ptr 1
		.amdhsa_user_sgpr_dispatch_id 0
		.amdhsa_user_sgpr_kernarg_preload_length 0
		.amdhsa_user_sgpr_kernarg_preload_offset 0
		.amdhsa_user_sgpr_private_segment_size 0
		.amdhsa_wavefront_size32 1
		.amdhsa_uses_dynamic_stack 0
		.amdhsa_enable_private_segment 0
		.amdhsa_system_sgpr_workgroup_id_x 1
		.amdhsa_system_sgpr_workgroup_id_y 0
		.amdhsa_system_sgpr_workgroup_id_z 0
		.amdhsa_system_sgpr_workgroup_info 0
		.amdhsa_system_vgpr_workitem_id 0
		.amdhsa_next_free_vgpr 9
		.amdhsa_next_free_sgpr 15
		.amdhsa_named_barrier_count 0
		.amdhsa_reserve_vcc 1
		.amdhsa_float_round_mode_32 0
		.amdhsa_float_round_mode_16_64 0
		.amdhsa_float_denorm_mode_32 3
		.amdhsa_float_denorm_mode_16_64 3
		.amdhsa_fp16_overflow 0
		.amdhsa_memory_ordered 1
		.amdhsa_forward_progress 1
		.amdhsa_inst_pref_size 5
		.amdhsa_round_robin_scheduling 0
		.amdhsa_exception_fp_ieee_invalid_op 0
		.amdhsa_exception_fp_denorm_src 0
		.amdhsa_exception_fp_ieee_div_zero 0
		.amdhsa_exception_fp_ieee_overflow 0
		.amdhsa_exception_fp_ieee_underflow 0
		.amdhsa_exception_fp_ieee_inexact 0
		.amdhsa_exception_int_div_zero 0
	.end_amdhsa_kernel
	.section	.text._ZN9rocsparseL33bsr2csr_block_per_row_8_32_kernelILj1024ELj16E21rocsparse_complex_numIdEiiEEv20rocsparse_direction_T3_S4_21rocsparse_index_base_PKT1_PKT2_PKS4_S4_S5_PS6_PS9_PS4_,"axG",@progbits,_ZN9rocsparseL33bsr2csr_block_per_row_8_32_kernelILj1024ELj16E21rocsparse_complex_numIdEiiEEv20rocsparse_direction_T3_S4_21rocsparse_index_base_PKT1_PKT2_PKS4_S4_S5_PS6_PS9_PS4_,comdat
.Lfunc_end268:
	.size	_ZN9rocsparseL33bsr2csr_block_per_row_8_32_kernelILj1024ELj16E21rocsparse_complex_numIdEiiEEv20rocsparse_direction_T3_S4_21rocsparse_index_base_PKT1_PKT2_PKS4_S4_S5_PS6_PS9_PS4_, .Lfunc_end268-_ZN9rocsparseL33bsr2csr_block_per_row_8_32_kernelILj1024ELj16E21rocsparse_complex_numIdEiiEEv20rocsparse_direction_T3_S4_21rocsparse_index_base_PKT1_PKT2_PKS4_S4_S5_PS6_PS9_PS4_
                                        ; -- End function
	.set _ZN9rocsparseL33bsr2csr_block_per_row_8_32_kernelILj1024ELj16E21rocsparse_complex_numIdEiiEEv20rocsparse_direction_T3_S4_21rocsparse_index_base_PKT1_PKT2_PKS4_S4_S5_PS6_PS9_PS4_.num_vgpr, 9
	.set _ZN9rocsparseL33bsr2csr_block_per_row_8_32_kernelILj1024ELj16E21rocsparse_complex_numIdEiiEEv20rocsparse_direction_T3_S4_21rocsparse_index_base_PKT1_PKT2_PKS4_S4_S5_PS6_PS9_PS4_.num_agpr, 0
	.set _ZN9rocsparseL33bsr2csr_block_per_row_8_32_kernelILj1024ELj16E21rocsparse_complex_numIdEiiEEv20rocsparse_direction_T3_S4_21rocsparse_index_base_PKT1_PKT2_PKS4_S4_S5_PS6_PS9_PS4_.numbered_sgpr, 15
	.set _ZN9rocsparseL33bsr2csr_block_per_row_8_32_kernelILj1024ELj16E21rocsparse_complex_numIdEiiEEv20rocsparse_direction_T3_S4_21rocsparse_index_base_PKT1_PKT2_PKS4_S4_S5_PS6_PS9_PS4_.num_named_barrier, 0
	.set _ZN9rocsparseL33bsr2csr_block_per_row_8_32_kernelILj1024ELj16E21rocsparse_complex_numIdEiiEEv20rocsparse_direction_T3_S4_21rocsparse_index_base_PKT1_PKT2_PKS4_S4_S5_PS6_PS9_PS4_.private_seg_size, 0
	.set _ZN9rocsparseL33bsr2csr_block_per_row_8_32_kernelILj1024ELj16E21rocsparse_complex_numIdEiiEEv20rocsparse_direction_T3_S4_21rocsparse_index_base_PKT1_PKT2_PKS4_S4_S5_PS6_PS9_PS4_.uses_vcc, 1
	.set _ZN9rocsparseL33bsr2csr_block_per_row_8_32_kernelILj1024ELj16E21rocsparse_complex_numIdEiiEEv20rocsparse_direction_T3_S4_21rocsparse_index_base_PKT1_PKT2_PKS4_S4_S5_PS6_PS9_PS4_.uses_flat_scratch, 0
	.set _ZN9rocsparseL33bsr2csr_block_per_row_8_32_kernelILj1024ELj16E21rocsparse_complex_numIdEiiEEv20rocsparse_direction_T3_S4_21rocsparse_index_base_PKT1_PKT2_PKS4_S4_S5_PS6_PS9_PS4_.has_dyn_sized_stack, 0
	.set _ZN9rocsparseL33bsr2csr_block_per_row_8_32_kernelILj1024ELj16E21rocsparse_complex_numIdEiiEEv20rocsparse_direction_T3_S4_21rocsparse_index_base_PKT1_PKT2_PKS4_S4_S5_PS6_PS9_PS4_.has_recursion, 0
	.set _ZN9rocsparseL33bsr2csr_block_per_row_8_32_kernelILj1024ELj16E21rocsparse_complex_numIdEiiEEv20rocsparse_direction_T3_S4_21rocsparse_index_base_PKT1_PKT2_PKS4_S4_S5_PS6_PS9_PS4_.has_indirect_call, 0
	.section	.AMDGPU.csdata,"",@progbits
; Kernel info:
; codeLenInByte = 544
; TotalNumSgprs: 17
; NumVgprs: 9
; ScratchSize: 0
; MemoryBound: 0
; FloatMode: 240
; IeeeMode: 1
; LDSByteSize: 0 bytes/workgroup (compile time only)
; SGPRBlocks: 0
; VGPRBlocks: 0
; NumSGPRsForWavesPerEU: 17
; NumVGPRsForWavesPerEU: 9
; NamedBarCnt: 0
; Occupancy: 16
; WaveLimiterHint : 0
; COMPUTE_PGM_RSRC2:SCRATCH_EN: 0
; COMPUTE_PGM_RSRC2:USER_SGPR: 2
; COMPUTE_PGM_RSRC2:TRAP_HANDLER: 0
; COMPUTE_PGM_RSRC2:TGID_X_EN: 1
; COMPUTE_PGM_RSRC2:TGID_Y_EN: 0
; COMPUTE_PGM_RSRC2:TGID_Z_EN: 0
; COMPUTE_PGM_RSRC2:TIDIG_COMP_CNT: 0
	.section	.text._ZN9rocsparseL33bsr2csr_block_per_row_8_32_kernelILj1024ELj32E21rocsparse_complex_numIdEiiEEv20rocsparse_direction_T3_S4_21rocsparse_index_base_PKT1_PKT2_PKS4_S4_S5_PS6_PS9_PS4_,"axG",@progbits,_ZN9rocsparseL33bsr2csr_block_per_row_8_32_kernelILj1024ELj32E21rocsparse_complex_numIdEiiEEv20rocsparse_direction_T3_S4_21rocsparse_index_base_PKT1_PKT2_PKS4_S4_S5_PS6_PS9_PS4_,comdat
	.globl	_ZN9rocsparseL33bsr2csr_block_per_row_8_32_kernelILj1024ELj32E21rocsparse_complex_numIdEiiEEv20rocsparse_direction_T3_S4_21rocsparse_index_base_PKT1_PKT2_PKS4_S4_S5_PS6_PS9_PS4_ ; -- Begin function _ZN9rocsparseL33bsr2csr_block_per_row_8_32_kernelILj1024ELj32E21rocsparse_complex_numIdEiiEEv20rocsparse_direction_T3_S4_21rocsparse_index_base_PKT1_PKT2_PKS4_S4_S5_PS6_PS9_PS4_
	.p2align	8
	.type	_ZN9rocsparseL33bsr2csr_block_per_row_8_32_kernelILj1024ELj32E21rocsparse_complex_numIdEiiEEv20rocsparse_direction_T3_S4_21rocsparse_index_base_PKT1_PKT2_PKS4_S4_S5_PS6_PS9_PS4_,@function
_ZN9rocsparseL33bsr2csr_block_per_row_8_32_kernelILj1024ELj32E21rocsparse_complex_numIdEiiEEv20rocsparse_direction_T3_S4_21rocsparse_index_base_PKT1_PKT2_PKS4_S4_S5_PS6_PS9_PS4_: ; @_ZN9rocsparseL33bsr2csr_block_per_row_8_32_kernelILj1024ELj32E21rocsparse_complex_numIdEiiEEv20rocsparse_direction_T3_S4_21rocsparse_index_base_PKT1_PKT2_PKS4_S4_S5_PS6_PS9_PS4_
; %bb.0:
	s_clause 0x1
	s_load_b64 s[2:3], s[0:1], 0x28
	s_load_b64 s[6:7], s[0:1], 0x38
	s_bfe_u32 s4, ttmp6, 0x4000c
	s_and_b32 s5, ttmp6, 15
	s_add_co_i32 s4, s4, 1
	s_getreg_b32 s8, hwreg(HW_REG_IB_STS2, 6, 4)
	s_mul_i32 s4, ttmp9, s4
	s_delay_alu instid0(SALU_CYCLE_1) | instskip(SKIP_3) | instid1(SALU_CYCLE_1)
	s_add_co_i32 s5, s5, s4
	s_cmp_eq_u32 s8, 0
	s_mov_b32 s4, exec_lo
	s_cselect_b32 s8, ttmp9, s5
	v_or_b32_e32 v1, s8, v0
	s_delay_alu instid0(VALU_DEP_1)
	v_cmpx_eq_u32_e32 0, v1
	s_cbranch_execz .LBB269_2
; %bb.1:
	s_wait_kmcnt 0x0
	v_dual_mov_b32 v1, 0 :: v_dual_mov_b32 v2, s3
	global_store_b32 v1, v2, s[6:7]
.LBB269_2:
	s_wait_xcnt 0x0
	s_or_b32 exec_lo, exec_lo, s4
	v_dual_lshrrev_b32 v0, 5, v0 :: v_dual_bitop2_b32 v1, 31, v0 bitop3:0x40
	s_mov_b32 s4, exec_lo
	s_delay_alu instid0(VALU_DEP_1) | instskip(SKIP_1) | instid1(VALU_DEP_1)
	v_max_i32_e32 v2, v0, v1
	s_wait_kmcnt 0x0
	v_cmpx_gt_i32_e64 s2, v2
	s_cbranch_execz .LBB269_6
; %bb.3:
	s_clause 0x1
	s_load_b64 s[4:5], s[0:1], 0x18
	s_load_b32 s12, s[0:1], 0xc
	s_ashr_i32 s9, s8, 31
	s_mul_i32 s14, s2, s2
	s_lshl_b64 s[10:11], s[8:9], 2
	v_mad_u32 v3, s2, s8, v0
	s_wait_kmcnt 0x0
	s_add_nc_u64 s[4:5], s[4:5], s[10:11]
	s_load_b64 s[16:17], s[4:5], 0x0
	s_wait_kmcnt 0x0
	s_sub_co_i32 s4, s16, s12
	s_sub_co_i32 s13, s17, s12
	s_mul_i32 s10, s4, s14
	s_sub_co_i32 s5, s13, s4
	s_delay_alu instid0(SALU_CYCLE_1) | instskip(NEXT) | instid1(SALU_CYCLE_1)
	s_mul_i32 s9, s5, s2
	s_add_co_i32 s11, s9, s3
	s_delay_alu instid0(SALU_CYCLE_1)
	s_add_co_i32 s11, s11, s10
	s_cmp_ge_i32 s16, s17
	v_mad_u32 v2, s9, v0, s11
	global_store_b32 v3, v2, s[6:7] offset:4 scale_offset
	s_cbranch_scc1 .LBB269_6
; %bb.4:
	s_wait_xcnt 0x0
	v_mul_lo_u32 v2, v0, s5
	s_clause 0x3
	s_load_b64 s[16:17], s[0:1], 0x20
	s_load_b32 s5, s[0:1], 0x0
	s_load_b64 s[6:7], s[0:1], 0x10
	s_load_b64 s[8:9], s[0:1], 0x30
	v_mad_u32 v3, s2, v1, v0
	v_mad_u32 v4, s2, v0, v1
	s_wait_xcnt 0x0
	s_load_b64 s[0:1], s[0:1], 0x40
	s_delay_alu instid0(VALU_DEP_3) | instskip(SKIP_3) | instid1(VALU_DEP_1)
	v_mad_u32 v2, s2, s4, v2
	s_wait_kmcnt 0x0
	s_cmp_eq_u32 s5, 0
	s_cselect_b32 vcc_lo, -1, 0
	v_mad_u32 v0, s2, v2, v1
	s_delay_alu instid0(VALU_DEP_3) | instskip(SKIP_1) | instid1(VALU_DEP_1)
	v_dual_cndmask_b32 v2, v3, v4 :: v_dual_add_nc_u32 v1, s3, v1
	s_ashr_i32 s5, s4, 31
	v_add_nc_u32_e32 v2, s10, v2
	s_lshl_b64 s[10:11], s[4:5], 2
	s_delay_alu instid0(SALU_CYCLE_1)
	s_add_nc_u64 s[10:11], s[16:17], s[10:11]
.LBB269_5:                              ; =>This Inner Loop Header: Depth=1
	global_load_b128 v[4:7], v2, s[6:7] scale_offset
	s_load_b32 s3, s[10:11], 0x0
	v_add_nc_u32_e32 v2, s14, v2
	s_add_co_i32 s4, s4, 1
	s_wait_xcnt 0x0
	s_add_nc_u64 s[10:11], s[10:11], 4
	s_wait_kmcnt 0x0
	s_sub_co_i32 s3, s3, s12
	s_cmp_lt_i32 s4, s13
	v_mad_u32 v3, s3, s2, v1
	global_store_b32 v0, v3, s[0:1] scale_offset
	s_wait_loadcnt 0x0
	global_store_b128 v0, v[4:7], s[8:9] scale_offset
	s_wait_xcnt 0x0
	v_add_nc_u32_e32 v0, s2, v0
	s_cbranch_scc1 .LBB269_5
.LBB269_6:
	s_endpgm
	.section	.rodata,"a",@progbits
	.p2align	6, 0x0
	.amdhsa_kernel _ZN9rocsparseL33bsr2csr_block_per_row_8_32_kernelILj1024ELj32E21rocsparse_complex_numIdEiiEEv20rocsparse_direction_T3_S4_21rocsparse_index_base_PKT1_PKT2_PKS4_S4_S5_PS6_PS9_PS4_
		.amdhsa_group_segment_fixed_size 0
		.amdhsa_private_segment_fixed_size 0
		.amdhsa_kernarg_size 72
		.amdhsa_user_sgpr_count 2
		.amdhsa_user_sgpr_dispatch_ptr 0
		.amdhsa_user_sgpr_queue_ptr 0
		.amdhsa_user_sgpr_kernarg_segment_ptr 1
		.amdhsa_user_sgpr_dispatch_id 0
		.amdhsa_user_sgpr_kernarg_preload_length 0
		.amdhsa_user_sgpr_kernarg_preload_offset 0
		.amdhsa_user_sgpr_private_segment_size 0
		.amdhsa_wavefront_size32 1
		.amdhsa_uses_dynamic_stack 0
		.amdhsa_enable_private_segment 0
		.amdhsa_system_sgpr_workgroup_id_x 1
		.amdhsa_system_sgpr_workgroup_id_y 0
		.amdhsa_system_sgpr_workgroup_id_z 0
		.amdhsa_system_sgpr_workgroup_info 0
		.amdhsa_system_vgpr_workitem_id 0
		.amdhsa_next_free_vgpr 8
		.amdhsa_next_free_sgpr 18
		.amdhsa_named_barrier_count 0
		.amdhsa_reserve_vcc 1
		.amdhsa_float_round_mode_32 0
		.amdhsa_float_round_mode_16_64 0
		.amdhsa_float_denorm_mode_32 3
		.amdhsa_float_denorm_mode_16_64 3
		.amdhsa_fp16_overflow 0
		.amdhsa_memory_ordered 1
		.amdhsa_forward_progress 1
		.amdhsa_inst_pref_size 5
		.amdhsa_round_robin_scheduling 0
		.amdhsa_exception_fp_ieee_invalid_op 0
		.amdhsa_exception_fp_denorm_src 0
		.amdhsa_exception_fp_ieee_div_zero 0
		.amdhsa_exception_fp_ieee_overflow 0
		.amdhsa_exception_fp_ieee_underflow 0
		.amdhsa_exception_fp_ieee_inexact 0
		.amdhsa_exception_int_div_zero 0
	.end_amdhsa_kernel
	.section	.text._ZN9rocsparseL33bsr2csr_block_per_row_8_32_kernelILj1024ELj32E21rocsparse_complex_numIdEiiEEv20rocsparse_direction_T3_S4_21rocsparse_index_base_PKT1_PKT2_PKS4_S4_S5_PS6_PS9_PS4_,"axG",@progbits,_ZN9rocsparseL33bsr2csr_block_per_row_8_32_kernelILj1024ELj32E21rocsparse_complex_numIdEiiEEv20rocsparse_direction_T3_S4_21rocsparse_index_base_PKT1_PKT2_PKS4_S4_S5_PS6_PS9_PS4_,comdat
.Lfunc_end269:
	.size	_ZN9rocsparseL33bsr2csr_block_per_row_8_32_kernelILj1024ELj32E21rocsparse_complex_numIdEiiEEv20rocsparse_direction_T3_S4_21rocsparse_index_base_PKT1_PKT2_PKS4_S4_S5_PS6_PS9_PS4_, .Lfunc_end269-_ZN9rocsparseL33bsr2csr_block_per_row_8_32_kernelILj1024ELj32E21rocsparse_complex_numIdEiiEEv20rocsparse_direction_T3_S4_21rocsparse_index_base_PKT1_PKT2_PKS4_S4_S5_PS6_PS9_PS4_
                                        ; -- End function
	.set _ZN9rocsparseL33bsr2csr_block_per_row_8_32_kernelILj1024ELj32E21rocsparse_complex_numIdEiiEEv20rocsparse_direction_T3_S4_21rocsparse_index_base_PKT1_PKT2_PKS4_S4_S5_PS6_PS9_PS4_.num_vgpr, 8
	.set _ZN9rocsparseL33bsr2csr_block_per_row_8_32_kernelILj1024ELj32E21rocsparse_complex_numIdEiiEEv20rocsparse_direction_T3_S4_21rocsparse_index_base_PKT1_PKT2_PKS4_S4_S5_PS6_PS9_PS4_.num_agpr, 0
	.set _ZN9rocsparseL33bsr2csr_block_per_row_8_32_kernelILj1024ELj32E21rocsparse_complex_numIdEiiEEv20rocsparse_direction_T3_S4_21rocsparse_index_base_PKT1_PKT2_PKS4_S4_S5_PS6_PS9_PS4_.numbered_sgpr, 18
	.set _ZN9rocsparseL33bsr2csr_block_per_row_8_32_kernelILj1024ELj32E21rocsparse_complex_numIdEiiEEv20rocsparse_direction_T3_S4_21rocsparse_index_base_PKT1_PKT2_PKS4_S4_S5_PS6_PS9_PS4_.num_named_barrier, 0
	.set _ZN9rocsparseL33bsr2csr_block_per_row_8_32_kernelILj1024ELj32E21rocsparse_complex_numIdEiiEEv20rocsparse_direction_T3_S4_21rocsparse_index_base_PKT1_PKT2_PKS4_S4_S5_PS6_PS9_PS4_.private_seg_size, 0
	.set _ZN9rocsparseL33bsr2csr_block_per_row_8_32_kernelILj1024ELj32E21rocsparse_complex_numIdEiiEEv20rocsparse_direction_T3_S4_21rocsparse_index_base_PKT1_PKT2_PKS4_S4_S5_PS6_PS9_PS4_.uses_vcc, 1
	.set _ZN9rocsparseL33bsr2csr_block_per_row_8_32_kernelILj1024ELj32E21rocsparse_complex_numIdEiiEEv20rocsparse_direction_T3_S4_21rocsparse_index_base_PKT1_PKT2_PKS4_S4_S5_PS6_PS9_PS4_.uses_flat_scratch, 0
	.set _ZN9rocsparseL33bsr2csr_block_per_row_8_32_kernelILj1024ELj32E21rocsparse_complex_numIdEiiEEv20rocsparse_direction_T3_S4_21rocsparse_index_base_PKT1_PKT2_PKS4_S4_S5_PS6_PS9_PS4_.has_dyn_sized_stack, 0
	.set _ZN9rocsparseL33bsr2csr_block_per_row_8_32_kernelILj1024ELj32E21rocsparse_complex_numIdEiiEEv20rocsparse_direction_T3_S4_21rocsparse_index_base_PKT1_PKT2_PKS4_S4_S5_PS6_PS9_PS4_.has_recursion, 0
	.set _ZN9rocsparseL33bsr2csr_block_per_row_8_32_kernelILj1024ELj32E21rocsparse_complex_numIdEiiEEv20rocsparse_direction_T3_S4_21rocsparse_index_base_PKT1_PKT2_PKS4_S4_S5_PS6_PS9_PS4_.has_indirect_call, 0
	.section	.AMDGPU.csdata,"",@progbits
; Kernel info:
; codeLenInByte = 516
; TotalNumSgprs: 20
; NumVgprs: 8
; ScratchSize: 0
; MemoryBound: 0
; FloatMode: 240
; IeeeMode: 1
; LDSByteSize: 0 bytes/workgroup (compile time only)
; SGPRBlocks: 0
; VGPRBlocks: 0
; NumSGPRsForWavesPerEU: 20
; NumVGPRsForWavesPerEU: 8
; NamedBarCnt: 0
; Occupancy: 16
; WaveLimiterHint : 0
; COMPUTE_PGM_RSRC2:SCRATCH_EN: 0
; COMPUTE_PGM_RSRC2:USER_SGPR: 2
; COMPUTE_PGM_RSRC2:TRAP_HANDLER: 0
; COMPUTE_PGM_RSRC2:TGID_X_EN: 1
; COMPUTE_PGM_RSRC2:TGID_Y_EN: 0
; COMPUTE_PGM_RSRC2:TGID_Z_EN: 0
; COMPUTE_PGM_RSRC2:TIDIG_COMP_CNT: 0
	.section	.text._ZN9rocsparseL35bsr2csr_block_per_row_33_256_kernelILj1024ELj64ELj32E21rocsparse_complex_numIdEiiEEv20rocsparse_direction_T4_S4_21rocsparse_index_base_PKT2_PKT3_PKS4_S4_S5_PS6_PS9_PS4_,"axG",@progbits,_ZN9rocsparseL35bsr2csr_block_per_row_33_256_kernelILj1024ELj64ELj32E21rocsparse_complex_numIdEiiEEv20rocsparse_direction_T4_S4_21rocsparse_index_base_PKT2_PKT3_PKS4_S4_S5_PS6_PS9_PS4_,comdat
	.globl	_ZN9rocsparseL35bsr2csr_block_per_row_33_256_kernelILj1024ELj64ELj32E21rocsparse_complex_numIdEiiEEv20rocsparse_direction_T4_S4_21rocsparse_index_base_PKT2_PKT3_PKS4_S4_S5_PS6_PS9_PS4_ ; -- Begin function _ZN9rocsparseL35bsr2csr_block_per_row_33_256_kernelILj1024ELj64ELj32E21rocsparse_complex_numIdEiiEEv20rocsparse_direction_T4_S4_21rocsparse_index_base_PKT2_PKT3_PKS4_S4_S5_PS6_PS9_PS4_
	.p2align	8
	.type	_ZN9rocsparseL35bsr2csr_block_per_row_33_256_kernelILj1024ELj64ELj32E21rocsparse_complex_numIdEiiEEv20rocsparse_direction_T4_S4_21rocsparse_index_base_PKT2_PKT3_PKS4_S4_S5_PS6_PS9_PS4_,@function
_ZN9rocsparseL35bsr2csr_block_per_row_33_256_kernelILj1024ELj64ELj32E21rocsparse_complex_numIdEiiEEv20rocsparse_direction_T4_S4_21rocsparse_index_base_PKT2_PKT3_PKS4_S4_S5_PS6_PS9_PS4_: ; @_ZN9rocsparseL35bsr2csr_block_per_row_33_256_kernelILj1024ELj64ELj32E21rocsparse_complex_numIdEiiEEv20rocsparse_direction_T4_S4_21rocsparse_index_base_PKT2_PKT3_PKS4_S4_S5_PS6_PS9_PS4_
; %bb.0:
	s_load_b64 s[2:3], s[0:1], 0x18
	s_bfe_u32 s4, ttmp6, 0x4000c
	s_and_b32 s5, ttmp6, 15
	s_add_co_i32 s4, s4, 1
	s_getreg_b32 s6, hwreg(HW_REG_IB_STS2, 6, 4)
	s_mul_i32 s4, ttmp9, s4
	s_delay_alu instid0(SALU_CYCLE_1)
	s_add_co_i32 s5, s5, s4
	s_cmp_eq_u32 s6, 0
	s_cselect_b32 s10, ttmp9, s5
	s_clause 0x1
	s_load_b64 s[4:5], s[0:1], 0x28
	s_load_b64 s[8:9], s[0:1], 0x38
	s_ashr_i32 s11, s10, 31
	v_or_b32_e32 v1, s10, v0
	s_lshl_b64 s[6:7], s[10:11], 2
	s_wait_kmcnt 0x0
	s_add_nc_u64 s[2:3], s[2:3], s[6:7]
	s_load_b64 s[14:15], s[2:3], 0x0
	s_wait_xcnt 0x0
	s_mov_b32 s2, exec_lo
	v_cmpx_eq_u32_e32 0, v1
	s_cbranch_execz .LBB270_2
; %bb.1:
	v_dual_mov_b32 v1, 0 :: v_dual_mov_b32 v2, s5
	global_store_b32 v1, v2, s[8:9]
.LBB270_2:
	s_wait_xcnt 0x0
	s_or_b32 exec_lo, exec_lo, s2
	s_load_b32 s16, s[0:1], 0xc
	v_lshrrev_b32_e32 v2, 5, v0
	s_mul_i32 s10, s4, s10
	s_delay_alu instid0(VALU_DEP_1)
	v_cmp_gt_i32_e64 s2, s4, v2
	s_wait_kmcnt 0x0
	s_sub_co_i32 s6, s14, s16
	s_sub_co_i32 s17, s15, s16
	s_mul_i32 s7, s4, s6
	s_sub_co_i32 s12, s17, s6
	s_mul_i32 s3, s7, s4
	s_mul_i32 s13, s12, s4
	s_add_co_i32 s18, s3, s5
	s_delay_alu instid0(SALU_CYCLE_1)
	s_add_co_i32 s18, s18, s13
	s_and_saveexec_b32 s3, s2
	s_cbranch_execz .LBB270_4
; %bb.3:
	v_mad_u32 v1, v2, s13, s18
	v_add_nc_u32_e32 v3, s10, v2
	global_store_b32 v3, v1, s[8:9] offset:4 scale_offset
.LBB270_4:
	s_wait_xcnt 0x0
	s_or_b32 exec_lo, exec_lo, s3
	v_or_b32_e32 v1, 32, v2
	s_delay_alu instid0(VALU_DEP_1)
	v_cmp_gt_i32_e64 s3, s4, v1
	s_and_saveexec_b32 s19, s3
	s_cbranch_execz .LBB270_6
; %bb.5:
	v_mov_b32_e32 v3, 0
	s_ashr_i32 s11, s10, 31
	v_mad_u32 v1, v1, s13, s18
	s_delay_alu instid0(VALU_DEP_2) | instskip(NEXT) | instid1(VALU_DEP_1)
	v_add_nc_u64_e32 v[4:5], s[10:11], v[2:3]
	v_lshl_add_u64 v[4:5], v[4:5], 2, s[8:9]
	global_store_b32 v[4:5], v1, off offset:132
.LBB270_6:
	s_wait_xcnt 0x0
	s_or_b32 exec_lo, exec_lo, s19
	s_cmp_lt_i32 s14, s15
	s_cbranch_scc0 .LBB270_17
; %bb.7:
	s_clause 0x1
	s_load_b64 s[20:21], s[0:1], 0x20
	s_load_b32 s18, s[0:1], 0x0
	v_mad_u32 v8, v2, s12, s7
	v_dual_add_nc_u32 v3, s7, v2 :: v_dual_bitop2_b32 v0, 31, v0 bitop3:0x40
	s_clause 0x2
	s_load_b64 s[8:9], s[0:1], 0x10
	s_load_b64 s[10:11], s[0:1], 0x30
	;; [unrolled: 1-line block ×3, first 2 shown]
	v_dual_add_nc_u32 v5, s7, v0 :: v_dual_bitop2_b32 v1, 32, v0 bitop3:0x54
	v_add_nc_u32_e32 v4, 32, v3
	v_mul_lo_u32 v3, s4, v3
	s_wait_xcnt 0x0
	v_cmp_gt_i32_e64 s0, s4, v0
	v_lshl_add_u32 v6, s15, 5, v8
	v_add_nc_u32_e32 v7, 32, v5
	v_mul_lo_u32 v4, s4, v4
	v_mul_lo_u32 v5, s4, v5
	;; [unrolled: 1-line block ×3, first 2 shown]
	s_wait_kmcnt 0x0
	s_cmp_eq_u32 s18, 0
	s_cselect_b32 vcc_lo, -1, 0
	s_lshl_b32 s1, s14, 5
	s_ashr_i32 s7, s6, 31
	v_subrev_nc_u32_e32 v9, s1, v6
	v_mul_lo_u32 v6, s4, v7
	v_cmp_gt_i32_e64 s1, s4, v1
	s_lshl_b64 s[22:23], s[6:7], 2
	s_mul_i32 s14, s4, s4
	v_mul_lo_u32 v7, s4, v9
	s_and_b32 s15, s2, s0
	s_and_b32 s2, s2, s1
	;; [unrolled: 1-line block ×4, first 2 shown]
	s_add_nc_u64 s[0:1], s[20:21], s[22:23]
	s_branch .LBB270_9
.LBB270_8:                              ;   in Loop: Header=BB270_9 Depth=1
	s_wait_xcnt 0x0
	s_or_b32 exec_lo, exec_lo, s7
	v_dual_add_nc_u32 v4, s14, v4 :: v_dual_add_nc_u32 v3, s14, v3
	v_dual_add_nc_u32 v2, s14, v2 :: v_dual_add_nc_u32 v7, s4, v7
	v_add_nc_u32_e32 v8, s4, v8
	s_add_co_i32 s6, s6, 1
	s_add_nc_u64 s[0:1], s[0:1], 4
	s_cmp_ge_i32 s6, s17
	s_cbranch_scc1 .LBB270_17
.LBB270_9:                              ; =>This Inner Loop Header: Depth=1
	s_load_b32 s7, s[0:1], 0x0
	s_wait_kmcnt 0x0
	s_sub_co_i32 s7, s7, s16
	s_delay_alu instid0(SALU_CYCLE_1) | instskip(NEXT) | instid1(SALU_CYCLE_1)
	s_mul_i32 s7, s7, s4
	s_add_co_i32 s7, s7, s5
	s_delay_alu instid0(SALU_CYCLE_1)
	v_add_nc_u32_e32 v9, s7, v0
	s_and_saveexec_b32 s19, s15
	s_cbranch_execz .LBB270_11
; %bb.10:                               ;   in Loop: Header=BB270_9 Depth=1
	v_dual_add_nc_u32 v10, v0, v3 :: v_dual_add_nc_u32 v11, v5, v2
	s_delay_alu instid0(VALU_DEP_1)
	v_dual_add_nc_u32 v14, v0, v8 :: v_dual_cndmask_b32 v10, v11, v10, vcc_lo
	global_load_b128 v[10:13], v10, s[8:9] scale_offset
	global_store_b32 v14, v9, s[12:13] scale_offset
	s_wait_loadcnt 0x0
	global_store_b128 v14, v[10:13], s[10:11] scale_offset
.LBB270_11:                             ;   in Loop: Header=BB270_9 Depth=1
	s_wait_xcnt 0x0
	s_or_b32 exec_lo, exec_lo, s19
	v_dual_add_nc_u32 v10, s7, v1 :: v_dual_add_nc_u32 v11, v6, v2
	s_and_saveexec_b32 s7, s2
	s_cbranch_execnz .LBB270_14
; %bb.12:                               ;   in Loop: Header=BB270_9 Depth=1
	s_or_b32 exec_lo, exec_lo, s7
	v_add_nc_u32_e32 v12, v0, v4
	s_and_saveexec_b32 s7, s18
	s_cbranch_execnz .LBB270_15
.LBB270_13:                             ;   in Loop: Header=BB270_9 Depth=1
	s_or_b32 exec_lo, exec_lo, s7
	s_and_saveexec_b32 s7, s3
	s_cbranch_execz .LBB270_8
	s_branch .LBB270_16
.LBB270_14:                             ;   in Loop: Header=BB270_9 Depth=1
	v_add3_u32 v12, v0, v3, 32
	v_add3_u32 v16, v0, v8, 32
	s_delay_alu instid0(VALU_DEP_2)
	v_cndmask_b32_e32 v12, v11, v12, vcc_lo
	global_load_b128 v[12:15], v12, s[8:9] scale_offset
	global_store_b32 v16, v10, s[12:13] scale_offset
	s_wait_loadcnt 0x0
	global_store_b128 v16, v[12:15], s[10:11] scale_offset
	s_wait_xcnt 0x0
	s_or_b32 exec_lo, exec_lo, s7
	v_add_nc_u32_e32 v12, v0, v4
	s_and_saveexec_b32 s7, s18
	s_cbranch_execz .LBB270_13
.LBB270_15:                             ;   in Loop: Header=BB270_9 Depth=1
	v_add3_u32 v13, v5, v2, 32
	s_delay_alu instid0(VALU_DEP_1)
	v_cndmask_b32_e32 v13, v13, v12, vcc_lo
	global_load_b128 v[14:17], v13, s[8:9] scale_offset
	s_wait_xcnt 0x0
	v_add_nc_u32_e32 v13, v0, v7
	global_store_b32 v13, v9, s[12:13] scale_offset
	s_wait_loadcnt 0x0
	global_store_b128 v13, v[14:17], s[10:11] scale_offset
	s_wait_xcnt 0x0
	s_or_b32 exec_lo, exec_lo, s7
	s_and_saveexec_b32 s7, s3
	s_cbranch_execz .LBB270_8
.LBB270_16:                             ;   in Loop: Header=BB270_9 Depth=1
	v_cndmask_b32_e32 v9, v11, v12, vcc_lo
	s_delay_alu instid0(VALU_DEP_1)
	v_add_nc_u32_e32 v9, 32, v9
	global_load_b128 v[12:15], v9, s[8:9] scale_offset
	s_wait_xcnt 0x0
	v_add3_u32 v9, v0, v7, 32
	global_store_b32 v9, v10, s[12:13] scale_offset
	s_wait_loadcnt 0x0
	global_store_b128 v9, v[12:15], s[10:11] scale_offset
	s_branch .LBB270_8
.LBB270_17:
	s_endpgm
	.section	.rodata,"a",@progbits
	.p2align	6, 0x0
	.amdhsa_kernel _ZN9rocsparseL35bsr2csr_block_per_row_33_256_kernelILj1024ELj64ELj32E21rocsparse_complex_numIdEiiEEv20rocsparse_direction_T4_S4_21rocsparse_index_base_PKT2_PKT3_PKS4_S4_S5_PS6_PS9_PS4_
		.amdhsa_group_segment_fixed_size 0
		.amdhsa_private_segment_fixed_size 0
		.amdhsa_kernarg_size 72
		.amdhsa_user_sgpr_count 2
		.amdhsa_user_sgpr_dispatch_ptr 0
		.amdhsa_user_sgpr_queue_ptr 0
		.amdhsa_user_sgpr_kernarg_segment_ptr 1
		.amdhsa_user_sgpr_dispatch_id 0
		.amdhsa_user_sgpr_kernarg_preload_length 0
		.amdhsa_user_sgpr_kernarg_preload_offset 0
		.amdhsa_user_sgpr_private_segment_size 0
		.amdhsa_wavefront_size32 1
		.amdhsa_uses_dynamic_stack 0
		.amdhsa_enable_private_segment 0
		.amdhsa_system_sgpr_workgroup_id_x 1
		.amdhsa_system_sgpr_workgroup_id_y 0
		.amdhsa_system_sgpr_workgroup_id_z 0
		.amdhsa_system_sgpr_workgroup_info 0
		.amdhsa_system_vgpr_workitem_id 0
		.amdhsa_next_free_vgpr 18
		.amdhsa_next_free_sgpr 24
		.amdhsa_named_barrier_count 0
		.amdhsa_reserve_vcc 1
		.amdhsa_float_round_mode_32 0
		.amdhsa_float_round_mode_16_64 0
		.amdhsa_float_denorm_mode_32 3
		.amdhsa_float_denorm_mode_16_64 3
		.amdhsa_fp16_overflow 0
		.amdhsa_memory_ordered 1
		.amdhsa_forward_progress 1
		.amdhsa_inst_pref_size 8
		.amdhsa_round_robin_scheduling 0
		.amdhsa_exception_fp_ieee_invalid_op 0
		.amdhsa_exception_fp_denorm_src 0
		.amdhsa_exception_fp_ieee_div_zero 0
		.amdhsa_exception_fp_ieee_overflow 0
		.amdhsa_exception_fp_ieee_underflow 0
		.amdhsa_exception_fp_ieee_inexact 0
		.amdhsa_exception_int_div_zero 0
	.end_amdhsa_kernel
	.section	.text._ZN9rocsparseL35bsr2csr_block_per_row_33_256_kernelILj1024ELj64ELj32E21rocsparse_complex_numIdEiiEEv20rocsparse_direction_T4_S4_21rocsparse_index_base_PKT2_PKT3_PKS4_S4_S5_PS6_PS9_PS4_,"axG",@progbits,_ZN9rocsparseL35bsr2csr_block_per_row_33_256_kernelILj1024ELj64ELj32E21rocsparse_complex_numIdEiiEEv20rocsparse_direction_T4_S4_21rocsparse_index_base_PKT2_PKT3_PKS4_S4_S5_PS6_PS9_PS4_,comdat
.Lfunc_end270:
	.size	_ZN9rocsparseL35bsr2csr_block_per_row_33_256_kernelILj1024ELj64ELj32E21rocsparse_complex_numIdEiiEEv20rocsparse_direction_T4_S4_21rocsparse_index_base_PKT2_PKT3_PKS4_S4_S5_PS6_PS9_PS4_, .Lfunc_end270-_ZN9rocsparseL35bsr2csr_block_per_row_33_256_kernelILj1024ELj64ELj32E21rocsparse_complex_numIdEiiEEv20rocsparse_direction_T4_S4_21rocsparse_index_base_PKT2_PKT3_PKS4_S4_S5_PS6_PS9_PS4_
                                        ; -- End function
	.set _ZN9rocsparseL35bsr2csr_block_per_row_33_256_kernelILj1024ELj64ELj32E21rocsparse_complex_numIdEiiEEv20rocsparse_direction_T4_S4_21rocsparse_index_base_PKT2_PKT3_PKS4_S4_S5_PS6_PS9_PS4_.num_vgpr, 18
	.set _ZN9rocsparseL35bsr2csr_block_per_row_33_256_kernelILj1024ELj64ELj32E21rocsparse_complex_numIdEiiEEv20rocsparse_direction_T4_S4_21rocsparse_index_base_PKT2_PKT3_PKS4_S4_S5_PS6_PS9_PS4_.num_agpr, 0
	.set _ZN9rocsparseL35bsr2csr_block_per_row_33_256_kernelILj1024ELj64ELj32E21rocsparse_complex_numIdEiiEEv20rocsparse_direction_T4_S4_21rocsparse_index_base_PKT2_PKT3_PKS4_S4_S5_PS6_PS9_PS4_.numbered_sgpr, 24
	.set _ZN9rocsparseL35bsr2csr_block_per_row_33_256_kernelILj1024ELj64ELj32E21rocsparse_complex_numIdEiiEEv20rocsparse_direction_T4_S4_21rocsparse_index_base_PKT2_PKT3_PKS4_S4_S5_PS6_PS9_PS4_.num_named_barrier, 0
	.set _ZN9rocsparseL35bsr2csr_block_per_row_33_256_kernelILj1024ELj64ELj32E21rocsparse_complex_numIdEiiEEv20rocsparse_direction_T4_S4_21rocsparse_index_base_PKT2_PKT3_PKS4_S4_S5_PS6_PS9_PS4_.private_seg_size, 0
	.set _ZN9rocsparseL35bsr2csr_block_per_row_33_256_kernelILj1024ELj64ELj32E21rocsparse_complex_numIdEiiEEv20rocsparse_direction_T4_S4_21rocsparse_index_base_PKT2_PKT3_PKS4_S4_S5_PS6_PS9_PS4_.uses_vcc, 1
	.set _ZN9rocsparseL35bsr2csr_block_per_row_33_256_kernelILj1024ELj64ELj32E21rocsparse_complex_numIdEiiEEv20rocsparse_direction_T4_S4_21rocsparse_index_base_PKT2_PKT3_PKS4_S4_S5_PS6_PS9_PS4_.uses_flat_scratch, 0
	.set _ZN9rocsparseL35bsr2csr_block_per_row_33_256_kernelILj1024ELj64ELj32E21rocsparse_complex_numIdEiiEEv20rocsparse_direction_T4_S4_21rocsparse_index_base_PKT2_PKT3_PKS4_S4_S5_PS6_PS9_PS4_.has_dyn_sized_stack, 0
	.set _ZN9rocsparseL35bsr2csr_block_per_row_33_256_kernelILj1024ELj64ELj32E21rocsparse_complex_numIdEiiEEv20rocsparse_direction_T4_S4_21rocsparse_index_base_PKT2_PKT3_PKS4_S4_S5_PS6_PS9_PS4_.has_recursion, 0
	.set _ZN9rocsparseL35bsr2csr_block_per_row_33_256_kernelILj1024ELj64ELj32E21rocsparse_complex_numIdEiiEEv20rocsparse_direction_T4_S4_21rocsparse_index_base_PKT2_PKT3_PKS4_S4_S5_PS6_PS9_PS4_.has_indirect_call, 0
	.section	.AMDGPU.csdata,"",@progbits
; Kernel info:
; codeLenInByte = 1012
; TotalNumSgprs: 26
; NumVgprs: 18
; ScratchSize: 0
; MemoryBound: 0
; FloatMode: 240
; IeeeMode: 1
; LDSByteSize: 0 bytes/workgroup (compile time only)
; SGPRBlocks: 0
; VGPRBlocks: 1
; NumSGPRsForWavesPerEU: 26
; NumVGPRsForWavesPerEU: 18
; NamedBarCnt: 0
; Occupancy: 16
; WaveLimiterHint : 0
; COMPUTE_PGM_RSRC2:SCRATCH_EN: 0
; COMPUTE_PGM_RSRC2:USER_SGPR: 2
; COMPUTE_PGM_RSRC2:TRAP_HANDLER: 0
; COMPUTE_PGM_RSRC2:TGID_X_EN: 1
; COMPUTE_PGM_RSRC2:TGID_Y_EN: 0
; COMPUTE_PGM_RSRC2:TGID_Z_EN: 0
; COMPUTE_PGM_RSRC2:TIDIG_COMP_CNT: 0
	.section	.text._ZN9rocsparseL35bsr2csr_block_per_row_33_256_kernelILj1024ELj128ELj32E21rocsparse_complex_numIdEiiEEv20rocsparse_direction_T4_S4_21rocsparse_index_base_PKT2_PKT3_PKS4_S4_S5_PS6_PS9_PS4_,"axG",@progbits,_ZN9rocsparseL35bsr2csr_block_per_row_33_256_kernelILj1024ELj128ELj32E21rocsparse_complex_numIdEiiEEv20rocsparse_direction_T4_S4_21rocsparse_index_base_PKT2_PKT3_PKS4_S4_S5_PS6_PS9_PS4_,comdat
	.globl	_ZN9rocsparseL35bsr2csr_block_per_row_33_256_kernelILj1024ELj128ELj32E21rocsparse_complex_numIdEiiEEv20rocsparse_direction_T4_S4_21rocsparse_index_base_PKT2_PKT3_PKS4_S4_S5_PS6_PS9_PS4_ ; -- Begin function _ZN9rocsparseL35bsr2csr_block_per_row_33_256_kernelILj1024ELj128ELj32E21rocsparse_complex_numIdEiiEEv20rocsparse_direction_T4_S4_21rocsparse_index_base_PKT2_PKT3_PKS4_S4_S5_PS6_PS9_PS4_
	.p2align	8
	.type	_ZN9rocsparseL35bsr2csr_block_per_row_33_256_kernelILj1024ELj128ELj32E21rocsparse_complex_numIdEiiEEv20rocsparse_direction_T4_S4_21rocsparse_index_base_PKT2_PKT3_PKS4_S4_S5_PS6_PS9_PS4_,@function
_ZN9rocsparseL35bsr2csr_block_per_row_33_256_kernelILj1024ELj128ELj32E21rocsparse_complex_numIdEiiEEv20rocsparse_direction_T4_S4_21rocsparse_index_base_PKT2_PKT3_PKS4_S4_S5_PS6_PS9_PS4_: ; @_ZN9rocsparseL35bsr2csr_block_per_row_33_256_kernelILj1024ELj128ELj32E21rocsparse_complex_numIdEiiEEv20rocsparse_direction_T4_S4_21rocsparse_index_base_PKT2_PKT3_PKS4_S4_S5_PS6_PS9_PS4_
; %bb.0:
	s_load_b64 s[4:5], s[0:1], 0x18
	s_bfe_u32 s2, ttmp6, 0x4000c
	s_and_b32 s3, ttmp6, 15
	s_add_co_i32 s2, s2, 1
	s_getreg_b32 s6, hwreg(HW_REG_IB_STS2, 6, 4)
	s_mul_i32 s2, ttmp9, s2
	s_delay_alu instid0(SALU_CYCLE_1)
	s_add_co_i32 s3, s3, s2
	s_cmp_eq_u32 s6, 0
	s_clause 0x1
	s_load_b64 s[8:9], s[0:1], 0x28
	s_load_b64 s[6:7], s[0:1], 0x38
	s_cselect_b32 s2, ttmp9, s3
	s_delay_alu instid0(SALU_CYCLE_1)
	s_ashr_i32 s3, s2, 31
	v_or_b32_e32 v1, s2, v0
	s_lshl_b64 s[10:11], s[2:3], 2
	s_mov_b32 s3, exec_lo
	s_wait_kmcnt 0x0
	s_add_nc_u64 s[4:5], s[4:5], s[10:11]
	s_load_b64 s[18:19], s[4:5], 0x0
	v_cmpx_eq_u32_e32 0, v1
	s_cbranch_execz .LBB271_2
; %bb.1:
	v_dual_mov_b32 v1, 0 :: v_dual_mov_b32 v2, s9
	global_store_b32 v1, v2, s[6:7]
.LBB271_2:
	s_wait_xcnt 0x0
	s_or_b32 exec_lo, exec_lo, s3
	s_load_b32 s22, s[0:1], 0xc
	v_lshrrev_b32_e32 v2, 5, v0
	s_mul_i32 s12, s8, s2
	s_delay_alu instid0(VALU_DEP_1)
	v_cmp_gt_i32_e64 s4, s8, v2
	s_wait_kmcnt 0x0
	s_sub_co_i32 s10, s18, s22
	s_sub_co_i32 s23, s19, s22
	s_mul_i32 s11, s8, s10
	s_sub_co_i32 s34, s23, s10
	s_mul_i32 s3, s11, s8
	s_mul_i32 s14, s34, s8
	s_add_co_i32 s15, s3, s9
	s_delay_alu instid0(SALU_CYCLE_1)
	s_add_co_i32 s15, s15, s14
	s_and_saveexec_b32 s2, s4
	s_cbranch_execz .LBB271_4
; %bb.3:
	v_mad_u32 v1, v2, s14, s15
	v_add_nc_u32_e32 v3, s12, v2
	global_store_b32 v3, v1, s[6:7] offset:4 scale_offset
.LBB271_4:
	s_wait_xcnt 0x0
	s_or_b32 exec_lo, exec_lo, s2
	v_or_b32_e32 v1, 32, v2
	s_delay_alu instid0(VALU_DEP_1)
	v_cmp_gt_i32_e64 s5, s8, v1
	s_and_saveexec_b32 s2, s5
	s_cbranch_execz .LBB271_6
; %bb.5:
	v_mov_b32_e32 v3, 0
	s_ashr_i32 s13, s12, 31
	v_mad_u32 v1, v1, s14, s15
	s_delay_alu instid0(VALU_DEP_2) | instskip(NEXT) | instid1(VALU_DEP_1)
	v_add_nc_u64_e32 v[4:5], s[12:13], v[2:3]
	v_lshl_add_u64 v[4:5], v[4:5], 2, s[6:7]
	global_store_b32 v[4:5], v1, off offset:132
.LBB271_6:
	s_wait_xcnt 0x0
	s_or_b32 exec_lo, exec_lo, s2
	v_or_b32_e32 v1, 64, v2
	s_delay_alu instid0(VALU_DEP_1)
	v_cmp_gt_i32_e64 s2, s8, v1
	s_and_saveexec_b32 s3, s2
	s_cbranch_execz .LBB271_8
; %bb.7:
	v_mov_b32_e32 v3, 0
	s_ashr_i32 s13, s12, 31
	v_mad_u32 v1, v1, s14, s15
	s_delay_alu instid0(VALU_DEP_2) | instskip(NEXT) | instid1(VALU_DEP_1)
	v_add_nc_u64_e32 v[4:5], s[12:13], v[2:3]
	v_lshl_add_u64 v[4:5], v[4:5], 2, s[6:7]
	global_store_b32 v[4:5], v1, off offset:260
.LBB271_8:
	s_wait_xcnt 0x0
	s_or_b32 exec_lo, exec_lo, s3
	v_or_b32_e32 v1, 0x60, v2
	s_delay_alu instid0(VALU_DEP_1)
	v_cmp_gt_i32_e64 s3, s8, v1
	s_and_saveexec_b32 s16, s3
	s_cbranch_execz .LBB271_10
; %bb.9:
	v_mov_b32_e32 v3, 0
	s_ashr_i32 s13, s12, 31
	v_mad_u32 v1, v1, s14, s15
	s_delay_alu instid0(VALU_DEP_2) | instskip(NEXT) | instid1(VALU_DEP_1)
	v_add_nc_u64_e32 v[4:5], s[12:13], v[2:3]
	v_lshl_add_u64 v[4:5], v[4:5], 2, s[6:7]
	global_store_b32 v[4:5], v1, off offset:388
.LBB271_10:
	s_wait_xcnt 0x0
	s_or_b32 exec_lo, exec_lo, s16
	s_cmp_lt_i32 s18, s19
	s_cbranch_scc0 .LBB271_45
; %bb.11:
	s_clause 0x1
	s_load_b64 s[20:21], s[0:1], 0x20
	s_load_b32 s7, s[0:1], 0x0
	v_mad_u32 v15, v2, s34, s11
	v_dual_add_nc_u32 v8, s11, v2 :: v_dual_bitop2_b32 v0, 31, v0 bitop3:0x40
	s_clause 0x2
	s_load_b64 s[12:13], s[0:1], 0x10
	s_load_b64 s[14:15], s[0:1], 0x30
	;; [unrolled: 1-line block ×3, first 2 shown]
	s_mul_i32 s24, s8, s8
	s_mov_b32 s25, 0
	v_dual_add_nc_u32 v12, s11, v0 :: v_dual_bitop2_b32 v1, 32, v0 bitop3:0x54
	v_dual_add_nc_u32 v5, 32, v8 :: v_dual_add_nc_u32 v6, 64, v8
	v_add_nc_u32_e32 v7, 0x60, v8
	v_mad_u32 v11, 0x60, s19, v15
	v_lshl_add_u32 v13, s19, 5, v15
	v_lshl_add_u32 v14, s19, 6, v15
	v_add_nc_u32_e32 v9, 0x60, v12
	v_dual_add_nc_u32 v10, 64, v12 :: v_dual_add_nc_u32 v16, 32, v12
	v_or_b32_e32 v3, 64, v0
	v_or_b32_e32 v4, 0x60, v0
	s_wait_kmcnt 0x0
	s_cmp_eq_u32 s7, 0
	v_mul_lo_u32 v5, s8, v5
	s_cselect_b32 vcc_lo, -1, 0
	s_lshl_b32 s11, s18, 5
	v_mul_lo_u32 v6, s8, v6
	v_subrev_nc_u32_e32 v13, s11, v13
	s_lshl_b32 s11, s18, 6
	s_mulk_i32 s18, 0x60
	v_subrev_nc_u32_e32 v14, s11, v14
	v_subrev_nc_u32_e32 v17, s18, v11
	v_mul_lo_u32 v7, s8, v7
	v_mul_lo_u32 v8, s8, v8
	v_mad_u32 v9, s8, v9, v2
	v_mad_u32 v10, s8, v10, v2
	;; [unrolled: 1-line block ×4, first 2 shown]
	v_mul_lo_u32 v12, s8, v13
	v_mul_lo_u32 v13, s8, v14
	;; [unrolled: 1-line block ×4, first 2 shown]
	v_cmp_gt_i32_e64 s0, s8, v0
	v_cmp_gt_i32_e64 s1, s8, v1
	;; [unrolled: 1-line block ×4, first 2 shown]
	s_ashr_i32 s11, s10, 31
	s_and_b32 s26, s4, s0
	s_and_b32 s27, s4, s1
	;; [unrolled: 1-line block ×8, first 2 shown]
	s_lshl_b64 s[0:1], s[10:11], 2
	s_and_b32 s28, s4, s6
	s_and_b32 s4, s4, s7
	;; [unrolled: 1-line block ×8, first 2 shown]
	s_add_nc_u64 s[0:1], s[20:21], s[0:1]
	s_branch .LBB271_13
.LBB271_12:                             ;   in Loop: Header=BB271_13 Depth=1
	s_wait_xcnt 0x0
	s_or_b32 exec_lo, exec_lo, s7
	v_dual_add_nc_u32 v5, s24, v5 :: v_dual_add_nc_u32 v6, s24, v6
	v_dual_add_nc_u32 v7, s24, v7 :: v_dual_add_nc_u32 v8, s24, v8
	v_dual_add_nc_u32 v12, s8, v12 :: v_dual_add_nc_u32 v13, s8, v13
	v_dual_add_nc_u32 v14, s8, v14 :: v_dual_add_nc_u32 v15, s8, v15
	s_add_co_i32 s10, s10, 1
	s_add_co_i32 s25, s25, s24
	s_cmp_ge_i32 s10, s23
	s_add_nc_u64 s[0:1], s[0:1], 4
	s_cbranch_scc1 .LBB271_45
.LBB271_13:                             ; =>This Inner Loop Header: Depth=1
	s_load_b32 s7, s[0:1], 0x0
	s_wait_kmcnt 0x0
	s_sub_co_i32 s7, s7, s22
	s_delay_alu instid0(SALU_CYCLE_1) | instskip(NEXT) | instid1(SALU_CYCLE_1)
	s_mul_i32 s7, s7, s8
	s_add_co_i32 s7, s7, s9
	s_delay_alu instid0(SALU_CYCLE_1)
	v_add_nc_u32_e32 v16, s7, v0
	s_and_saveexec_b32 s11, s26
	s_cbranch_execz .LBB271_15
; %bb.14:                               ;   in Loop: Header=BB271_13 Depth=1
	v_dual_add_nc_u32 v17, v0, v8 :: v_dual_add_nc_u32 v18, s25, v2
	s_delay_alu instid0(VALU_DEP_1)
	v_cndmask_b32_e32 v17, v18, v17, vcc_lo
	global_load_b128 v[18:21], v17, s[12:13] scale_offset
	s_wait_xcnt 0x0
	v_add_nc_u32_e32 v17, v0, v15
	global_store_b32 v17, v16, s[16:17] scale_offset
	s_wait_loadcnt 0x0
	global_store_b128 v17, v[18:21], s[14:15] scale_offset
.LBB271_15:                             ;   in Loop: Header=BB271_13 Depth=1
	s_wait_xcnt 0x0
	s_or_b32 exec_lo, exec_lo, s11
	v_dual_add_nc_u32 v17, s7, v1 :: v_dual_add_nc_u32 v22, s25, v11
	s_and_saveexec_b32 s11, s27
	s_cbranch_execz .LBB271_17
; %bb.16:                               ;   in Loop: Header=BB271_13 Depth=1
	v_add3_u32 v18, v0, v8, 32
	v_add3_u32 v23, v0, v15, 32
	s_delay_alu instid0(VALU_DEP_2)
	v_cndmask_b32_e32 v18, v22, v18, vcc_lo
	global_load_b128 v[18:21], v18, s[12:13] scale_offset
	global_store_b32 v23, v17, s[16:17] scale_offset
	s_wait_loadcnt 0x0
	global_store_b128 v23, v[18:21], s[14:15] scale_offset
.LBB271_17:                             ;   in Loop: Header=BB271_13 Depth=1
	s_wait_xcnt 0x0
	s_or_b32 exec_lo, exec_lo, s11
	v_dual_add_nc_u32 v18, s7, v3 :: v_dual_add_nc_u32 v21, s25, v10
	s_and_saveexec_b32 s11, s28
	s_cbranch_execz .LBB271_19
; %bb.18:                               ;   in Loop: Header=BB271_13 Depth=1
	v_add3_u32 v19, v0, v8, 64
	s_delay_alu instid0(VALU_DEP_1)
	v_cndmask_b32_e32 v19, v21, v19, vcc_lo
	global_load_b128 v[24:27], v19, s[12:13] scale_offset
	s_wait_xcnt 0x0
	v_add3_u32 v19, v0, v15, 64
	global_store_b32 v19, v18, s[16:17] scale_offset
	s_wait_loadcnt 0x0
	global_store_b128 v19, v[24:27], s[14:15] scale_offset
.LBB271_19:                             ;   in Loop: Header=BB271_13 Depth=1
	s_wait_xcnt 0x0
	s_or_b32 exec_lo, exec_lo, s11
	v_dual_add_nc_u32 v19, s7, v4 :: v_dual_add_nc_u32 v20, s25, v9
	s_and_saveexec_b32 s7, s4
	s_cbranch_execnz .LBB271_32
; %bb.20:                               ;   in Loop: Header=BB271_13 Depth=1
	s_or_b32 exec_lo, exec_lo, s7
	v_add_nc_u32_e32 v23, v0, v5
	s_and_saveexec_b32 s7, s29
	s_cbranch_execnz .LBB271_33
.LBB271_21:                             ;   in Loop: Header=BB271_13 Depth=1
	s_or_b32 exec_lo, exec_lo, s7
	s_and_saveexec_b32 s7, s30
	s_cbranch_execnz .LBB271_34
.LBB271_22:                             ;   in Loop: Header=BB271_13 Depth=1
	s_or_b32 exec_lo, exec_lo, s7
	s_and_saveexec_b32 s7, s31
	s_cbranch_execnz .LBB271_35
.LBB271_23:                             ;   in Loop: Header=BB271_13 Depth=1
	s_or_b32 exec_lo, exec_lo, s7
	s_and_saveexec_b32 s7, s5
	s_cbranch_execnz .LBB271_36
.LBB271_24:                             ;   in Loop: Header=BB271_13 Depth=1
	s_or_b32 exec_lo, exec_lo, s7
	v_add_nc_u32_e32 v22, v0, v6
	s_and_saveexec_b32 s7, s33
	s_cbranch_execnz .LBB271_37
.LBB271_25:                             ;   in Loop: Header=BB271_13 Depth=1
	s_or_b32 exec_lo, exec_lo, s7
	s_and_saveexec_b32 s7, s34
	s_cbranch_execnz .LBB271_38
.LBB271_26:                             ;   in Loop: Header=BB271_13 Depth=1
	s_or_b32 exec_lo, exec_lo, s7
	s_and_saveexec_b32 s7, s18
	s_cbranch_execnz .LBB271_39
.LBB271_27:                             ;   in Loop: Header=BB271_13 Depth=1
	s_or_b32 exec_lo, exec_lo, s7
	s_and_saveexec_b32 s7, s2
	s_cbranch_execnz .LBB271_40
.LBB271_28:                             ;   in Loop: Header=BB271_13 Depth=1
	s_or_b32 exec_lo, exec_lo, s7
	v_add_nc_u32_e32 v21, v0, v7
	s_and_saveexec_b32 s7, s19
	s_cbranch_execnz .LBB271_41
.LBB271_29:                             ;   in Loop: Header=BB271_13 Depth=1
	s_or_b32 exec_lo, exec_lo, s7
	s_and_saveexec_b32 s7, s35
	s_cbranch_execnz .LBB271_42
.LBB271_30:                             ;   in Loop: Header=BB271_13 Depth=1
	s_or_b32 exec_lo, exec_lo, s7
	s_and_saveexec_b32 s7, s6
	s_cbranch_execnz .LBB271_43
.LBB271_31:                             ;   in Loop: Header=BB271_13 Depth=1
	s_or_b32 exec_lo, exec_lo, s7
	s_and_saveexec_b32 s7, s3
	s_cbranch_execz .LBB271_12
	s_branch .LBB271_44
.LBB271_32:                             ;   in Loop: Header=BB271_13 Depth=1
	v_add3_u32 v23, v0, v8, 0x60
	s_delay_alu instid0(VALU_DEP_1)
	v_cndmask_b32_e32 v23, v20, v23, vcc_lo
	global_load_b128 v[24:27], v23, s[12:13] scale_offset
	s_wait_xcnt 0x0
	v_add3_u32 v23, v0, v15, 0x60
	global_store_b32 v23, v19, s[16:17] scale_offset
	s_wait_loadcnt 0x0
	global_store_b128 v23, v[24:27], s[14:15] scale_offset
	s_wait_xcnt 0x0
	s_or_b32 exec_lo, exec_lo, s7
	v_add_nc_u32_e32 v23, v0, v5
	s_and_saveexec_b32 s7, s29
	s_cbranch_execz .LBB271_21
.LBB271_33:                             ;   in Loop: Header=BB271_13 Depth=1
	v_add3_u32 v24, v2, s25, 32
	v_add_nc_u32_e32 v28, v0, v12
	s_delay_alu instid0(VALU_DEP_2)
	v_cndmask_b32_e32 v24, v24, v23, vcc_lo
	global_load_b128 v[24:27], v24, s[12:13] scale_offset
	global_store_b32 v28, v16, s[16:17] scale_offset
	s_wait_loadcnt 0x0
	global_store_b128 v28, v[24:27], s[14:15] scale_offset
	s_wait_xcnt 0x0
	s_or_b32 exec_lo, exec_lo, s7
	s_and_saveexec_b32 s7, s30
	s_cbranch_execz .LBB271_22
.LBB271_34:                             ;   in Loop: Header=BB271_13 Depth=1
	v_cndmask_b32_e32 v22, v22, v23, vcc_lo
	v_add3_u32 v26, v0, v12, 32
	s_delay_alu instid0(VALU_DEP_2)
	v_add_nc_u32_e32 v22, 32, v22
	global_load_b128 v[22:25], v22, s[12:13] scale_offset
	global_store_b32 v26, v17, s[16:17] scale_offset
	s_wait_loadcnt 0x0
	global_store_b128 v26, v[22:25], s[14:15] scale_offset
	s_wait_xcnt 0x0
	s_or_b32 exec_lo, exec_lo, s7
	s_and_saveexec_b32 s7, s31
	s_cbranch_execz .LBB271_23
.LBB271_35:                             ;   in Loop: Header=BB271_13 Depth=1
	v_add3_u32 v22, v0, v5, 64
	v_add3_u32 v23, v10, s25, 32
	;; [unrolled: 1-line block ×3, first 2 shown]
	s_delay_alu instid0(VALU_DEP_2)
	v_cndmask_b32_e32 v22, v23, v22, vcc_lo
	global_load_b128 v[22:25], v22, s[12:13] scale_offset
	global_store_b32 v26, v18, s[16:17] scale_offset
	s_wait_loadcnt 0x0
	global_store_b128 v26, v[22:25], s[14:15] scale_offset
	s_wait_xcnt 0x0
	s_or_b32 exec_lo, exec_lo, s7
	s_and_saveexec_b32 s7, s5
	s_cbranch_execz .LBB271_24
.LBB271_36:                             ;   in Loop: Header=BB271_13 Depth=1
	v_add3_u32 v22, v0, v5, 0x60
	v_add3_u32 v23, v9, s25, 32
	;; [unrolled: 1-line block ×3, first 2 shown]
	s_delay_alu instid0(VALU_DEP_2)
	v_cndmask_b32_e32 v22, v23, v22, vcc_lo
	global_load_b128 v[22:25], v22, s[12:13] scale_offset
	global_store_b32 v26, v19, s[16:17] scale_offset
	s_wait_loadcnt 0x0
	global_store_b128 v26, v[22:25], s[14:15] scale_offset
	s_wait_xcnt 0x0
	s_or_b32 exec_lo, exec_lo, s7
	v_add_nc_u32_e32 v22, v0, v6
	s_and_saveexec_b32 s7, s33
	s_cbranch_execz .LBB271_25
.LBB271_37:                             ;   in Loop: Header=BB271_13 Depth=1
	v_add3_u32 v23, v2, s25, 64
	s_delay_alu instid0(VALU_DEP_1)
	v_cndmask_b32_e32 v23, v23, v22, vcc_lo
	global_load_b128 v[24:27], v23, s[12:13] scale_offset
	s_wait_xcnt 0x0
	v_add_nc_u32_e32 v23, v0, v13
	global_store_b32 v23, v16, s[16:17] scale_offset
	s_wait_loadcnt 0x0
	global_store_b128 v23, v[24:27], s[14:15] scale_offset
	s_wait_xcnt 0x0
	s_or_b32 exec_lo, exec_lo, s7
	s_and_saveexec_b32 s7, s34
	s_cbranch_execz .LBB271_26
.LBB271_38:                             ;   in Loop: Header=BB271_13 Depth=1
	v_add3_u32 v23, v0, v6, 32
	v_add3_u32 v24, v11, s25, 64
	s_delay_alu instid0(VALU_DEP_1)
	v_cndmask_b32_e32 v23, v24, v23, vcc_lo
	global_load_b128 v[24:27], v23, s[12:13] scale_offset
	s_wait_xcnt 0x0
	v_add3_u32 v23, v0, v13, 32
	global_store_b32 v23, v17, s[16:17] scale_offset
	s_wait_loadcnt 0x0
	global_store_b128 v23, v[24:27], s[14:15] scale_offset
	s_wait_xcnt 0x0
	s_or_b32 exec_lo, exec_lo, s7
	s_and_saveexec_b32 s7, s18
	s_cbranch_execz .LBB271_27
.LBB271_39:                             ;   in Loop: Header=BB271_13 Depth=1
	v_cndmask_b32_e32 v21, v21, v22, vcc_lo
	s_delay_alu instid0(VALU_DEP_1)
	v_add_nc_u32_e32 v21, 64, v21
	global_load_b128 v[22:25], v21, s[12:13] scale_offset
	s_wait_xcnt 0x0
	v_add3_u32 v21, v0, v13, 64
	global_store_b32 v21, v18, s[16:17] scale_offset
	s_wait_loadcnt 0x0
	global_store_b128 v21, v[22:25], s[14:15] scale_offset
	s_wait_xcnt 0x0
	s_or_b32 exec_lo, exec_lo, s7
	s_and_saveexec_b32 s7, s2
	s_cbranch_execz .LBB271_28
.LBB271_40:                             ;   in Loop: Header=BB271_13 Depth=1
	v_add3_u32 v21, v0, v6, 0x60
	v_add3_u32 v22, v9, s25, 64
	s_delay_alu instid0(VALU_DEP_1)
	v_cndmask_b32_e32 v21, v22, v21, vcc_lo
	global_load_b128 v[22:25], v21, s[12:13] scale_offset
	s_wait_xcnt 0x0
	v_add3_u32 v21, v0, v13, 0x60
	global_store_b32 v21, v19, s[16:17] scale_offset
	s_wait_loadcnt 0x0
	global_store_b128 v21, v[22:25], s[14:15] scale_offset
	s_wait_xcnt 0x0
	s_or_b32 exec_lo, exec_lo, s7
	v_add_nc_u32_e32 v21, v0, v7
	s_and_saveexec_b32 s7, s19
	s_cbranch_execz .LBB271_29
.LBB271_41:                             ;   in Loop: Header=BB271_13 Depth=1
	v_add3_u32 v22, v2, s25, 0x60
	s_delay_alu instid0(VALU_DEP_1)
	v_dual_add_nc_u32 v26, v0, v14 :: v_dual_cndmask_b32 v22, v22, v21, vcc_lo
	global_load_b128 v[22:25], v22, s[12:13] scale_offset
	global_store_b32 v26, v16, s[16:17] scale_offset
	s_wait_loadcnt 0x0
	global_store_b128 v26, v[22:25], s[14:15] scale_offset
	s_wait_xcnt 0x0
	s_or_b32 exec_lo, exec_lo, s7
	s_and_saveexec_b32 s7, s35
	s_cbranch_execz .LBB271_30
.LBB271_42:                             ;   in Loop: Header=BB271_13 Depth=1
	v_add3_u32 v16, v0, v7, 32
	v_add3_u32 v22, v11, s25, 0x60
	s_delay_alu instid0(VALU_DEP_1)
	v_cndmask_b32_e32 v16, v22, v16, vcc_lo
	global_load_b128 v[22:25], v16, s[12:13] scale_offset
	s_wait_xcnt 0x0
	v_add3_u32 v16, v0, v14, 32
	global_store_b32 v16, v17, s[16:17] scale_offset
	s_wait_loadcnt 0x0
	global_store_b128 v16, v[22:25], s[14:15] scale_offset
	s_wait_xcnt 0x0
	s_or_b32 exec_lo, exec_lo, s7
	s_and_saveexec_b32 s7, s6
	s_cbranch_execz .LBB271_31
.LBB271_43:                             ;   in Loop: Header=BB271_13 Depth=1
	v_add3_u32 v16, v0, v7, 64
	v_add3_u32 v17, v10, s25, 0x60
	s_delay_alu instid0(VALU_DEP_1)
	v_cndmask_b32_e32 v16, v17, v16, vcc_lo
	global_load_b128 v[22:25], v16, s[12:13] scale_offset
	s_wait_xcnt 0x0
	v_add3_u32 v16, v0, v14, 64
	global_store_b32 v16, v18, s[16:17] scale_offset
	s_wait_loadcnt 0x0
	global_store_b128 v16, v[22:25], s[14:15] scale_offset
	s_wait_xcnt 0x0
	s_or_b32 exec_lo, exec_lo, s7
	s_and_saveexec_b32 s7, s3
	s_cbranch_execz .LBB271_12
.LBB271_44:                             ;   in Loop: Header=BB271_13 Depth=1
	v_cndmask_b32_e32 v16, v20, v21, vcc_lo
	s_delay_alu instid0(VALU_DEP_1)
	v_add_nc_u32_e32 v16, 0x60, v16
	global_load_b128 v[20:23], v16, s[12:13] scale_offset
	s_wait_xcnt 0x0
	v_add3_u32 v16, v0, v14, 0x60
	global_store_b32 v16, v19, s[16:17] scale_offset
	s_wait_loadcnt 0x0
	global_store_b128 v16, v[20:23], s[14:15] scale_offset
	s_branch .LBB271_12
.LBB271_45:
	s_endpgm
	.section	.rodata,"a",@progbits
	.p2align	6, 0x0
	.amdhsa_kernel _ZN9rocsparseL35bsr2csr_block_per_row_33_256_kernelILj1024ELj128ELj32E21rocsparse_complex_numIdEiiEEv20rocsparse_direction_T4_S4_21rocsparse_index_base_PKT2_PKT3_PKS4_S4_S5_PS6_PS9_PS4_
		.amdhsa_group_segment_fixed_size 0
		.amdhsa_private_segment_fixed_size 0
		.amdhsa_kernarg_size 72
		.amdhsa_user_sgpr_count 2
		.amdhsa_user_sgpr_dispatch_ptr 0
		.amdhsa_user_sgpr_queue_ptr 0
		.amdhsa_user_sgpr_kernarg_segment_ptr 1
		.amdhsa_user_sgpr_dispatch_id 0
		.amdhsa_user_sgpr_kernarg_preload_length 0
		.amdhsa_user_sgpr_kernarg_preload_offset 0
		.amdhsa_user_sgpr_private_segment_size 0
		.amdhsa_wavefront_size32 1
		.amdhsa_uses_dynamic_stack 0
		.amdhsa_enable_private_segment 0
		.amdhsa_system_sgpr_workgroup_id_x 1
		.amdhsa_system_sgpr_workgroup_id_y 0
		.amdhsa_system_sgpr_workgroup_id_z 0
		.amdhsa_system_sgpr_workgroup_info 0
		.amdhsa_system_vgpr_workitem_id 0
		.amdhsa_next_free_vgpr 29
		.amdhsa_next_free_sgpr 36
		.amdhsa_named_barrier_count 0
		.amdhsa_reserve_vcc 1
		.amdhsa_float_round_mode_32 0
		.amdhsa_float_round_mode_16_64 0
		.amdhsa_float_denorm_mode_32 3
		.amdhsa_float_denorm_mode_16_64 3
		.amdhsa_fp16_overflow 0
		.amdhsa_memory_ordered 1
		.amdhsa_forward_progress 1
		.amdhsa_inst_pref_size 21
		.amdhsa_round_robin_scheduling 0
		.amdhsa_exception_fp_ieee_invalid_op 0
		.amdhsa_exception_fp_denorm_src 0
		.amdhsa_exception_fp_ieee_div_zero 0
		.amdhsa_exception_fp_ieee_overflow 0
		.amdhsa_exception_fp_ieee_underflow 0
		.amdhsa_exception_fp_ieee_inexact 0
		.amdhsa_exception_int_div_zero 0
	.end_amdhsa_kernel
	.section	.text._ZN9rocsparseL35bsr2csr_block_per_row_33_256_kernelILj1024ELj128ELj32E21rocsparse_complex_numIdEiiEEv20rocsparse_direction_T4_S4_21rocsparse_index_base_PKT2_PKT3_PKS4_S4_S5_PS6_PS9_PS4_,"axG",@progbits,_ZN9rocsparseL35bsr2csr_block_per_row_33_256_kernelILj1024ELj128ELj32E21rocsparse_complex_numIdEiiEEv20rocsparse_direction_T4_S4_21rocsparse_index_base_PKT2_PKT3_PKS4_S4_S5_PS6_PS9_PS4_,comdat
.Lfunc_end271:
	.size	_ZN9rocsparseL35bsr2csr_block_per_row_33_256_kernelILj1024ELj128ELj32E21rocsparse_complex_numIdEiiEEv20rocsparse_direction_T4_S4_21rocsparse_index_base_PKT2_PKT3_PKS4_S4_S5_PS6_PS9_PS4_, .Lfunc_end271-_ZN9rocsparseL35bsr2csr_block_per_row_33_256_kernelILj1024ELj128ELj32E21rocsparse_complex_numIdEiiEEv20rocsparse_direction_T4_S4_21rocsparse_index_base_PKT2_PKT3_PKS4_S4_S5_PS6_PS9_PS4_
                                        ; -- End function
	.set _ZN9rocsparseL35bsr2csr_block_per_row_33_256_kernelILj1024ELj128ELj32E21rocsparse_complex_numIdEiiEEv20rocsparse_direction_T4_S4_21rocsparse_index_base_PKT2_PKT3_PKS4_S4_S5_PS6_PS9_PS4_.num_vgpr, 29
	.set _ZN9rocsparseL35bsr2csr_block_per_row_33_256_kernelILj1024ELj128ELj32E21rocsparse_complex_numIdEiiEEv20rocsparse_direction_T4_S4_21rocsparse_index_base_PKT2_PKT3_PKS4_S4_S5_PS6_PS9_PS4_.num_agpr, 0
	.set _ZN9rocsparseL35bsr2csr_block_per_row_33_256_kernelILj1024ELj128ELj32E21rocsparse_complex_numIdEiiEEv20rocsparse_direction_T4_S4_21rocsparse_index_base_PKT2_PKT3_PKS4_S4_S5_PS6_PS9_PS4_.numbered_sgpr, 36
	.set _ZN9rocsparseL35bsr2csr_block_per_row_33_256_kernelILj1024ELj128ELj32E21rocsparse_complex_numIdEiiEEv20rocsparse_direction_T4_S4_21rocsparse_index_base_PKT2_PKT3_PKS4_S4_S5_PS6_PS9_PS4_.num_named_barrier, 0
	.set _ZN9rocsparseL35bsr2csr_block_per_row_33_256_kernelILj1024ELj128ELj32E21rocsparse_complex_numIdEiiEEv20rocsparse_direction_T4_S4_21rocsparse_index_base_PKT2_PKT3_PKS4_S4_S5_PS6_PS9_PS4_.private_seg_size, 0
	.set _ZN9rocsparseL35bsr2csr_block_per_row_33_256_kernelILj1024ELj128ELj32E21rocsparse_complex_numIdEiiEEv20rocsparse_direction_T4_S4_21rocsparse_index_base_PKT2_PKT3_PKS4_S4_S5_PS6_PS9_PS4_.uses_vcc, 1
	.set _ZN9rocsparseL35bsr2csr_block_per_row_33_256_kernelILj1024ELj128ELj32E21rocsparse_complex_numIdEiiEEv20rocsparse_direction_T4_S4_21rocsparse_index_base_PKT2_PKT3_PKS4_S4_S5_PS6_PS9_PS4_.uses_flat_scratch, 0
	.set _ZN9rocsparseL35bsr2csr_block_per_row_33_256_kernelILj1024ELj128ELj32E21rocsparse_complex_numIdEiiEEv20rocsparse_direction_T4_S4_21rocsparse_index_base_PKT2_PKT3_PKS4_S4_S5_PS6_PS9_PS4_.has_dyn_sized_stack, 0
	.set _ZN9rocsparseL35bsr2csr_block_per_row_33_256_kernelILj1024ELj128ELj32E21rocsparse_complex_numIdEiiEEv20rocsparse_direction_T4_S4_21rocsparse_index_base_PKT2_PKT3_PKS4_S4_S5_PS6_PS9_PS4_.has_recursion, 0
	.set _ZN9rocsparseL35bsr2csr_block_per_row_33_256_kernelILj1024ELj128ELj32E21rocsparse_complex_numIdEiiEEv20rocsparse_direction_T4_S4_21rocsparse_index_base_PKT2_PKT3_PKS4_S4_S5_PS6_PS9_PS4_.has_indirect_call, 0
	.section	.AMDGPU.csdata,"",@progbits
; Kernel info:
; codeLenInByte = 2612
; TotalNumSgprs: 38
; NumVgprs: 29
; ScratchSize: 0
; MemoryBound: 0
; FloatMode: 240
; IeeeMode: 1
; LDSByteSize: 0 bytes/workgroup (compile time only)
; SGPRBlocks: 0
; VGPRBlocks: 1
; NumSGPRsForWavesPerEU: 38
; NumVGPRsForWavesPerEU: 29
; NamedBarCnt: 0
; Occupancy: 16
; WaveLimiterHint : 0
; COMPUTE_PGM_RSRC2:SCRATCH_EN: 0
; COMPUTE_PGM_RSRC2:USER_SGPR: 2
; COMPUTE_PGM_RSRC2:TRAP_HANDLER: 0
; COMPUTE_PGM_RSRC2:TGID_X_EN: 1
; COMPUTE_PGM_RSRC2:TGID_Y_EN: 0
; COMPUTE_PGM_RSRC2:TGID_Z_EN: 0
; COMPUTE_PGM_RSRC2:TIDIG_COMP_CNT: 0
	.section	.text._ZN9rocsparseL35bsr2csr_block_per_row_33_256_kernelILj1024ELj256ELj32E21rocsparse_complex_numIdEiiEEv20rocsparse_direction_T4_S4_21rocsparse_index_base_PKT2_PKT3_PKS4_S4_S5_PS6_PS9_PS4_,"axG",@progbits,_ZN9rocsparseL35bsr2csr_block_per_row_33_256_kernelILj1024ELj256ELj32E21rocsparse_complex_numIdEiiEEv20rocsparse_direction_T4_S4_21rocsparse_index_base_PKT2_PKT3_PKS4_S4_S5_PS6_PS9_PS4_,comdat
	.globl	_ZN9rocsparseL35bsr2csr_block_per_row_33_256_kernelILj1024ELj256ELj32E21rocsparse_complex_numIdEiiEEv20rocsparse_direction_T4_S4_21rocsparse_index_base_PKT2_PKT3_PKS4_S4_S5_PS6_PS9_PS4_ ; -- Begin function _ZN9rocsparseL35bsr2csr_block_per_row_33_256_kernelILj1024ELj256ELj32E21rocsparse_complex_numIdEiiEEv20rocsparse_direction_T4_S4_21rocsparse_index_base_PKT2_PKT3_PKS4_S4_S5_PS6_PS9_PS4_
	.p2align	8
	.type	_ZN9rocsparseL35bsr2csr_block_per_row_33_256_kernelILj1024ELj256ELj32E21rocsparse_complex_numIdEiiEEv20rocsparse_direction_T4_S4_21rocsparse_index_base_PKT2_PKT3_PKS4_S4_S5_PS6_PS9_PS4_,@function
_ZN9rocsparseL35bsr2csr_block_per_row_33_256_kernelILj1024ELj256ELj32E21rocsparse_complex_numIdEiiEEv20rocsparse_direction_T4_S4_21rocsparse_index_base_PKT2_PKT3_PKS4_S4_S5_PS6_PS9_PS4_: ; @_ZN9rocsparseL35bsr2csr_block_per_row_33_256_kernelILj1024ELj256ELj32E21rocsparse_complex_numIdEiiEEv20rocsparse_direction_T4_S4_21rocsparse_index_base_PKT2_PKT3_PKS4_S4_S5_PS6_PS9_PS4_
; %bb.0:
	s_load_b64 s[2:3], s[0:1], 0x18
	s_bfe_u32 s4, ttmp6, 0x4000c
	s_and_b32 s5, ttmp6, 15
	s_add_co_i32 s4, s4, 1
	s_getreg_b32 s6, hwreg(HW_REG_IB_STS2, 6, 4)
	s_mul_i32 s4, ttmp9, s4
	s_clause 0x1
	s_load_b64 s[16:17], s[0:1], 0x28
	s_load_b64 s[10:11], s[0:1], 0x38
	s_add_co_i32 s5, s5, s4
	s_cmp_eq_u32 s6, 0
	s_cselect_b32 s4, ttmp9, s5
	s_delay_alu instid0(SALU_CYCLE_1)
	s_ashr_i32 s5, s4, 31
	v_or_b32_e32 v1, s4, v0
	s_lshl_b64 s[6:7], s[4:5], 2
	s_wait_kmcnt 0x0
	s_add_nc_u64 s[2:3], s[2:3], s[6:7]
	s_load_b64 s[26:27], s[2:3], 0x0
	s_wait_xcnt 0x0
	s_mov_b32 s2, exec_lo
	v_cmpx_eq_u32_e32 0, v1
	s_cbranch_execz .LBB272_2
; %bb.1:
	v_dual_mov_b32 v1, 0 :: v_dual_mov_b32 v2, s17
	global_store_b32 v1, v2, s[10:11]
.LBB272_2:
	s_wait_xcnt 0x0
	s_or_b32 exec_lo, exec_lo, s2
	s_load_b32 s30, s[0:1], 0xc
	v_lshrrev_b32_e32 v2, 5, v0
	s_mul_i32 s12, s16, s4
	s_delay_alu instid0(VALU_DEP_1)
	v_cmp_gt_i32_e64 s2, s16, v2
	s_wait_kmcnt 0x0
	s_sub_co_i32 s18, s26, s30
	s_sub_co_i32 s31, s27, s30
	s_mul_i32 s19, s16, s18
	s_sub_co_i32 s86, s31, s18
	s_mul_i32 s3, s19, s16
	s_mul_i32 s14, s86, s16
	s_add_co_i32 s15, s3, s17
	s_delay_alu instid0(SALU_CYCLE_1)
	s_add_co_i32 s15, s15, s14
	s_and_saveexec_b32 s3, s2
	s_cbranch_execz .LBB272_4
; %bb.3:
	v_mad_u32 v1, v2, s14, s15
	v_add_nc_u32_e32 v3, s12, v2
	global_store_b32 v3, v1, s[10:11] offset:4 scale_offset
.LBB272_4:
	s_wait_xcnt 0x0
	s_or_b32 exec_lo, exec_lo, s3
	v_or_b32_e32 v1, 32, v2
	s_delay_alu instid0(VALU_DEP_1)
	v_cmp_gt_i32_e64 s3, s16, v1
	s_and_saveexec_b32 s4, s3
	s_cbranch_execz .LBB272_6
; %bb.5:
	v_mov_b32_e32 v3, 0
	s_ashr_i32 s13, s12, 31
	v_mad_u32 v1, v1, s14, s15
	s_delay_alu instid0(VALU_DEP_2) | instskip(NEXT) | instid1(VALU_DEP_1)
	v_add_nc_u64_e32 v[4:5], s[12:13], v[2:3]
	v_lshl_add_u64 v[4:5], v[4:5], 2, s[10:11]
	global_store_b32 v[4:5], v1, off offset:132
.LBB272_6:
	s_wait_xcnt 0x0
	s_or_b32 exec_lo, exec_lo, s4
	v_or_b32_e32 v1, 64, v2
	s_delay_alu instid0(VALU_DEP_1)
	v_cmp_gt_i32_e64 s5, s16, v1
	s_and_saveexec_b32 s4, s5
	s_cbranch_execz .LBB272_8
; %bb.7:
	v_mov_b32_e32 v3, 0
	s_ashr_i32 s13, s12, 31
	v_mad_u32 v1, v1, s14, s15
	s_delay_alu instid0(VALU_DEP_2) | instskip(NEXT) | instid1(VALU_DEP_1)
	v_add_nc_u64_e32 v[4:5], s[12:13], v[2:3]
	v_lshl_add_u64 v[4:5], v[4:5], 2, s[10:11]
	global_store_b32 v[4:5], v1, off offset:260
.LBB272_8:
	;; [unrolled: 16-line block ×7, first 2 shown]
	s_wait_xcnt 0x0
	s_or_b32 exec_lo, exec_lo, s20
	s_cmp_lt_i32 s26, s27
	s_cbranch_scc0 .LBB272_149
; %bb.19:
	s_clause 0x3
	s_load_b64 s[28:29], s[0:1], 0x20
	s_load_b32 s11, s[0:1], 0x0
	s_load_b64 s[20:21], s[0:1], 0x10
	s_load_b64 s[22:23], s[0:1], 0x30
	v_mad_u32 v31, v2, s86, s19
	v_dual_add_nc_u32 v22, s19, v2 :: v_dual_bitop2_b32 v0, 31, v0 bitop3:0x40
	s_load_b64 s[24:25], s[0:1], 0x40
	s_mul_i32 s33, s16, s16
	s_mov_b32 s34, 0
	s_wait_xcnt 0x0
	v_cmp_gt_i32_e64 s0, s16, v0
	v_add_nc_u32_e32 v26, 0xe0, v22
	v_dual_add_nc_u32 v14, s19, v0 :: v_dual_bitop2_b32 v1, 32, v0 bitop3:0x54
	v_or_b32_e32 v3, 64, v0
	v_mad_u32 v23, 0xe0, s27, v31
	v_mad_u32 v24, 0xc0, s27, v31
	;; [unrolled: 1-line block ×5, first 2 shown]
	v_add_nc_u32_e32 v13, 0xa0, v14
	s_wait_kmcnt 0x0
	s_cmp_eq_u32 s11, 0
	v_add_nc_u32_e32 v15, 0x80, v14
	s_cselect_b32 vcc_lo, -1, 0
	s_and_b32 s35, s2, s0
	s_and_b32 s42, s3, s0
	;; [unrolled: 1-line block ×8, first 2 shown]
	s_mul_i32 s0, s26, 0xe0
	v_add_nc_u32_e32 v11, 0xe0, v14
	v_subrev_nc_u32_e32 v27, s0, v23
	v_mad_u32 v23, s16, v26, v0
	v_mad_u32 v26, 0x60, s27, v31
	v_add_nc_u32_e32 v12, 0xc0, v14
	v_add_nc_u32_e32 v16, 0x60, v14
	v_dual_add_nc_u32 v17, 64, v14 :: v_dual_add_nc_u32 v18, 32, v14
	v_add_nc_u32_e32 v19, 32, v22
	v_add_nc_u32_e32 v25, 0xc0, v22
	v_cmp_gt_i32_e64 s1, s16, v1
	s_mul_i32 s0, s26, 0xc0
	v_mad_u32 v11, s16, v11, v2
	v_mad_u32 v12, s16, v12, v2
	v_mad_u32 v13, s16, v13, v2
	v_mad_u32 v14, s16, v15, v2
	v_mad_u32 v15, s16, v16, v2
	v_mad_u32 v16, s16, v17, v2
	v_mad_u32 v2, s16, v18, v2
	v_add_nc_u32_e32 v18, 64, v22
	v_mad_u32 v17, s16, v19, v0
	v_add_nc_u32_e32 v19, 0x60, v22
	v_add_nc_u32_e32 v20, 0x80, v22
	;; [unrolled: 1-line block ×3, first 2 shown]
	v_mad_u32 v22, s16, v25, v0
	v_subrev_nc_u32_e32 v25, s0, v24
	v_mul_lo_u32 v24, s16, v27
	v_lshl_add_u32 v27, s27, 7, v31
	s_mul_i32 s0, s26, 0xa0
	v_lshl_add_u32 v29, s27, 6, v31
	v_lshl_add_u32 v30, s27, 5, v31
	s_and_b32 s36, s2, s1
	s_and_b32 s43, s3, s1
	;; [unrolled: 1-line block ×8, first 2 shown]
	s_lshl_b32 s1, s26, 7
	v_subrev_nc_u32_e32 v28, s0, v28
	s_mul_i32 s0, s26, 0x60
	v_subrev_nc_u32_e32 v27, s1, v27
	v_subrev_nc_u32_e32 v32, s0, v26
	s_lshl_b32 s0, s26, 6
	s_lshl_b32 s1, s26, 5
	v_subrev_nc_u32_e32 v29, s0, v29
	v_subrev_nc_u32_e32 v30, s1, v30
	v_or_b32_e32 v4, 0x60, v0
	v_or_b32_e32 v5, 0x80, v0
	;; [unrolled: 1-line block ×5, first 2 shown]
	v_mad_u32 v18, s16, v18, v0
	v_mad_u32 v19, s16, v19, v0
	v_mad_u32 v20, s16, v20, v0
	v_mad_u32 v21, s16, v21, v0
	v_mul_lo_u32 v25, s16, v25
	v_mul_lo_u32 v26, s16, v28
	;; [unrolled: 1-line block ×7, first 2 shown]
	v_cmp_gt_i32_e64 s10, s16, v3
	v_cmp_gt_i32_e64 s11, s16, v4
	;; [unrolled: 1-line block ×6, first 2 shown]
	s_ashr_i32 s19, s18, 31
	v_dual_cndmask_b32 v32, v9, v8 :: v_dual_cndmask_b32 v33, v2, v17
	s_lshl_b64 s[0:1], s[18:19], 2
	s_and_b32 s37, s2, s10
	s_and_b32 s38, s2, s11
	;; [unrolled: 1-line block ×48, first 2 shown]
	s_add_nc_u64 s[0:1], s[28:29], s[0:1]
	s_branch .LBB272_21
.LBB272_20:                             ;   in Loop: Header=BB272_21 Depth=1
	s_wait_xcnt 0x0
	s_or_b32 exec_lo, exec_lo, s15
	v_dual_add_nc_u32 v24, s16, v24 :: v_dual_add_nc_u32 v25, s16, v25
	v_dual_add_nc_u32 v26, s16, v26 :: v_dual_add_nc_u32 v27, s16, v27
	v_dual_add_nc_u32 v28, s16, v28 :: v_dual_add_nc_u32 v29, s16, v29
	v_dual_add_nc_u32 v30, s16, v30 :: v_dual_add_nc_u32 v31, s16, v31
	s_add_co_i32 s18, s18, 1
	s_add_co_i32 s34, s34, s33
	s_cmp_ge_i32 s18, s31
	s_add_nc_u64 s[0:1], s[0:1], 4
	s_cbranch_scc1 .LBB272_149
.LBB272_21:                             ; =>This Inner Loop Header: Depth=1
	s_load_b32 s15, s[0:1], 0x0
	s_wait_kmcnt 0x0
	s_sub_co_i32 s15, s15, s30
	s_delay_alu instid0(SALU_CYCLE_1) | instskip(NEXT) | instid1(SALU_CYCLE_1)
	s_mul_i32 s15, s15, s16
	s_add_co_i32 s15, s15, s17
	s_delay_alu instid0(SALU_CYCLE_1)
	v_add_nc_u32_e32 v35, s15, v0
	s_and_saveexec_b32 s19, s35
	s_cbranch_execnz .LBB272_85
; %bb.22:                               ;   in Loop: Header=BB272_21 Depth=1
	s_or_b32 exec_lo, exec_lo, s19
	v_add_nc_u32_e32 v34, s15, v1
	s_and_saveexec_b32 s19, s36
	s_cbranch_execnz .LBB272_86
.LBB272_23:                             ;   in Loop: Header=BB272_21 Depth=1
	s_or_b32 exec_lo, exec_lo, s19
	v_add_nc_u32_e32 v36, s15, v3
	s_and_saveexec_b32 s19, s37
	s_cbranch_execnz .LBB272_87
.LBB272_24:                             ;   in Loop: Header=BB272_21 Depth=1
	s_or_b32 exec_lo, exec_lo, s19
	v_add_nc_u32_e32 v37, s15, v4
	s_and_saveexec_b32 s19, s38
	s_cbranch_execnz .LBB272_88
.LBB272_25:                             ;   in Loop: Header=BB272_21 Depth=1
	s_or_b32 exec_lo, exec_lo, s19
	v_add_nc_u32_e32 v38, s15, v5
	s_and_saveexec_b32 s19, s39
	s_cbranch_execnz .LBB272_89
.LBB272_26:                             ;   in Loop: Header=BB272_21 Depth=1
	s_or_b32 exec_lo, exec_lo, s19
	v_add_nc_u32_e32 v39, s15, v6
	s_and_saveexec_b32 s19, s40
	s_cbranch_execnz .LBB272_90
.LBB272_27:                             ;   in Loop: Header=BB272_21 Depth=1
	s_or_b32 exec_lo, exec_lo, s19
	v_add_nc_u32_e32 v40, s15, v7
	s_and_saveexec_b32 s19, s41
	s_cbranch_execnz .LBB272_91
.LBB272_28:                             ;   in Loop: Header=BB272_21 Depth=1
	s_or_b32 exec_lo, exec_lo, s19
	v_add_nc_u32_e32 v41, s15, v10
	s_and_saveexec_b32 s15, s2
	s_cbranch_execnz .LBB272_92
.LBB272_29:                             ;   in Loop: Header=BB272_21 Depth=1
	s_or_b32 exec_lo, exec_lo, s15
	s_and_saveexec_b32 s15, s42
	s_cbranch_execnz .LBB272_93
.LBB272_30:                             ;   in Loop: Header=BB272_21 Depth=1
	s_or_b32 exec_lo, exec_lo, s15
	s_and_saveexec_b32 s15, s43
	s_cbranch_execnz .LBB272_94
.LBB272_31:                             ;   in Loop: Header=BB272_21 Depth=1
	s_or_b32 exec_lo, exec_lo, s15
	s_and_saveexec_b32 s15, s44
	s_cbranch_execnz .LBB272_95
.LBB272_32:                             ;   in Loop: Header=BB272_21 Depth=1
	s_or_b32 exec_lo, exec_lo, s15
	s_and_saveexec_b32 s15, s45
	s_cbranch_execnz .LBB272_96
.LBB272_33:                             ;   in Loop: Header=BB272_21 Depth=1
	s_or_b32 exec_lo, exec_lo, s15
	s_and_saveexec_b32 s15, s46
	s_cbranch_execnz .LBB272_97
.LBB272_34:                             ;   in Loop: Header=BB272_21 Depth=1
	s_or_b32 exec_lo, exec_lo, s15
	s_and_saveexec_b32 s15, s47
	s_cbranch_execnz .LBB272_98
.LBB272_35:                             ;   in Loop: Header=BB272_21 Depth=1
	s_or_b32 exec_lo, exec_lo, s15
	s_and_saveexec_b32 s15, s48
	s_cbranch_execnz .LBB272_99
.LBB272_36:                             ;   in Loop: Header=BB272_21 Depth=1
	s_or_b32 exec_lo, exec_lo, s15
	s_and_saveexec_b32 s15, s3
	s_cbranch_execnz .LBB272_100
.LBB272_37:                             ;   in Loop: Header=BB272_21 Depth=1
	s_or_b32 exec_lo, exec_lo, s15
	s_and_saveexec_b32 s15, s49
	s_cbranch_execnz .LBB272_101
.LBB272_38:                             ;   in Loop: Header=BB272_21 Depth=1
	s_or_b32 exec_lo, exec_lo, s15
	s_and_saveexec_b32 s15, s50
	s_cbranch_execnz .LBB272_102
.LBB272_39:                             ;   in Loop: Header=BB272_21 Depth=1
	s_or_b32 exec_lo, exec_lo, s15
	s_and_saveexec_b32 s15, s51
	s_cbranch_execnz .LBB272_103
.LBB272_40:                             ;   in Loop: Header=BB272_21 Depth=1
	s_or_b32 exec_lo, exec_lo, s15
	s_and_saveexec_b32 s15, s52
	s_cbranch_execnz .LBB272_104
.LBB272_41:                             ;   in Loop: Header=BB272_21 Depth=1
	s_or_b32 exec_lo, exec_lo, s15
	s_and_saveexec_b32 s15, s53
	s_cbranch_execnz .LBB272_105
.LBB272_42:                             ;   in Loop: Header=BB272_21 Depth=1
	s_or_b32 exec_lo, exec_lo, s15
	s_and_saveexec_b32 s15, s54
	s_cbranch_execnz .LBB272_106
.LBB272_43:                             ;   in Loop: Header=BB272_21 Depth=1
	s_or_b32 exec_lo, exec_lo, s15
	s_and_saveexec_b32 s15, s55
	s_cbranch_execnz .LBB272_107
.LBB272_44:                             ;   in Loop: Header=BB272_21 Depth=1
	s_or_b32 exec_lo, exec_lo, s15
	s_and_saveexec_b32 s15, s5
	s_cbranch_execnz .LBB272_108
.LBB272_45:                             ;   in Loop: Header=BB272_21 Depth=1
	s_or_b32 exec_lo, exec_lo, s15
	s_and_saveexec_b32 s15, s56
	s_cbranch_execnz .LBB272_109
.LBB272_46:                             ;   in Loop: Header=BB272_21 Depth=1
	s_or_b32 exec_lo, exec_lo, s15
	s_and_saveexec_b32 s15, s57
	s_cbranch_execnz .LBB272_110
.LBB272_47:                             ;   in Loop: Header=BB272_21 Depth=1
	s_or_b32 exec_lo, exec_lo, s15
	s_and_saveexec_b32 s15, s58
	s_cbranch_execnz .LBB272_111
.LBB272_48:                             ;   in Loop: Header=BB272_21 Depth=1
	s_or_b32 exec_lo, exec_lo, s15
	s_and_saveexec_b32 s15, s59
	s_cbranch_execnz .LBB272_112
.LBB272_49:                             ;   in Loop: Header=BB272_21 Depth=1
	s_or_b32 exec_lo, exec_lo, s15
	s_and_saveexec_b32 s15, s60
	s_cbranch_execnz .LBB272_113
.LBB272_50:                             ;   in Loop: Header=BB272_21 Depth=1
	s_or_b32 exec_lo, exec_lo, s15
	s_and_saveexec_b32 s15, s61
	s_cbranch_execnz .LBB272_114
.LBB272_51:                             ;   in Loop: Header=BB272_21 Depth=1
	s_or_b32 exec_lo, exec_lo, s15
	s_and_saveexec_b32 s15, s62
	s_cbranch_execnz .LBB272_115
.LBB272_52:                             ;   in Loop: Header=BB272_21 Depth=1
	s_or_b32 exec_lo, exec_lo, s15
	s_and_saveexec_b32 s15, s6
	s_cbranch_execnz .LBB272_116
.LBB272_53:                             ;   in Loop: Header=BB272_21 Depth=1
	s_or_b32 exec_lo, exec_lo, s15
	s_and_saveexec_b32 s15, s63
	s_cbranch_execnz .LBB272_117
.LBB272_54:                             ;   in Loop: Header=BB272_21 Depth=1
	s_or_b32 exec_lo, exec_lo, s15
	s_and_saveexec_b32 s15, s64
	s_cbranch_execnz .LBB272_118
.LBB272_55:                             ;   in Loop: Header=BB272_21 Depth=1
	s_or_b32 exec_lo, exec_lo, s15
	s_and_saveexec_b32 s15, s65
	s_cbranch_execnz .LBB272_119
.LBB272_56:                             ;   in Loop: Header=BB272_21 Depth=1
	s_or_b32 exec_lo, exec_lo, s15
	s_and_saveexec_b32 s15, s66
	s_cbranch_execnz .LBB272_120
.LBB272_57:                             ;   in Loop: Header=BB272_21 Depth=1
	s_or_b32 exec_lo, exec_lo, s15
	s_and_saveexec_b32 s15, s67
	s_cbranch_execnz .LBB272_121
.LBB272_58:                             ;   in Loop: Header=BB272_21 Depth=1
	s_or_b32 exec_lo, exec_lo, s15
	s_and_saveexec_b32 s15, s68
	s_cbranch_execnz .LBB272_122
.LBB272_59:                             ;   in Loop: Header=BB272_21 Depth=1
	s_or_b32 exec_lo, exec_lo, s15
	s_and_saveexec_b32 s15, s69
	s_cbranch_execnz .LBB272_123
.LBB272_60:                             ;   in Loop: Header=BB272_21 Depth=1
	s_or_b32 exec_lo, exec_lo, s15
	s_and_saveexec_b32 s15, s7
	s_cbranch_execnz .LBB272_124
.LBB272_61:                             ;   in Loop: Header=BB272_21 Depth=1
	s_or_b32 exec_lo, exec_lo, s15
	s_and_saveexec_b32 s15, s70
	s_cbranch_execnz .LBB272_125
.LBB272_62:                             ;   in Loop: Header=BB272_21 Depth=1
	s_or_b32 exec_lo, exec_lo, s15
	s_and_saveexec_b32 s15, s71
	s_cbranch_execnz .LBB272_126
.LBB272_63:                             ;   in Loop: Header=BB272_21 Depth=1
	s_or_b32 exec_lo, exec_lo, s15
	s_and_saveexec_b32 s15, s72
	s_cbranch_execnz .LBB272_127
.LBB272_64:                             ;   in Loop: Header=BB272_21 Depth=1
	s_or_b32 exec_lo, exec_lo, s15
	s_and_saveexec_b32 s15, s73
	s_cbranch_execnz .LBB272_128
.LBB272_65:                             ;   in Loop: Header=BB272_21 Depth=1
	s_or_b32 exec_lo, exec_lo, s15
	s_and_saveexec_b32 s15, s74
	s_cbranch_execnz .LBB272_129
.LBB272_66:                             ;   in Loop: Header=BB272_21 Depth=1
	s_or_b32 exec_lo, exec_lo, s15
	s_and_saveexec_b32 s15, s75
	s_cbranch_execnz .LBB272_130
.LBB272_67:                             ;   in Loop: Header=BB272_21 Depth=1
	s_or_b32 exec_lo, exec_lo, s15
	s_and_saveexec_b32 s15, s76
	s_cbranch_execnz .LBB272_131
.LBB272_68:                             ;   in Loop: Header=BB272_21 Depth=1
	s_or_b32 exec_lo, exec_lo, s15
	s_and_saveexec_b32 s15, s8
	s_cbranch_execnz .LBB272_132
.LBB272_69:                             ;   in Loop: Header=BB272_21 Depth=1
	s_or_b32 exec_lo, exec_lo, s15
	s_and_saveexec_b32 s15, s77
	s_cbranch_execnz .LBB272_133
.LBB272_70:                             ;   in Loop: Header=BB272_21 Depth=1
	s_or_b32 exec_lo, exec_lo, s15
	s_and_saveexec_b32 s15, s78
	s_cbranch_execnz .LBB272_134
.LBB272_71:                             ;   in Loop: Header=BB272_21 Depth=1
	s_or_b32 exec_lo, exec_lo, s15
	s_and_saveexec_b32 s15, s79
	s_cbranch_execnz .LBB272_135
.LBB272_72:                             ;   in Loop: Header=BB272_21 Depth=1
	s_or_b32 exec_lo, exec_lo, s15
	s_and_saveexec_b32 s15, s80
	s_cbranch_execnz .LBB272_136
.LBB272_73:                             ;   in Loop: Header=BB272_21 Depth=1
	s_or_b32 exec_lo, exec_lo, s15
	s_and_saveexec_b32 s15, s81
	s_cbranch_execnz .LBB272_137
.LBB272_74:                             ;   in Loop: Header=BB272_21 Depth=1
	s_or_b32 exec_lo, exec_lo, s15
	s_and_saveexec_b32 s15, s82
	s_cbranch_execnz .LBB272_138
.LBB272_75:                             ;   in Loop: Header=BB272_21 Depth=1
	s_or_b32 exec_lo, exec_lo, s15
	s_and_saveexec_b32 s15, s83
	s_cbranch_execnz .LBB272_139
.LBB272_76:                             ;   in Loop: Header=BB272_21 Depth=1
	s_or_b32 exec_lo, exec_lo, s15
	s_and_saveexec_b32 s15, s9
	s_cbranch_execnz .LBB272_140
.LBB272_77:                             ;   in Loop: Header=BB272_21 Depth=1
	s_or_b32 exec_lo, exec_lo, s15
	s_and_saveexec_b32 s15, s84
	s_cbranch_execnz .LBB272_141
.LBB272_78:                             ;   in Loop: Header=BB272_21 Depth=1
	s_or_b32 exec_lo, exec_lo, s15
	s_and_saveexec_b32 s15, s85
	s_cbranch_execnz .LBB272_142
.LBB272_79:                             ;   in Loop: Header=BB272_21 Depth=1
	s_or_b32 exec_lo, exec_lo, s15
	s_and_saveexec_b32 s15, s10
	s_cbranch_execnz .LBB272_143
.LBB272_80:                             ;   in Loop: Header=BB272_21 Depth=1
	s_or_b32 exec_lo, exec_lo, s15
	s_and_saveexec_b32 s15, s11
	s_cbranch_execnz .LBB272_144
.LBB272_81:                             ;   in Loop: Header=BB272_21 Depth=1
	s_or_b32 exec_lo, exec_lo, s15
	s_and_saveexec_b32 s15, s12
	s_cbranch_execnz .LBB272_145
.LBB272_82:                             ;   in Loop: Header=BB272_21 Depth=1
	s_or_b32 exec_lo, exec_lo, s15
	s_and_saveexec_b32 s15, s13
	s_cbranch_execnz .LBB272_146
.LBB272_83:                             ;   in Loop: Header=BB272_21 Depth=1
	s_or_b32 exec_lo, exec_lo, s15
	s_and_saveexec_b32 s15, s14
	s_cbranch_execnz .LBB272_147
.LBB272_84:                             ;   in Loop: Header=BB272_21 Depth=1
	s_or_b32 exec_lo, exec_lo, s15
	s_and_saveexec_b32 s15, s4
	s_cbranch_execz .LBB272_20
	s_branch .LBB272_148
.LBB272_85:                             ;   in Loop: Header=BB272_21 Depth=1
	v_add_nc_u32_e32 v34, s34, v32
	global_load_b128 v[36:39], v34, s[20:21] scale_offset
	s_wait_xcnt 0x0
	v_add_nc_u32_e32 v34, v0, v31
	global_store_b32 v34, v35, s[24:25] scale_offset
	s_wait_loadcnt 0x0
	global_store_b128 v34, v[36:39], s[22:23] scale_offset
	s_wait_xcnt 0x0
	s_or_b32 exec_lo, exec_lo, s19
	v_add_nc_u32_e32 v34, s15, v1
	s_and_saveexec_b32 s19, s36
	s_cbranch_execz .LBB272_23
.LBB272_86:                             ;   in Loop: Header=BB272_21 Depth=1
	v_add3_u32 v36, v8, s34, 32
	v_add_nc_u32_e32 v37, s34, v2
	v_add3_u32 v40, v0, v31, 32
	s_delay_alu instid0(VALU_DEP_2)
	v_cndmask_b32_e32 v36, v37, v36, vcc_lo
	global_load_b128 v[36:39], v36, s[20:21] scale_offset
	global_store_b32 v40, v34, s[24:25] scale_offset
	s_wait_loadcnt 0x0
	global_store_b128 v40, v[36:39], s[22:23] scale_offset
	s_wait_xcnt 0x0
	s_or_b32 exec_lo, exec_lo, s19
	v_add_nc_u32_e32 v36, s15, v3
	s_and_saveexec_b32 s19, s37
	s_cbranch_execz .LBB272_24
.LBB272_87:                             ;   in Loop: Header=BB272_21 Depth=1
	v_add3_u32 v37, v8, s34, 64
	v_add_nc_u32_e32 v38, s34, v16
	s_delay_alu instid0(VALU_DEP_1)
	v_cndmask_b32_e32 v37, v38, v37, vcc_lo
	global_load_b128 v[38:41], v37, s[20:21] scale_offset
	s_wait_xcnt 0x0
	v_add3_u32 v37, v0, v31, 64
	global_store_b32 v37, v36, s[24:25] scale_offset
	s_wait_loadcnt 0x0
	global_store_b128 v37, v[38:41], s[22:23] scale_offset
	s_wait_xcnt 0x0
	s_or_b32 exec_lo, exec_lo, s19
	v_add_nc_u32_e32 v37, s15, v4
	s_and_saveexec_b32 s19, s38
	s_cbranch_execz .LBB272_25
.LBB272_88:                             ;   in Loop: Header=BB272_21 Depth=1
	v_add3_u32 v38, v8, s34, 0x60
	v_add_nc_u32_e32 v39, s34, v15
	v_add3_u32 v42, v0, v31, 0x60
	s_delay_alu instid0(VALU_DEP_2)
	v_cndmask_b32_e32 v38, v39, v38, vcc_lo
	global_load_b128 v[38:41], v38, s[20:21] scale_offset
	global_store_b32 v42, v37, s[24:25] scale_offset
	s_wait_loadcnt 0x0
	global_store_b128 v42, v[38:41], s[22:23] scale_offset
	s_wait_xcnt 0x0
	s_or_b32 exec_lo, exec_lo, s19
	v_add_nc_u32_e32 v38, s15, v5
	s_and_saveexec_b32 s19, s39
	s_cbranch_execz .LBB272_26
.LBB272_89:                             ;   in Loop: Header=BB272_21 Depth=1
	v_add3_u32 v39, v8, s34, 0x80
	v_add_nc_u32_e32 v40, s34, v14
	s_delay_alu instid0(VALU_DEP_1)
	v_cndmask_b32_e32 v39, v40, v39, vcc_lo
	global_load_b128 v[40:43], v39, s[20:21] scale_offset
	s_wait_xcnt 0x0
	v_add3_u32 v39, v0, v31, 0x80
	global_store_b32 v39, v38, s[24:25] scale_offset
	s_wait_loadcnt 0x0
	global_store_b128 v39, v[40:43], s[22:23] scale_offset
	s_wait_xcnt 0x0
	s_or_b32 exec_lo, exec_lo, s19
	v_add_nc_u32_e32 v39, s15, v6
	s_and_saveexec_b32 s19, s40
	s_cbranch_execz .LBB272_27
.LBB272_90:                             ;   in Loop: Header=BB272_21 Depth=1
	v_add3_u32 v40, v8, s34, 0xa0
	v_add_nc_u32_e32 v41, s34, v13
	v_add3_u32 v44, v0, v31, 0xa0
	s_delay_alu instid0(VALU_DEP_2)
	v_cndmask_b32_e32 v40, v41, v40, vcc_lo
	global_load_b128 v[40:43], v40, s[20:21] scale_offset
	global_store_b32 v44, v39, s[24:25] scale_offset
	s_wait_loadcnt 0x0
	global_store_b128 v44, v[40:43], s[22:23] scale_offset
	s_wait_xcnt 0x0
	s_or_b32 exec_lo, exec_lo, s19
	v_add_nc_u32_e32 v40, s15, v7
	s_and_saveexec_b32 s19, s41
	s_cbranch_execz .LBB272_28
.LBB272_91:                             ;   in Loop: Header=BB272_21 Depth=1
	v_add3_u32 v41, v8, s34, 0xc0
	v_add_nc_u32_e32 v42, s34, v12
	s_delay_alu instid0(VALU_DEP_1)
	v_cndmask_b32_e32 v41, v42, v41, vcc_lo
	global_load_b128 v[42:45], v41, s[20:21] scale_offset
	s_wait_xcnt 0x0
	v_add3_u32 v41, v0, v31, 0xc0
	global_store_b32 v41, v40, s[24:25] scale_offset
	s_wait_loadcnt 0x0
	global_store_b128 v41, v[42:45], s[22:23] scale_offset
	s_wait_xcnt 0x0
	s_or_b32 exec_lo, exec_lo, s19
	v_add_nc_u32_e32 v41, s15, v10
	s_and_saveexec_b32 s15, s2
	s_cbranch_execz .LBB272_29
.LBB272_92:                             ;   in Loop: Header=BB272_21 Depth=1
	v_add3_u32 v42, v8, s34, 0xe0
	v_add_nc_u32_e32 v43, s34, v11
	v_add3_u32 v46, v0, v31, 0xe0
	s_delay_alu instid0(VALU_DEP_2)
	v_cndmask_b32_e32 v42, v43, v42, vcc_lo
	global_load_b128 v[42:45], v42, s[20:21] scale_offset
	global_store_b32 v46, v41, s[24:25] scale_offset
	s_wait_loadcnt 0x0
	global_store_b128 v46, v[42:45], s[22:23] scale_offset
	s_wait_xcnt 0x0
	s_or_b32 exec_lo, exec_lo, s15
	s_and_saveexec_b32 s15, s42
	s_cbranch_execz .LBB272_30
.LBB272_93:                             ;   in Loop: Header=BB272_21 Depth=1
	v_dual_add_nc_u32 v42, s34, v17 :: v_dual_add_nc_u32 v46, v0, v30
	v_add3_u32 v43, v9, s34, 32
	s_delay_alu instid0(VALU_DEP_1)
	v_cndmask_b32_e32 v42, v43, v42, vcc_lo
	global_load_b128 v[42:45], v42, s[20:21] scale_offset
	global_store_b32 v46, v35, s[24:25] scale_offset
	s_wait_loadcnt 0x0
	global_store_b128 v46, v[42:45], s[22:23] scale_offset
	s_wait_xcnt 0x0
	s_or_b32 exec_lo, exec_lo, s15
	s_and_saveexec_b32 s15, s43
	s_cbranch_execz .LBB272_31
.LBB272_94:                             ;   in Loop: Header=BB272_21 Depth=1
	v_add3_u32 v42, v33, s34, 32
	v_add3_u32 v46, v0, v30, 32
	global_load_b128 v[42:45], v42, s[20:21] scale_offset
	global_store_b32 v46, v34, s[24:25] scale_offset
	s_wait_loadcnt 0x0
	global_store_b128 v46, v[42:45], s[22:23] scale_offset
	s_wait_xcnt 0x0
	s_or_b32 exec_lo, exec_lo, s15
	s_and_saveexec_b32 s15, s44
	s_cbranch_execz .LBB272_32
.LBB272_95:                             ;   in Loop: Header=BB272_21 Depth=1
	v_add3_u32 v42, v17, s34, 64
	v_add3_u32 v43, v16, s34, 32
	;; [unrolled: 1-line block ×3, first 2 shown]
	s_delay_alu instid0(VALU_DEP_2)
	v_cndmask_b32_e32 v42, v43, v42, vcc_lo
	global_load_b128 v[42:45], v42, s[20:21] scale_offset
	global_store_b32 v46, v36, s[24:25] scale_offset
	s_wait_loadcnt 0x0
	global_store_b128 v46, v[42:45], s[22:23] scale_offset
	s_wait_xcnt 0x0
	s_or_b32 exec_lo, exec_lo, s15
	s_and_saveexec_b32 s15, s45
	s_cbranch_execz .LBB272_33
.LBB272_96:                             ;   in Loop: Header=BB272_21 Depth=1
	v_add3_u32 v42, v17, s34, 0x60
	v_add3_u32 v43, v15, s34, 32
	;; [unrolled: 1-line block ×3, first 2 shown]
	s_delay_alu instid0(VALU_DEP_2)
	v_cndmask_b32_e32 v42, v43, v42, vcc_lo
	global_load_b128 v[42:45], v42, s[20:21] scale_offset
	global_store_b32 v46, v37, s[24:25] scale_offset
	s_wait_loadcnt 0x0
	global_store_b128 v46, v[42:45], s[22:23] scale_offset
	s_wait_xcnt 0x0
	s_or_b32 exec_lo, exec_lo, s15
	s_and_saveexec_b32 s15, s46
	s_cbranch_execz .LBB272_34
.LBB272_97:                             ;   in Loop: Header=BB272_21 Depth=1
	v_add3_u32 v42, v17, s34, 0x80
	v_add3_u32 v43, v14, s34, 32
	;; [unrolled: 1-line block ×3, first 2 shown]
	s_delay_alu instid0(VALU_DEP_2)
	v_cndmask_b32_e32 v42, v43, v42, vcc_lo
	global_load_b128 v[42:45], v42, s[20:21] scale_offset
	global_store_b32 v46, v38, s[24:25] scale_offset
	s_wait_loadcnt 0x0
	global_store_b128 v46, v[42:45], s[22:23] scale_offset
	s_wait_xcnt 0x0
	s_or_b32 exec_lo, exec_lo, s15
	s_and_saveexec_b32 s15, s47
	s_cbranch_execz .LBB272_35
.LBB272_98:                             ;   in Loop: Header=BB272_21 Depth=1
	v_add3_u32 v42, v17, s34, 0xa0
	v_add3_u32 v43, v13, s34, 32
	;; [unrolled: 1-line block ×3, first 2 shown]
	s_delay_alu instid0(VALU_DEP_2)
	v_cndmask_b32_e32 v42, v43, v42, vcc_lo
	global_load_b128 v[42:45], v42, s[20:21] scale_offset
	global_store_b32 v46, v39, s[24:25] scale_offset
	s_wait_loadcnt 0x0
	global_store_b128 v46, v[42:45], s[22:23] scale_offset
	s_wait_xcnt 0x0
	s_or_b32 exec_lo, exec_lo, s15
	s_and_saveexec_b32 s15, s48
	s_cbranch_execz .LBB272_36
.LBB272_99:                             ;   in Loop: Header=BB272_21 Depth=1
	v_add3_u32 v42, v17, s34, 0xc0
	v_add3_u32 v43, v12, s34, 32
	v_add3_u32 v46, v0, v30, 0xc0
	s_delay_alu instid0(VALU_DEP_2)
	v_cndmask_b32_e32 v42, v43, v42, vcc_lo
	global_load_b128 v[42:45], v42, s[20:21] scale_offset
	global_store_b32 v46, v40, s[24:25] scale_offset
	s_wait_loadcnt 0x0
	global_store_b128 v46, v[42:45], s[22:23] scale_offset
	s_wait_xcnt 0x0
	s_or_b32 exec_lo, exec_lo, s15
	s_and_saveexec_b32 s15, s3
	s_cbranch_execz .LBB272_37
.LBB272_100:                            ;   in Loop: Header=BB272_21 Depth=1
	v_add3_u32 v42, v17, s34, 0xe0
	v_add3_u32 v43, v11, s34, 32
	;; [unrolled: 1-line block ×3, first 2 shown]
	s_delay_alu instid0(VALU_DEP_2)
	v_cndmask_b32_e32 v42, v43, v42, vcc_lo
	global_load_b128 v[42:45], v42, s[20:21] scale_offset
	global_store_b32 v46, v41, s[24:25] scale_offset
	s_wait_loadcnt 0x0
	global_store_b128 v46, v[42:45], s[22:23] scale_offset
	s_wait_xcnt 0x0
	s_or_b32 exec_lo, exec_lo, s15
	s_and_saveexec_b32 s15, s49
	s_cbranch_execz .LBB272_38
.LBB272_101:                            ;   in Loop: Header=BB272_21 Depth=1
	v_dual_add_nc_u32 v42, s34, v18 :: v_dual_add_nc_u32 v46, v0, v29
	v_add3_u32 v43, v9, s34, 64
	s_delay_alu instid0(VALU_DEP_1)
	v_cndmask_b32_e32 v42, v43, v42, vcc_lo
	global_load_b128 v[42:45], v42, s[20:21] scale_offset
	global_store_b32 v46, v35, s[24:25] scale_offset
	s_wait_loadcnt 0x0
	global_store_b128 v46, v[42:45], s[22:23] scale_offset
	s_wait_xcnt 0x0
	s_or_b32 exec_lo, exec_lo, s15
	s_and_saveexec_b32 s15, s50
	s_cbranch_execz .LBB272_39
.LBB272_102:                            ;   in Loop: Header=BB272_21 Depth=1
	v_add3_u32 v42, v18, s34, 32
	v_add3_u32 v43, v2, s34, 64
	;; [unrolled: 1-line block ×3, first 2 shown]
	s_delay_alu instid0(VALU_DEP_2)
	v_cndmask_b32_e32 v42, v43, v42, vcc_lo
	global_load_b128 v[42:45], v42, s[20:21] scale_offset
	global_store_b32 v46, v34, s[24:25] scale_offset
	s_wait_loadcnt 0x0
	global_store_b128 v46, v[42:45], s[22:23] scale_offset
	s_wait_xcnt 0x0
	s_or_b32 exec_lo, exec_lo, s15
	s_and_saveexec_b32 s15, s51
	s_cbranch_execz .LBB272_40
.LBB272_103:                            ;   in Loop: Header=BB272_21 Depth=1
	v_cndmask_b32_e32 v42, v16, v18, vcc_lo
	v_add3_u32 v46, v0, v29, 64
	s_delay_alu instid0(VALU_DEP_2)
	v_add3_u32 v42, v42, s34, 64
	global_load_b128 v[42:45], v42, s[20:21] scale_offset
	global_store_b32 v46, v36, s[24:25] scale_offset
	s_wait_loadcnt 0x0
	global_store_b128 v46, v[42:45], s[22:23] scale_offset
	s_wait_xcnt 0x0
	s_or_b32 exec_lo, exec_lo, s15
	s_and_saveexec_b32 s15, s52
	s_cbranch_execz .LBB272_41
.LBB272_104:                            ;   in Loop: Header=BB272_21 Depth=1
	v_add3_u32 v42, v18, s34, 0x60
	v_add3_u32 v43, v15, s34, 64
	v_add3_u32 v46, v0, v29, 0x60
	s_delay_alu instid0(VALU_DEP_2)
	v_cndmask_b32_e32 v42, v43, v42, vcc_lo
	global_load_b128 v[42:45], v42, s[20:21] scale_offset
	global_store_b32 v46, v37, s[24:25] scale_offset
	s_wait_loadcnt 0x0
	global_store_b128 v46, v[42:45], s[22:23] scale_offset
	s_wait_xcnt 0x0
	s_or_b32 exec_lo, exec_lo, s15
	s_and_saveexec_b32 s15, s53
	s_cbranch_execz .LBB272_42
.LBB272_105:                            ;   in Loop: Header=BB272_21 Depth=1
	v_add3_u32 v42, v18, s34, 0x80
	v_add3_u32 v43, v14, s34, 64
	;; [unrolled: 1-line block ×3, first 2 shown]
	s_delay_alu instid0(VALU_DEP_2)
	v_cndmask_b32_e32 v42, v43, v42, vcc_lo
	global_load_b128 v[42:45], v42, s[20:21] scale_offset
	global_store_b32 v46, v38, s[24:25] scale_offset
	s_wait_loadcnt 0x0
	global_store_b128 v46, v[42:45], s[22:23] scale_offset
	s_wait_xcnt 0x0
	s_or_b32 exec_lo, exec_lo, s15
	s_and_saveexec_b32 s15, s54
	s_cbranch_execz .LBB272_43
.LBB272_106:                            ;   in Loop: Header=BB272_21 Depth=1
	v_add3_u32 v42, v18, s34, 0xa0
	v_add3_u32 v43, v13, s34, 64
	;; [unrolled: 1-line block ×3, first 2 shown]
	s_delay_alu instid0(VALU_DEP_2)
	v_cndmask_b32_e32 v42, v43, v42, vcc_lo
	global_load_b128 v[42:45], v42, s[20:21] scale_offset
	global_store_b32 v46, v39, s[24:25] scale_offset
	s_wait_loadcnt 0x0
	global_store_b128 v46, v[42:45], s[22:23] scale_offset
	s_wait_xcnt 0x0
	s_or_b32 exec_lo, exec_lo, s15
	s_and_saveexec_b32 s15, s55
	s_cbranch_execz .LBB272_44
.LBB272_107:                            ;   in Loop: Header=BB272_21 Depth=1
	v_add3_u32 v42, v18, s34, 0xc0
	v_add3_u32 v43, v12, s34, 64
	;; [unrolled: 1-line block ×3, first 2 shown]
	s_delay_alu instid0(VALU_DEP_2)
	v_cndmask_b32_e32 v42, v43, v42, vcc_lo
	global_load_b128 v[42:45], v42, s[20:21] scale_offset
	global_store_b32 v46, v40, s[24:25] scale_offset
	s_wait_loadcnt 0x0
	global_store_b128 v46, v[42:45], s[22:23] scale_offset
	s_wait_xcnt 0x0
	s_or_b32 exec_lo, exec_lo, s15
	s_and_saveexec_b32 s15, s5
	s_cbranch_execz .LBB272_45
.LBB272_108:                            ;   in Loop: Header=BB272_21 Depth=1
	v_add3_u32 v42, v18, s34, 0xe0
	v_add3_u32 v43, v11, s34, 64
	;; [unrolled: 1-line block ×3, first 2 shown]
	s_delay_alu instid0(VALU_DEP_2)
	v_cndmask_b32_e32 v42, v43, v42, vcc_lo
	global_load_b128 v[42:45], v42, s[20:21] scale_offset
	global_store_b32 v46, v41, s[24:25] scale_offset
	s_wait_loadcnt 0x0
	global_store_b128 v46, v[42:45], s[22:23] scale_offset
	s_wait_xcnt 0x0
	s_or_b32 exec_lo, exec_lo, s15
	s_and_saveexec_b32 s15, s56
	s_cbranch_execz .LBB272_46
.LBB272_109:                            ;   in Loop: Header=BB272_21 Depth=1
	v_dual_add_nc_u32 v42, s34, v19 :: v_dual_add_nc_u32 v46, v0, v28
	v_add3_u32 v43, v9, s34, 0x60
	s_delay_alu instid0(VALU_DEP_1)
	v_cndmask_b32_e32 v42, v43, v42, vcc_lo
	global_load_b128 v[42:45], v42, s[20:21] scale_offset
	global_store_b32 v46, v35, s[24:25] scale_offset
	s_wait_loadcnt 0x0
	global_store_b128 v46, v[42:45], s[22:23] scale_offset
	s_wait_xcnt 0x0
	s_or_b32 exec_lo, exec_lo, s15
	s_and_saveexec_b32 s15, s57
	s_cbranch_execz .LBB272_47
.LBB272_110:                            ;   in Loop: Header=BB272_21 Depth=1
	v_add3_u32 v42, v19, s34, 32
	v_add3_u32 v43, v2, s34, 0x60
	;; [unrolled: 1-line block ×3, first 2 shown]
	s_delay_alu instid0(VALU_DEP_2)
	v_cndmask_b32_e32 v42, v43, v42, vcc_lo
	global_load_b128 v[42:45], v42, s[20:21] scale_offset
	global_store_b32 v46, v34, s[24:25] scale_offset
	s_wait_loadcnt 0x0
	global_store_b128 v46, v[42:45], s[22:23] scale_offset
	s_wait_xcnt 0x0
	s_or_b32 exec_lo, exec_lo, s15
	s_and_saveexec_b32 s15, s58
	s_cbranch_execz .LBB272_48
.LBB272_111:                            ;   in Loop: Header=BB272_21 Depth=1
	v_add3_u32 v42, v19, s34, 64
	v_add3_u32 v43, v16, s34, 0x60
	;; [unrolled: 1-line block ×3, first 2 shown]
	s_delay_alu instid0(VALU_DEP_2)
	v_cndmask_b32_e32 v42, v43, v42, vcc_lo
	global_load_b128 v[42:45], v42, s[20:21] scale_offset
	global_store_b32 v46, v36, s[24:25] scale_offset
	s_wait_loadcnt 0x0
	global_store_b128 v46, v[42:45], s[22:23] scale_offset
	s_wait_xcnt 0x0
	s_or_b32 exec_lo, exec_lo, s15
	s_and_saveexec_b32 s15, s59
	s_cbranch_execz .LBB272_49
.LBB272_112:                            ;   in Loop: Header=BB272_21 Depth=1
	v_cndmask_b32_e32 v42, v15, v19, vcc_lo
	v_add3_u32 v46, v0, v28, 0x60
	s_delay_alu instid0(VALU_DEP_2)
	v_add3_u32 v42, v42, s34, 0x60
	global_load_b128 v[42:45], v42, s[20:21] scale_offset
	global_store_b32 v46, v37, s[24:25] scale_offset
	s_wait_loadcnt 0x0
	global_store_b128 v46, v[42:45], s[22:23] scale_offset
	s_wait_xcnt 0x0
	s_or_b32 exec_lo, exec_lo, s15
	s_and_saveexec_b32 s15, s60
	s_cbranch_execz .LBB272_50
.LBB272_113:                            ;   in Loop: Header=BB272_21 Depth=1
	v_add3_u32 v42, v19, s34, 0x80
	v_add3_u32 v43, v14, s34, 0x60
	;; [unrolled: 1-line block ×3, first 2 shown]
	s_delay_alu instid0(VALU_DEP_2)
	v_cndmask_b32_e32 v42, v43, v42, vcc_lo
	global_load_b128 v[42:45], v42, s[20:21] scale_offset
	global_store_b32 v46, v38, s[24:25] scale_offset
	s_wait_loadcnt 0x0
	global_store_b128 v46, v[42:45], s[22:23] scale_offset
	s_wait_xcnt 0x0
	s_or_b32 exec_lo, exec_lo, s15
	s_and_saveexec_b32 s15, s61
	s_cbranch_execz .LBB272_51
.LBB272_114:                            ;   in Loop: Header=BB272_21 Depth=1
	v_add3_u32 v42, v19, s34, 0xa0
	v_add3_u32 v43, v13, s34, 0x60
	;; [unrolled: 1-line block ×3, first 2 shown]
	s_delay_alu instid0(VALU_DEP_2)
	v_cndmask_b32_e32 v42, v43, v42, vcc_lo
	global_load_b128 v[42:45], v42, s[20:21] scale_offset
	global_store_b32 v46, v39, s[24:25] scale_offset
	s_wait_loadcnt 0x0
	global_store_b128 v46, v[42:45], s[22:23] scale_offset
	s_wait_xcnt 0x0
	s_or_b32 exec_lo, exec_lo, s15
	s_and_saveexec_b32 s15, s62
	s_cbranch_execz .LBB272_52
.LBB272_115:                            ;   in Loop: Header=BB272_21 Depth=1
	v_add3_u32 v42, v19, s34, 0xc0
	v_add3_u32 v43, v12, s34, 0x60
	;; [unrolled: 1-line block ×3, first 2 shown]
	s_delay_alu instid0(VALU_DEP_2)
	v_cndmask_b32_e32 v42, v43, v42, vcc_lo
	global_load_b128 v[42:45], v42, s[20:21] scale_offset
	global_store_b32 v46, v40, s[24:25] scale_offset
	s_wait_loadcnt 0x0
	global_store_b128 v46, v[42:45], s[22:23] scale_offset
	s_wait_xcnt 0x0
	s_or_b32 exec_lo, exec_lo, s15
	s_and_saveexec_b32 s15, s6
	s_cbranch_execz .LBB272_53
.LBB272_116:                            ;   in Loop: Header=BB272_21 Depth=1
	v_add3_u32 v42, v19, s34, 0xe0
	v_add3_u32 v43, v11, s34, 0x60
	;; [unrolled: 1-line block ×3, first 2 shown]
	s_delay_alu instid0(VALU_DEP_2)
	v_cndmask_b32_e32 v42, v43, v42, vcc_lo
	global_load_b128 v[42:45], v42, s[20:21] scale_offset
	global_store_b32 v46, v41, s[24:25] scale_offset
	s_wait_loadcnt 0x0
	global_store_b128 v46, v[42:45], s[22:23] scale_offset
	s_wait_xcnt 0x0
	s_or_b32 exec_lo, exec_lo, s15
	s_and_saveexec_b32 s15, s63
	s_cbranch_execz .LBB272_54
.LBB272_117:                            ;   in Loop: Header=BB272_21 Depth=1
	v_dual_add_nc_u32 v42, s34, v20 :: v_dual_add_nc_u32 v46, v0, v27
	v_add3_u32 v43, v9, s34, 0x80
	s_delay_alu instid0(VALU_DEP_1)
	v_cndmask_b32_e32 v42, v43, v42, vcc_lo
	global_load_b128 v[42:45], v42, s[20:21] scale_offset
	global_store_b32 v46, v35, s[24:25] scale_offset
	s_wait_loadcnt 0x0
	global_store_b128 v46, v[42:45], s[22:23] scale_offset
	s_wait_xcnt 0x0
	s_or_b32 exec_lo, exec_lo, s15
	s_and_saveexec_b32 s15, s64
	s_cbranch_execz .LBB272_55
.LBB272_118:                            ;   in Loop: Header=BB272_21 Depth=1
	v_add3_u32 v42, v20, s34, 32
	v_add3_u32 v43, v2, s34, 0x80
	;; [unrolled: 1-line block ×3, first 2 shown]
	s_delay_alu instid0(VALU_DEP_2)
	v_cndmask_b32_e32 v42, v43, v42, vcc_lo
	global_load_b128 v[42:45], v42, s[20:21] scale_offset
	global_store_b32 v46, v34, s[24:25] scale_offset
	s_wait_loadcnt 0x0
	global_store_b128 v46, v[42:45], s[22:23] scale_offset
	s_wait_xcnt 0x0
	s_or_b32 exec_lo, exec_lo, s15
	s_and_saveexec_b32 s15, s65
	s_cbranch_execz .LBB272_56
.LBB272_119:                            ;   in Loop: Header=BB272_21 Depth=1
	v_add3_u32 v42, v20, s34, 64
	v_add3_u32 v43, v16, s34, 0x80
	;; [unrolled: 1-line block ×3, first 2 shown]
	s_delay_alu instid0(VALU_DEP_2)
	v_cndmask_b32_e32 v42, v43, v42, vcc_lo
	global_load_b128 v[42:45], v42, s[20:21] scale_offset
	global_store_b32 v46, v36, s[24:25] scale_offset
	s_wait_loadcnt 0x0
	global_store_b128 v46, v[42:45], s[22:23] scale_offset
	s_wait_xcnt 0x0
	s_or_b32 exec_lo, exec_lo, s15
	s_and_saveexec_b32 s15, s66
	s_cbranch_execz .LBB272_57
.LBB272_120:                            ;   in Loop: Header=BB272_21 Depth=1
	v_add3_u32 v42, v20, s34, 0x60
	v_add3_u32 v43, v15, s34, 0x80
	;; [unrolled: 1-line block ×3, first 2 shown]
	s_delay_alu instid0(VALU_DEP_2)
	v_cndmask_b32_e32 v42, v43, v42, vcc_lo
	global_load_b128 v[42:45], v42, s[20:21] scale_offset
	global_store_b32 v46, v37, s[24:25] scale_offset
	s_wait_loadcnt 0x0
	global_store_b128 v46, v[42:45], s[22:23] scale_offset
	s_wait_xcnt 0x0
	s_or_b32 exec_lo, exec_lo, s15
	s_and_saveexec_b32 s15, s67
	s_cbranch_execz .LBB272_58
.LBB272_121:                            ;   in Loop: Header=BB272_21 Depth=1
	v_cndmask_b32_e32 v42, v14, v20, vcc_lo
	v_add3_u32 v46, v0, v27, 0x80
	s_delay_alu instid0(VALU_DEP_2)
	v_add3_u32 v42, v42, s34, 0x80
	global_load_b128 v[42:45], v42, s[20:21] scale_offset
	global_store_b32 v46, v38, s[24:25] scale_offset
	s_wait_loadcnt 0x0
	global_store_b128 v46, v[42:45], s[22:23] scale_offset
	s_wait_xcnt 0x0
	s_or_b32 exec_lo, exec_lo, s15
	s_and_saveexec_b32 s15, s68
	s_cbranch_execz .LBB272_59
.LBB272_122:                            ;   in Loop: Header=BB272_21 Depth=1
	v_add3_u32 v42, v20, s34, 0xa0
	v_add3_u32 v43, v13, s34, 0x80
	;; [unrolled: 1-line block ×3, first 2 shown]
	s_delay_alu instid0(VALU_DEP_2)
	v_cndmask_b32_e32 v42, v43, v42, vcc_lo
	global_load_b128 v[42:45], v42, s[20:21] scale_offset
	global_store_b32 v46, v39, s[24:25] scale_offset
	s_wait_loadcnt 0x0
	global_store_b128 v46, v[42:45], s[22:23] scale_offset
	s_wait_xcnt 0x0
	s_or_b32 exec_lo, exec_lo, s15
	s_and_saveexec_b32 s15, s69
	s_cbranch_execz .LBB272_60
.LBB272_123:                            ;   in Loop: Header=BB272_21 Depth=1
	v_add3_u32 v42, v20, s34, 0xc0
	v_add3_u32 v43, v12, s34, 0x80
	;; [unrolled: 1-line block ×3, first 2 shown]
	s_delay_alu instid0(VALU_DEP_2)
	v_cndmask_b32_e32 v42, v43, v42, vcc_lo
	global_load_b128 v[42:45], v42, s[20:21] scale_offset
	global_store_b32 v46, v40, s[24:25] scale_offset
	s_wait_loadcnt 0x0
	global_store_b128 v46, v[42:45], s[22:23] scale_offset
	s_wait_xcnt 0x0
	s_or_b32 exec_lo, exec_lo, s15
	s_and_saveexec_b32 s15, s7
	s_cbranch_execz .LBB272_61
.LBB272_124:                            ;   in Loop: Header=BB272_21 Depth=1
	v_add3_u32 v42, v20, s34, 0xe0
	v_add3_u32 v43, v11, s34, 0x80
	;; [unrolled: 1-line block ×3, first 2 shown]
	s_delay_alu instid0(VALU_DEP_2)
	v_cndmask_b32_e32 v42, v43, v42, vcc_lo
	global_load_b128 v[42:45], v42, s[20:21] scale_offset
	global_store_b32 v46, v41, s[24:25] scale_offset
	s_wait_loadcnt 0x0
	global_store_b128 v46, v[42:45], s[22:23] scale_offset
	s_wait_xcnt 0x0
	s_or_b32 exec_lo, exec_lo, s15
	s_and_saveexec_b32 s15, s70
	s_cbranch_execz .LBB272_62
.LBB272_125:                            ;   in Loop: Header=BB272_21 Depth=1
	v_dual_add_nc_u32 v42, s34, v21 :: v_dual_add_nc_u32 v46, v0, v26
	v_add3_u32 v43, v9, s34, 0xa0
	s_delay_alu instid0(VALU_DEP_1)
	v_cndmask_b32_e32 v42, v43, v42, vcc_lo
	global_load_b128 v[42:45], v42, s[20:21] scale_offset
	global_store_b32 v46, v35, s[24:25] scale_offset
	s_wait_loadcnt 0x0
	global_store_b128 v46, v[42:45], s[22:23] scale_offset
	s_wait_xcnt 0x0
	s_or_b32 exec_lo, exec_lo, s15
	s_and_saveexec_b32 s15, s71
	s_cbranch_execz .LBB272_63
.LBB272_126:                            ;   in Loop: Header=BB272_21 Depth=1
	v_add3_u32 v42, v21, s34, 32
	v_add3_u32 v43, v2, s34, 0xa0
	;; [unrolled: 1-line block ×3, first 2 shown]
	s_delay_alu instid0(VALU_DEP_2)
	v_cndmask_b32_e32 v42, v43, v42, vcc_lo
	global_load_b128 v[42:45], v42, s[20:21] scale_offset
	global_store_b32 v46, v34, s[24:25] scale_offset
	s_wait_loadcnt 0x0
	global_store_b128 v46, v[42:45], s[22:23] scale_offset
	s_wait_xcnt 0x0
	s_or_b32 exec_lo, exec_lo, s15
	s_and_saveexec_b32 s15, s72
	s_cbranch_execz .LBB272_64
.LBB272_127:                            ;   in Loop: Header=BB272_21 Depth=1
	v_add3_u32 v42, v21, s34, 64
	v_add3_u32 v43, v16, s34, 0xa0
	;; [unrolled: 1-line block ×3, first 2 shown]
	s_delay_alu instid0(VALU_DEP_2)
	v_cndmask_b32_e32 v42, v43, v42, vcc_lo
	global_load_b128 v[42:45], v42, s[20:21] scale_offset
	global_store_b32 v46, v36, s[24:25] scale_offset
	s_wait_loadcnt 0x0
	global_store_b128 v46, v[42:45], s[22:23] scale_offset
	s_wait_xcnt 0x0
	s_or_b32 exec_lo, exec_lo, s15
	s_and_saveexec_b32 s15, s73
	s_cbranch_execz .LBB272_65
.LBB272_128:                            ;   in Loop: Header=BB272_21 Depth=1
	v_add3_u32 v42, v21, s34, 0x60
	v_add3_u32 v43, v15, s34, 0xa0
	;; [unrolled: 1-line block ×3, first 2 shown]
	s_delay_alu instid0(VALU_DEP_2)
	v_cndmask_b32_e32 v42, v43, v42, vcc_lo
	global_load_b128 v[42:45], v42, s[20:21] scale_offset
	global_store_b32 v46, v37, s[24:25] scale_offset
	s_wait_loadcnt 0x0
	global_store_b128 v46, v[42:45], s[22:23] scale_offset
	s_wait_xcnt 0x0
	s_or_b32 exec_lo, exec_lo, s15
	s_and_saveexec_b32 s15, s74
	s_cbranch_execz .LBB272_66
.LBB272_129:                            ;   in Loop: Header=BB272_21 Depth=1
	v_add3_u32 v42, v21, s34, 0x80
	v_add3_u32 v43, v14, s34, 0xa0
	;; [unrolled: 1-line block ×3, first 2 shown]
	s_delay_alu instid0(VALU_DEP_2)
	v_cndmask_b32_e32 v42, v43, v42, vcc_lo
	global_load_b128 v[42:45], v42, s[20:21] scale_offset
	global_store_b32 v46, v38, s[24:25] scale_offset
	s_wait_loadcnt 0x0
	global_store_b128 v46, v[42:45], s[22:23] scale_offset
	s_wait_xcnt 0x0
	s_or_b32 exec_lo, exec_lo, s15
	s_and_saveexec_b32 s15, s75
	s_cbranch_execz .LBB272_67
.LBB272_130:                            ;   in Loop: Header=BB272_21 Depth=1
	v_cndmask_b32_e32 v42, v13, v21, vcc_lo
	v_add3_u32 v46, v0, v26, 0xa0
	s_delay_alu instid0(VALU_DEP_2)
	v_add3_u32 v42, v42, s34, 0xa0
	global_load_b128 v[42:45], v42, s[20:21] scale_offset
	global_store_b32 v46, v39, s[24:25] scale_offset
	s_wait_loadcnt 0x0
	global_store_b128 v46, v[42:45], s[22:23] scale_offset
	s_wait_xcnt 0x0
	s_or_b32 exec_lo, exec_lo, s15
	s_and_saveexec_b32 s15, s76
	s_cbranch_execz .LBB272_68
.LBB272_131:                            ;   in Loop: Header=BB272_21 Depth=1
	v_add3_u32 v42, v21, s34, 0xc0
	v_add3_u32 v43, v12, s34, 0xa0
	;; [unrolled: 1-line block ×3, first 2 shown]
	s_delay_alu instid0(VALU_DEP_2)
	v_cndmask_b32_e32 v42, v43, v42, vcc_lo
	global_load_b128 v[42:45], v42, s[20:21] scale_offset
	global_store_b32 v46, v40, s[24:25] scale_offset
	s_wait_loadcnt 0x0
	global_store_b128 v46, v[42:45], s[22:23] scale_offset
	s_wait_xcnt 0x0
	s_or_b32 exec_lo, exec_lo, s15
	s_and_saveexec_b32 s15, s8
	s_cbranch_execz .LBB272_69
.LBB272_132:                            ;   in Loop: Header=BB272_21 Depth=1
	v_add3_u32 v42, v21, s34, 0xe0
	v_add3_u32 v43, v11, s34, 0xa0
	;; [unrolled: 1-line block ×3, first 2 shown]
	s_delay_alu instid0(VALU_DEP_2)
	v_cndmask_b32_e32 v42, v43, v42, vcc_lo
	global_load_b128 v[42:45], v42, s[20:21] scale_offset
	global_store_b32 v46, v41, s[24:25] scale_offset
	s_wait_loadcnt 0x0
	global_store_b128 v46, v[42:45], s[22:23] scale_offset
	s_wait_xcnt 0x0
	s_or_b32 exec_lo, exec_lo, s15
	s_and_saveexec_b32 s15, s77
	s_cbranch_execz .LBB272_70
.LBB272_133:                            ;   in Loop: Header=BB272_21 Depth=1
	v_dual_add_nc_u32 v42, s34, v22 :: v_dual_add_nc_u32 v46, v0, v25
	v_add3_u32 v43, v9, s34, 0xc0
	s_delay_alu instid0(VALU_DEP_1)
	v_cndmask_b32_e32 v42, v43, v42, vcc_lo
	global_load_b128 v[42:45], v42, s[20:21] scale_offset
	global_store_b32 v46, v35, s[24:25] scale_offset
	s_wait_loadcnt 0x0
	global_store_b128 v46, v[42:45], s[22:23] scale_offset
	s_wait_xcnt 0x0
	s_or_b32 exec_lo, exec_lo, s15
	s_and_saveexec_b32 s15, s78
	s_cbranch_execz .LBB272_71
.LBB272_134:                            ;   in Loop: Header=BB272_21 Depth=1
	v_add3_u32 v42, v22, s34, 32
	v_add3_u32 v43, v2, s34, 0xc0
	;; [unrolled: 1-line block ×3, first 2 shown]
	s_delay_alu instid0(VALU_DEP_2)
	v_cndmask_b32_e32 v42, v43, v42, vcc_lo
	global_load_b128 v[42:45], v42, s[20:21] scale_offset
	global_store_b32 v46, v34, s[24:25] scale_offset
	s_wait_loadcnt 0x0
	global_store_b128 v46, v[42:45], s[22:23] scale_offset
	s_wait_xcnt 0x0
	s_or_b32 exec_lo, exec_lo, s15
	s_and_saveexec_b32 s15, s79
	s_cbranch_execz .LBB272_72
.LBB272_135:                            ;   in Loop: Header=BB272_21 Depth=1
	v_add3_u32 v42, v22, s34, 64
	v_add3_u32 v43, v16, s34, 0xc0
	;; [unrolled: 1-line block ×3, first 2 shown]
	s_delay_alu instid0(VALU_DEP_2)
	v_cndmask_b32_e32 v42, v43, v42, vcc_lo
	global_load_b128 v[42:45], v42, s[20:21] scale_offset
	global_store_b32 v46, v36, s[24:25] scale_offset
	s_wait_loadcnt 0x0
	global_store_b128 v46, v[42:45], s[22:23] scale_offset
	s_wait_xcnt 0x0
	s_or_b32 exec_lo, exec_lo, s15
	s_and_saveexec_b32 s15, s80
	s_cbranch_execz .LBB272_73
.LBB272_136:                            ;   in Loop: Header=BB272_21 Depth=1
	v_add3_u32 v42, v22, s34, 0x60
	v_add3_u32 v43, v15, s34, 0xc0
	;; [unrolled: 1-line block ×3, first 2 shown]
	s_delay_alu instid0(VALU_DEP_2)
	v_cndmask_b32_e32 v42, v43, v42, vcc_lo
	global_load_b128 v[42:45], v42, s[20:21] scale_offset
	global_store_b32 v46, v37, s[24:25] scale_offset
	s_wait_loadcnt 0x0
	global_store_b128 v46, v[42:45], s[22:23] scale_offset
	s_wait_xcnt 0x0
	s_or_b32 exec_lo, exec_lo, s15
	s_and_saveexec_b32 s15, s81
	s_cbranch_execz .LBB272_74
.LBB272_137:                            ;   in Loop: Header=BB272_21 Depth=1
	v_add3_u32 v42, v22, s34, 0x80
	v_add3_u32 v43, v14, s34, 0xc0
	;; [unrolled: 1-line block ×3, first 2 shown]
	s_delay_alu instid0(VALU_DEP_2)
	v_cndmask_b32_e32 v42, v43, v42, vcc_lo
	global_load_b128 v[42:45], v42, s[20:21] scale_offset
	global_store_b32 v46, v38, s[24:25] scale_offset
	s_wait_loadcnt 0x0
	global_store_b128 v46, v[42:45], s[22:23] scale_offset
	s_wait_xcnt 0x0
	s_or_b32 exec_lo, exec_lo, s15
	s_and_saveexec_b32 s15, s82
	s_cbranch_execz .LBB272_75
.LBB272_138:                            ;   in Loop: Header=BB272_21 Depth=1
	v_add3_u32 v42, v22, s34, 0xa0
	v_add3_u32 v43, v13, s34, 0xc0
	;; [unrolled: 1-line block ×3, first 2 shown]
	s_delay_alu instid0(VALU_DEP_2)
	v_cndmask_b32_e32 v42, v43, v42, vcc_lo
	global_load_b128 v[42:45], v42, s[20:21] scale_offset
	global_store_b32 v46, v39, s[24:25] scale_offset
	s_wait_loadcnt 0x0
	global_store_b128 v46, v[42:45], s[22:23] scale_offset
	s_wait_xcnt 0x0
	s_or_b32 exec_lo, exec_lo, s15
	s_and_saveexec_b32 s15, s83
	s_cbranch_execz .LBB272_76
.LBB272_139:                            ;   in Loop: Header=BB272_21 Depth=1
	v_cndmask_b32_e32 v42, v12, v22, vcc_lo
	v_add3_u32 v46, v0, v25, 0xc0
	s_delay_alu instid0(VALU_DEP_2)
	v_add3_u32 v42, v42, s34, 0xc0
	global_load_b128 v[42:45], v42, s[20:21] scale_offset
	global_store_b32 v46, v40, s[24:25] scale_offset
	s_wait_loadcnt 0x0
	global_store_b128 v46, v[42:45], s[22:23] scale_offset
	s_wait_xcnt 0x0
	s_or_b32 exec_lo, exec_lo, s15
	s_and_saveexec_b32 s15, s9
	s_cbranch_execz .LBB272_77
.LBB272_140:                            ;   in Loop: Header=BB272_21 Depth=1
	v_add3_u32 v42, v22, s34, 0xe0
	v_add3_u32 v43, v11, s34, 0xc0
	;; [unrolled: 1-line block ×3, first 2 shown]
	s_delay_alu instid0(VALU_DEP_2)
	v_cndmask_b32_e32 v42, v43, v42, vcc_lo
	global_load_b128 v[42:45], v42, s[20:21] scale_offset
	global_store_b32 v46, v41, s[24:25] scale_offset
	s_wait_loadcnt 0x0
	global_store_b128 v46, v[42:45], s[22:23] scale_offset
	s_wait_xcnt 0x0
	s_or_b32 exec_lo, exec_lo, s15
	s_and_saveexec_b32 s15, s84
	s_cbranch_execz .LBB272_78
.LBB272_141:                            ;   in Loop: Header=BB272_21 Depth=1
	v_dual_add_nc_u32 v42, s34, v23 :: v_dual_add_nc_u32 v46, v0, v24
	v_add3_u32 v43, v9, s34, 0xe0
	s_delay_alu instid0(VALU_DEP_1)
	v_cndmask_b32_e32 v42, v43, v42, vcc_lo
	global_load_b128 v[42:45], v42, s[20:21] scale_offset
	global_store_b32 v46, v35, s[24:25] scale_offset
	s_wait_loadcnt 0x0
	global_store_b128 v46, v[42:45], s[22:23] scale_offset
	s_wait_xcnt 0x0
	s_or_b32 exec_lo, exec_lo, s15
	s_and_saveexec_b32 s15, s85
	s_cbranch_execz .LBB272_79
.LBB272_142:                            ;   in Loop: Header=BB272_21 Depth=1
	v_add3_u32 v35, v23, s34, 32
	v_add3_u32 v42, v2, s34, 0xe0
	s_delay_alu instid0(VALU_DEP_1)
	v_cndmask_b32_e32 v35, v42, v35, vcc_lo
	global_load_b128 v[42:45], v35, s[20:21] scale_offset
	s_wait_xcnt 0x0
	v_add3_u32 v35, v0, v24, 32
	global_store_b32 v35, v34, s[24:25] scale_offset
	s_wait_loadcnt 0x0
	global_store_b128 v35, v[42:45], s[22:23] scale_offset
	s_wait_xcnt 0x0
	s_or_b32 exec_lo, exec_lo, s15
	s_and_saveexec_b32 s15, s10
	s_cbranch_execz .LBB272_80
.LBB272_143:                            ;   in Loop: Header=BB272_21 Depth=1
	v_add3_u32 v34, v23, s34, 64
	v_add3_u32 v35, v16, s34, 0xe0
	s_delay_alu instid0(VALU_DEP_1)
	v_cndmask_b32_e32 v34, v35, v34, vcc_lo
	global_load_b128 v[42:45], v34, s[20:21] scale_offset
	s_wait_xcnt 0x0
	v_add3_u32 v34, v0, v24, 64
	global_store_b32 v34, v36, s[24:25] scale_offset
	s_wait_loadcnt 0x0
	global_store_b128 v34, v[42:45], s[22:23] scale_offset
	s_wait_xcnt 0x0
	s_or_b32 exec_lo, exec_lo, s15
	s_and_saveexec_b32 s15, s11
	s_cbranch_execz .LBB272_81
.LBB272_144:                            ;   in Loop: Header=BB272_21 Depth=1
	v_add3_u32 v34, v23, s34, 0x60
	v_add3_u32 v35, v15, s34, 0xe0
	s_delay_alu instid0(VALU_DEP_1)
	v_cndmask_b32_e32 v34, v35, v34, vcc_lo
	global_load_b128 v[42:45], v34, s[20:21] scale_offset
	s_wait_xcnt 0x0
	v_add3_u32 v34, v0, v24, 0x60
	global_store_b32 v34, v37, s[24:25] scale_offset
	s_wait_loadcnt 0x0
	global_store_b128 v34, v[42:45], s[22:23] scale_offset
	s_wait_xcnt 0x0
	s_or_b32 exec_lo, exec_lo, s15
	s_and_saveexec_b32 s15, s12
	s_cbranch_execz .LBB272_82
.LBB272_145:                            ;   in Loop: Header=BB272_21 Depth=1
	v_add3_u32 v34, v23, s34, 0x80
	v_add3_u32 v35, v14, s34, 0xe0
	;; [unrolled: 1-line block ×3, first 2 shown]
	s_delay_alu instid0(VALU_DEP_2)
	v_cndmask_b32_e32 v34, v35, v34, vcc_lo
	global_load_b128 v[34:37], v34, s[20:21] scale_offset
	global_store_b32 v42, v38, s[24:25] scale_offset
	s_wait_loadcnt 0x0
	global_store_b128 v42, v[34:37], s[22:23] scale_offset
	s_wait_xcnt 0x0
	s_or_b32 exec_lo, exec_lo, s15
	s_and_saveexec_b32 s15, s13
	s_cbranch_execz .LBB272_83
.LBB272_146:                            ;   in Loop: Header=BB272_21 Depth=1
	v_add3_u32 v34, v23, s34, 0xa0
	v_add3_u32 v35, v13, s34, 0xe0
	;; [unrolled: 1-line block ×3, first 2 shown]
	s_delay_alu instid0(VALU_DEP_2)
	v_cndmask_b32_e32 v34, v35, v34, vcc_lo
	global_load_b128 v[34:37], v34, s[20:21] scale_offset
	global_store_b32 v38, v39, s[24:25] scale_offset
	s_wait_loadcnt 0x0
	global_store_b128 v38, v[34:37], s[22:23] scale_offset
	s_wait_xcnt 0x0
	s_or_b32 exec_lo, exec_lo, s15
	s_and_saveexec_b32 s15, s14
	s_cbranch_execz .LBB272_84
.LBB272_147:                            ;   in Loop: Header=BB272_21 Depth=1
	v_add3_u32 v34, v23, s34, 0xc0
	v_add3_u32 v35, v12, s34, 0xe0
	;; [unrolled: 1-line block ×3, first 2 shown]
	s_delay_alu instid0(VALU_DEP_2)
	v_cndmask_b32_e32 v34, v35, v34, vcc_lo
	global_load_b128 v[34:37], v34, s[20:21] scale_offset
	global_store_b32 v38, v40, s[24:25] scale_offset
	s_wait_loadcnt 0x0
	global_store_b128 v38, v[34:37], s[22:23] scale_offset
	s_wait_xcnt 0x0
	s_or_b32 exec_lo, exec_lo, s15
	s_and_saveexec_b32 s15, s4
	s_cbranch_execz .LBB272_20
.LBB272_148:                            ;   in Loop: Header=BB272_21 Depth=1
	v_cndmask_b32_e32 v34, v11, v23, vcc_lo
	v_add3_u32 v38, v0, v24, 0xe0
	s_delay_alu instid0(VALU_DEP_2)
	v_add3_u32 v34, v34, s34, 0xe0
	global_load_b128 v[34:37], v34, s[20:21] scale_offset
	global_store_b32 v38, v41, s[24:25] scale_offset
	s_wait_loadcnt 0x0
	global_store_b128 v38, v[34:37], s[22:23] scale_offset
	s_branch .LBB272_20
.LBB272_149:
	s_endpgm
	.section	.rodata,"a",@progbits
	.p2align	6, 0x0
	.amdhsa_kernel _ZN9rocsparseL35bsr2csr_block_per_row_33_256_kernelILj1024ELj256ELj32E21rocsparse_complex_numIdEiiEEv20rocsparse_direction_T4_S4_21rocsparse_index_base_PKT2_PKT3_PKS4_S4_S5_PS6_PS9_PS4_
		.amdhsa_group_segment_fixed_size 0
		.amdhsa_private_segment_fixed_size 0
		.amdhsa_kernarg_size 72
		.amdhsa_user_sgpr_count 2
		.amdhsa_user_sgpr_dispatch_ptr 0
		.amdhsa_user_sgpr_queue_ptr 0
		.amdhsa_user_sgpr_kernarg_segment_ptr 1
		.amdhsa_user_sgpr_dispatch_id 0
		.amdhsa_user_sgpr_kernarg_preload_length 0
		.amdhsa_user_sgpr_kernarg_preload_offset 0
		.amdhsa_user_sgpr_private_segment_size 0
		.amdhsa_wavefront_size32 1
		.amdhsa_uses_dynamic_stack 0
		.amdhsa_enable_private_segment 0
		.amdhsa_system_sgpr_workgroup_id_x 1
		.amdhsa_system_sgpr_workgroup_id_y 0
		.amdhsa_system_sgpr_workgroup_id_z 0
		.amdhsa_system_sgpr_workgroup_info 0
		.amdhsa_system_vgpr_workitem_id 0
		.amdhsa_next_free_vgpr 47
		.amdhsa_next_free_sgpr 87
		.amdhsa_named_barrier_count 0
		.amdhsa_reserve_vcc 1
		.amdhsa_float_round_mode_32 0
		.amdhsa_float_round_mode_16_64 0
		.amdhsa_float_denorm_mode_32 3
		.amdhsa_float_denorm_mode_16_64 3
		.amdhsa_fp16_overflow 0
		.amdhsa_memory_ordered 1
		.amdhsa_forward_progress 1
		.amdhsa_inst_pref_size 68
		.amdhsa_round_robin_scheduling 0
		.amdhsa_exception_fp_ieee_invalid_op 0
		.amdhsa_exception_fp_denorm_src 0
		.amdhsa_exception_fp_ieee_div_zero 0
		.amdhsa_exception_fp_ieee_overflow 0
		.amdhsa_exception_fp_ieee_underflow 0
		.amdhsa_exception_fp_ieee_inexact 0
		.amdhsa_exception_int_div_zero 0
	.end_amdhsa_kernel
	.section	.text._ZN9rocsparseL35bsr2csr_block_per_row_33_256_kernelILj1024ELj256ELj32E21rocsparse_complex_numIdEiiEEv20rocsparse_direction_T4_S4_21rocsparse_index_base_PKT2_PKT3_PKS4_S4_S5_PS6_PS9_PS4_,"axG",@progbits,_ZN9rocsparseL35bsr2csr_block_per_row_33_256_kernelILj1024ELj256ELj32E21rocsparse_complex_numIdEiiEEv20rocsparse_direction_T4_S4_21rocsparse_index_base_PKT2_PKT3_PKS4_S4_S5_PS6_PS9_PS4_,comdat
.Lfunc_end272:
	.size	_ZN9rocsparseL35bsr2csr_block_per_row_33_256_kernelILj1024ELj256ELj32E21rocsparse_complex_numIdEiiEEv20rocsparse_direction_T4_S4_21rocsparse_index_base_PKT2_PKT3_PKS4_S4_S5_PS6_PS9_PS4_, .Lfunc_end272-_ZN9rocsparseL35bsr2csr_block_per_row_33_256_kernelILj1024ELj256ELj32E21rocsparse_complex_numIdEiiEEv20rocsparse_direction_T4_S4_21rocsparse_index_base_PKT2_PKT3_PKS4_S4_S5_PS6_PS9_PS4_
                                        ; -- End function
	.set _ZN9rocsparseL35bsr2csr_block_per_row_33_256_kernelILj1024ELj256ELj32E21rocsparse_complex_numIdEiiEEv20rocsparse_direction_T4_S4_21rocsparse_index_base_PKT2_PKT3_PKS4_S4_S5_PS6_PS9_PS4_.num_vgpr, 47
	.set _ZN9rocsparseL35bsr2csr_block_per_row_33_256_kernelILj1024ELj256ELj32E21rocsparse_complex_numIdEiiEEv20rocsparse_direction_T4_S4_21rocsparse_index_base_PKT2_PKT3_PKS4_S4_S5_PS6_PS9_PS4_.num_agpr, 0
	.set _ZN9rocsparseL35bsr2csr_block_per_row_33_256_kernelILj1024ELj256ELj32E21rocsparse_complex_numIdEiiEEv20rocsparse_direction_T4_S4_21rocsparse_index_base_PKT2_PKT3_PKS4_S4_S5_PS6_PS9_PS4_.numbered_sgpr, 87
	.set _ZN9rocsparseL35bsr2csr_block_per_row_33_256_kernelILj1024ELj256ELj32E21rocsparse_complex_numIdEiiEEv20rocsparse_direction_T4_S4_21rocsparse_index_base_PKT2_PKT3_PKS4_S4_S5_PS6_PS9_PS4_.num_named_barrier, 0
	.set _ZN9rocsparseL35bsr2csr_block_per_row_33_256_kernelILj1024ELj256ELj32E21rocsparse_complex_numIdEiiEEv20rocsparse_direction_T4_S4_21rocsparse_index_base_PKT2_PKT3_PKS4_S4_S5_PS6_PS9_PS4_.private_seg_size, 0
	.set _ZN9rocsparseL35bsr2csr_block_per_row_33_256_kernelILj1024ELj256ELj32E21rocsparse_complex_numIdEiiEEv20rocsparse_direction_T4_S4_21rocsparse_index_base_PKT2_PKT3_PKS4_S4_S5_PS6_PS9_PS4_.uses_vcc, 1
	.set _ZN9rocsparseL35bsr2csr_block_per_row_33_256_kernelILj1024ELj256ELj32E21rocsparse_complex_numIdEiiEEv20rocsparse_direction_T4_S4_21rocsparse_index_base_PKT2_PKT3_PKS4_S4_S5_PS6_PS9_PS4_.uses_flat_scratch, 0
	.set _ZN9rocsparseL35bsr2csr_block_per_row_33_256_kernelILj1024ELj256ELj32E21rocsparse_complex_numIdEiiEEv20rocsparse_direction_T4_S4_21rocsparse_index_base_PKT2_PKT3_PKS4_S4_S5_PS6_PS9_PS4_.has_dyn_sized_stack, 0
	.set _ZN9rocsparseL35bsr2csr_block_per_row_33_256_kernelILj1024ELj256ELj32E21rocsparse_complex_numIdEiiEEv20rocsparse_direction_T4_S4_21rocsparse_index_base_PKT2_PKT3_PKS4_S4_S5_PS6_PS9_PS4_.has_recursion, 0
	.set _ZN9rocsparseL35bsr2csr_block_per_row_33_256_kernelILj1024ELj256ELj32E21rocsparse_complex_numIdEiiEEv20rocsparse_direction_T4_S4_21rocsparse_index_base_PKT2_PKT3_PKS4_S4_S5_PS6_PS9_PS4_.has_indirect_call, 0
	.section	.AMDGPU.csdata,"",@progbits
; Kernel info:
; codeLenInByte = 8636
; TotalNumSgprs: 89
; NumVgprs: 47
; ScratchSize: 0
; MemoryBound: 0
; FloatMode: 240
; IeeeMode: 1
; LDSByteSize: 0 bytes/workgroup (compile time only)
; SGPRBlocks: 0
; VGPRBlocks: 2
; NumSGPRsForWavesPerEU: 89
; NumVGPRsForWavesPerEU: 47
; NamedBarCnt: 0
; Occupancy: 16
; WaveLimiterHint : 0
; COMPUTE_PGM_RSRC2:SCRATCH_EN: 0
; COMPUTE_PGM_RSRC2:USER_SGPR: 2
; COMPUTE_PGM_RSRC2:TRAP_HANDLER: 0
; COMPUTE_PGM_RSRC2:TGID_X_EN: 1
; COMPUTE_PGM_RSRC2:TGID_Y_EN: 0
; COMPUTE_PGM_RSRC2:TGID_Z_EN: 0
; COMPUTE_PGM_RSRC2:TIDIG_COMP_CNT: 0
	.section	.text._ZN9rocsparseL35bsr2csr_block_dim_equals_one_kernelILj1024E21rocsparse_complex_numIdEliEEvT2_S3_21rocsparse_index_base_PKT0_PKT1_PKS3_S4_PS5_PS8_PS3_,"axG",@progbits,_ZN9rocsparseL35bsr2csr_block_dim_equals_one_kernelILj1024E21rocsparse_complex_numIdEliEEvT2_S3_21rocsparse_index_base_PKT0_PKT1_PKS3_S4_PS5_PS8_PS3_,comdat
	.globl	_ZN9rocsparseL35bsr2csr_block_dim_equals_one_kernelILj1024E21rocsparse_complex_numIdEliEEvT2_S3_21rocsparse_index_base_PKT0_PKT1_PKS3_S4_PS5_PS8_PS3_ ; -- Begin function _ZN9rocsparseL35bsr2csr_block_dim_equals_one_kernelILj1024E21rocsparse_complex_numIdEliEEvT2_S3_21rocsparse_index_base_PKT0_PKT1_PKS3_S4_PS5_PS8_PS3_
	.p2align	8
	.type	_ZN9rocsparseL35bsr2csr_block_dim_equals_one_kernelILj1024E21rocsparse_complex_numIdEliEEvT2_S3_21rocsparse_index_base_PKT0_PKT1_PKS3_S4_PS5_PS8_PS3_,@function
_ZN9rocsparseL35bsr2csr_block_dim_equals_one_kernelILj1024E21rocsparse_complex_numIdEliEEvT2_S3_21rocsparse_index_base_PKT0_PKT1_PKS3_S4_PS5_PS8_PS3_: ; @_ZN9rocsparseL35bsr2csr_block_dim_equals_one_kernelILj1024E21rocsparse_complex_numIdEliEEvT2_S3_21rocsparse_index_base_PKT0_PKT1_PKS3_S4_PS5_PS8_PS3_
; %bb.0:
	s_bfe_u32 s3, ttmp6, 0x4000c
	s_clause 0x1
	s_load_b32 s2, s[0:1], 0x0
	s_load_b64 s[4:5], s[0:1], 0x18
	s_add_co_i32 s3, s3, 1
	s_and_b32 s6, ttmp6, 15
	s_mul_i32 s3, ttmp9, s3
	s_getreg_b32 s7, hwreg(HW_REG_IB_STS2, 6, 4)
	s_add_co_i32 s6, s6, s3
	s_cmp_eq_u32 s7, 0
	s_cselect_b32 s3, ttmp9, s6
	s_delay_alu instid0(SALU_CYCLE_1) | instskip(SKIP_2) | instid1(VALU_DEP_1)
	s_lshl_b32 s18, s3, 10
	s_mov_b32 s3, exec_lo
	v_or_b32_e32 v2, s18, v0
	v_ashrrev_i32_e32 v3, 31, v2
	s_wait_kmcnt 0x0
	v_cmpx_le_i32_e64 s2, v2
	s_xor_b32 s3, exec_lo, s3
	s_delay_alu instid0(SALU_CYCLE_1)
	s_or_saveexec_b32 s3, s3
	s_clause 0x1
	s_load_b32 s6, s[0:1], 0x8
	s_load_b32 s8, s[0:1], 0x28
	s_xor_b32 exec_lo, exec_lo, s3
	s_cbranch_execz .LBB273_6
; %bb.1:
	s_load_b64 s[10:11], s[0:1], 0x38
	s_mov_b32 s7, 0
                                        ; implicit-def: $sgpr12_sgpr13
	s_mov_b32 s9, exec_lo
	v_cmpx_ne_u32_e32 0, v2
	s_xor_b32 s14, exec_lo, s9
	s_cbranch_execz .LBB273_3
; %bb.2:
	s_mov_b32 s9, s7
	s_wait_kmcnt 0x0
	s_sub_nc_u64 s[12:13], s[8:9], s[6:7]
.LBB273_3:
	s_or_saveexec_b32 s14, s14
	v_mov_b64_e32 v[4:5], s[12:13]
	s_xor_b32 exec_lo, exec_lo, s14
	s_cbranch_execz .LBB273_5
; %bb.4:
	s_load_b64 s[12:13], s[4:5], 0x0
	s_mov_b32 s9, 0
	v_mov_b32_e32 v1, 0
	s_mov_b32 s7, s9
	s_wait_kmcnt 0x0
	s_sub_nc_u64 s[16:17], s[8:9], s[6:7]
	s_delay_alu instid0(SALU_CYCLE_1) | instskip(SKIP_1) | instid1(SALU_CYCLE_1)
	v_mov_b64_e32 v[4:5], s[16:17]
	s_add_nc_u64 s[12:13], s[16:17], s[12:13]
	v_mov_b64_e32 v[6:7], s[12:13]
	global_store_b64 v1, v[6:7], s[10:11]
.LBB273_5:
	s_wait_xcnt 0x0
	s_or_b32 exec_lo, exec_lo, s14
	global_load_b64 v[6:7], v2, s[4:5] offset:8 scale_offset
	s_wait_loadcnt 0x0
	v_add_nc_u64_e32 v[4:5], v[4:5], v[6:7]
	s_wait_kmcnt 0x0
	global_store_b64 v2, v[4:5], s[10:11] offset:8 scale_offset
.LBB273_6:
	s_wait_xcnt 0x0
	s_or_b32 exec_lo, exec_lo, s3
	s_ashr_i32 s3, s2, 31
	s_clause 0x3
	s_load_b64 s[10:11], s[0:1], 0x40
	s_load_b64 s[12:13], s[0:1], 0x10
	s_load_b64 s[14:15], s[0:1], 0x20
	s_load_b64 s[16:17], s[0:1], 0x30
	s_lshl_b64 s[2:3], s[2:3], 3
	s_delay_alu instid0(SALU_CYCLE_1)
	s_add_nc_u64 s[2:3], s[4:5], s[2:3]
	s_clause 0x1
	s_load_b64 s[20:21], s[2:3], 0x0
	s_load_b64 s[22:23], s[4:5], 0x0
	s_wait_xcnt 0x0
	s_mov_b32 s4, exec_lo
	s_wait_kmcnt 0x0
	s_sub_nc_u64 s[2:3], s[20:21], s[22:23]
	s_delay_alu instid0(SALU_CYCLE_1)
	v_cmpx_gt_i64_e64 s[2:3], v[2:3]
	s_cbranch_execz .LBB273_9
; %bb.7:
	s_load_b32 s0, s[0:1], 0x48
	s_wait_xcnt 0x0
	s_sub_co_i32 s1, s8, s6
	s_mov_b32 s4, 0
	s_wait_kmcnt 0x0
	s_lshl_b32 s0, s0, 10
	s_delay_alu instid0(SALU_CYCLE_1)
	v_add3_u32 v0, s0, s18, v0
.LBB273_8:                              ; =>This Inner Loop Header: Depth=1
	v_lshlrev_b64_e32 v[8:9], 2, v[2:3]
	v_lshlrev_b64_e32 v[2:3], 4, v[2:3]
	s_delay_alu instid0(VALU_DEP_3) | instskip(NEXT) | instid1(VALU_DEP_1)
	v_ashrrev_i32_e32 v1, 31, v0
	v_cmp_le_i64_e32 vcc_lo, s[2:3], v[0:1]
	s_delay_alu instid0(VALU_DEP_4) | instskip(NEXT) | instid1(VALU_DEP_4)
	v_add_nc_u64_e32 v[10:11], s[14:15], v[8:9]
	v_add_nc_u64_e32 v[12:13], s[12:13], v[2:3]
	;; [unrolled: 1-line block ×3, first 2 shown]
	global_load_b32 v14, v[10:11], off
	global_load_b128 v[4:7], v[12:13], off
	s_wait_xcnt 0x1
	v_add_nc_u64_e32 v[10:11], s[16:17], v[2:3]
	v_mov_b64_e32 v[2:3], v[0:1]
	v_add_nc_u32_e32 v0, s0, v0
	s_or_b32 s4, vcc_lo, s4
	s_wait_loadcnt 0x1
	v_add_nc_u32_e32 v1, s1, v14
	s_wait_loadcnt 0x0
	global_store_b128 v[10:11], v[4:7], off
	global_store_b32 v[8:9], v1, off
	s_wait_xcnt 0x0
	s_and_not1_b32 exec_lo, exec_lo, s4
	s_cbranch_execnz .LBB273_8
.LBB273_9:
	s_endpgm
	.section	.rodata,"a",@progbits
	.p2align	6, 0x0
	.amdhsa_kernel _ZN9rocsparseL35bsr2csr_block_dim_equals_one_kernelILj1024E21rocsparse_complex_numIdEliEEvT2_S3_21rocsparse_index_base_PKT0_PKT1_PKS3_S4_PS5_PS8_PS3_
		.amdhsa_group_segment_fixed_size 0
		.amdhsa_private_segment_fixed_size 0
		.amdhsa_kernarg_size 328
		.amdhsa_user_sgpr_count 2
		.amdhsa_user_sgpr_dispatch_ptr 0
		.amdhsa_user_sgpr_queue_ptr 0
		.amdhsa_user_sgpr_kernarg_segment_ptr 1
		.amdhsa_user_sgpr_dispatch_id 0
		.amdhsa_user_sgpr_kernarg_preload_length 0
		.amdhsa_user_sgpr_kernarg_preload_offset 0
		.amdhsa_user_sgpr_private_segment_size 0
		.amdhsa_wavefront_size32 1
		.amdhsa_uses_dynamic_stack 0
		.amdhsa_enable_private_segment 0
		.amdhsa_system_sgpr_workgroup_id_x 1
		.amdhsa_system_sgpr_workgroup_id_y 0
		.amdhsa_system_sgpr_workgroup_id_z 0
		.amdhsa_system_sgpr_workgroup_info 0
		.amdhsa_system_vgpr_workitem_id 0
		.amdhsa_next_free_vgpr 15
		.amdhsa_next_free_sgpr 24
		.amdhsa_named_barrier_count 0
		.amdhsa_reserve_vcc 1
		.amdhsa_float_round_mode_32 0
		.amdhsa_float_round_mode_16_64 0
		.amdhsa_float_denorm_mode_32 3
		.amdhsa_float_denorm_mode_16_64 3
		.amdhsa_fp16_overflow 0
		.amdhsa_memory_ordered 1
		.amdhsa_forward_progress 1
		.amdhsa_inst_pref_size 5
		.amdhsa_round_robin_scheduling 0
		.amdhsa_exception_fp_ieee_invalid_op 0
		.amdhsa_exception_fp_denorm_src 0
		.amdhsa_exception_fp_ieee_div_zero 0
		.amdhsa_exception_fp_ieee_overflow 0
		.amdhsa_exception_fp_ieee_underflow 0
		.amdhsa_exception_fp_ieee_inexact 0
		.amdhsa_exception_int_div_zero 0
	.end_amdhsa_kernel
	.section	.text._ZN9rocsparseL35bsr2csr_block_dim_equals_one_kernelILj1024E21rocsparse_complex_numIdEliEEvT2_S3_21rocsparse_index_base_PKT0_PKT1_PKS3_S4_PS5_PS8_PS3_,"axG",@progbits,_ZN9rocsparseL35bsr2csr_block_dim_equals_one_kernelILj1024E21rocsparse_complex_numIdEliEEvT2_S3_21rocsparse_index_base_PKT0_PKT1_PKS3_S4_PS5_PS8_PS3_,comdat
.Lfunc_end273:
	.size	_ZN9rocsparseL35bsr2csr_block_dim_equals_one_kernelILj1024E21rocsparse_complex_numIdEliEEvT2_S3_21rocsparse_index_base_PKT0_PKT1_PKS3_S4_PS5_PS8_PS3_, .Lfunc_end273-_ZN9rocsparseL35bsr2csr_block_dim_equals_one_kernelILj1024E21rocsparse_complex_numIdEliEEvT2_S3_21rocsparse_index_base_PKT0_PKT1_PKS3_S4_PS5_PS8_PS3_
                                        ; -- End function
	.set _ZN9rocsparseL35bsr2csr_block_dim_equals_one_kernelILj1024E21rocsparse_complex_numIdEliEEvT2_S3_21rocsparse_index_base_PKT0_PKT1_PKS3_S4_PS5_PS8_PS3_.num_vgpr, 15
	.set _ZN9rocsparseL35bsr2csr_block_dim_equals_one_kernelILj1024E21rocsparse_complex_numIdEliEEvT2_S3_21rocsparse_index_base_PKT0_PKT1_PKS3_S4_PS5_PS8_PS3_.num_agpr, 0
	.set _ZN9rocsparseL35bsr2csr_block_dim_equals_one_kernelILj1024E21rocsparse_complex_numIdEliEEvT2_S3_21rocsparse_index_base_PKT0_PKT1_PKS3_S4_PS5_PS8_PS3_.numbered_sgpr, 24
	.set _ZN9rocsparseL35bsr2csr_block_dim_equals_one_kernelILj1024E21rocsparse_complex_numIdEliEEvT2_S3_21rocsparse_index_base_PKT0_PKT1_PKS3_S4_PS5_PS8_PS3_.num_named_barrier, 0
	.set _ZN9rocsparseL35bsr2csr_block_dim_equals_one_kernelILj1024E21rocsparse_complex_numIdEliEEvT2_S3_21rocsparse_index_base_PKT0_PKT1_PKS3_S4_PS5_PS8_PS3_.private_seg_size, 0
	.set _ZN9rocsparseL35bsr2csr_block_dim_equals_one_kernelILj1024E21rocsparse_complex_numIdEliEEvT2_S3_21rocsparse_index_base_PKT0_PKT1_PKS3_S4_PS5_PS8_PS3_.uses_vcc, 1
	.set _ZN9rocsparseL35bsr2csr_block_dim_equals_one_kernelILj1024E21rocsparse_complex_numIdEliEEvT2_S3_21rocsparse_index_base_PKT0_PKT1_PKS3_S4_PS5_PS8_PS3_.uses_flat_scratch, 0
	.set _ZN9rocsparseL35bsr2csr_block_dim_equals_one_kernelILj1024E21rocsparse_complex_numIdEliEEvT2_S3_21rocsparse_index_base_PKT0_PKT1_PKS3_S4_PS5_PS8_PS3_.has_dyn_sized_stack, 0
	.set _ZN9rocsparseL35bsr2csr_block_dim_equals_one_kernelILj1024E21rocsparse_complex_numIdEliEEvT2_S3_21rocsparse_index_base_PKT0_PKT1_PKS3_S4_PS5_PS8_PS3_.has_recursion, 0
	.set _ZN9rocsparseL35bsr2csr_block_dim_equals_one_kernelILj1024E21rocsparse_complex_numIdEliEEvT2_S3_21rocsparse_index_base_PKT0_PKT1_PKS3_S4_PS5_PS8_PS3_.has_indirect_call, 0
	.section	.AMDGPU.csdata,"",@progbits
; Kernel info:
; codeLenInByte = 568
; TotalNumSgprs: 26
; NumVgprs: 15
; ScratchSize: 0
; MemoryBound: 0
; FloatMode: 240
; IeeeMode: 1
; LDSByteSize: 0 bytes/workgroup (compile time only)
; SGPRBlocks: 0
; VGPRBlocks: 0
; NumSGPRsForWavesPerEU: 26
; NumVGPRsForWavesPerEU: 15
; NamedBarCnt: 0
; Occupancy: 16
; WaveLimiterHint : 0
; COMPUTE_PGM_RSRC2:SCRATCH_EN: 0
; COMPUTE_PGM_RSRC2:USER_SGPR: 2
; COMPUTE_PGM_RSRC2:TRAP_HANDLER: 0
; COMPUTE_PGM_RSRC2:TGID_X_EN: 1
; COMPUTE_PGM_RSRC2:TGID_Y_EN: 0
; COMPUTE_PGM_RSRC2:TGID_Z_EN: 0
; COMPUTE_PGM_RSRC2:TIDIG_COMP_CNT: 0
	.section	.text._ZN9rocsparseL32bsr2csr_block_per_row_2_7_kernelILj256ELj2E21rocsparse_complex_numIdEliEEv20rocsparse_direction_T3_S4_21rocsparse_index_base_PKT1_PKT2_PKS4_S4_S5_PS6_PS9_PS4_,"axG",@progbits,_ZN9rocsparseL32bsr2csr_block_per_row_2_7_kernelILj256ELj2E21rocsparse_complex_numIdEliEEv20rocsparse_direction_T3_S4_21rocsparse_index_base_PKT1_PKT2_PKS4_S4_S5_PS6_PS9_PS4_,comdat
	.globl	_ZN9rocsparseL32bsr2csr_block_per_row_2_7_kernelILj256ELj2E21rocsparse_complex_numIdEliEEv20rocsparse_direction_T3_S4_21rocsparse_index_base_PKT1_PKT2_PKS4_S4_S5_PS6_PS9_PS4_ ; -- Begin function _ZN9rocsparseL32bsr2csr_block_per_row_2_7_kernelILj256ELj2E21rocsparse_complex_numIdEliEEv20rocsparse_direction_T3_S4_21rocsparse_index_base_PKT1_PKT2_PKS4_S4_S5_PS6_PS9_PS4_
	.p2align	8
	.type	_ZN9rocsparseL32bsr2csr_block_per_row_2_7_kernelILj256ELj2E21rocsparse_complex_numIdEliEEv20rocsparse_direction_T3_S4_21rocsparse_index_base_PKT1_PKT2_PKS4_S4_S5_PS6_PS9_PS4_,@function
_ZN9rocsparseL32bsr2csr_block_per_row_2_7_kernelILj256ELj2E21rocsparse_complex_numIdEliEEv20rocsparse_direction_T3_S4_21rocsparse_index_base_PKT1_PKT2_PKS4_S4_S5_PS6_PS9_PS4_: ; @_ZN9rocsparseL32bsr2csr_block_per_row_2_7_kernelILj256ELj2E21rocsparse_complex_numIdEliEEv20rocsparse_direction_T3_S4_21rocsparse_index_base_PKT1_PKT2_PKS4_S4_S5_PS6_PS9_PS4_
; %bb.0:
	s_load_b64 s[4:5], s[0:1], 0x18
	s_bfe_u32 s2, ttmp6, 0x4000c
	s_and_b32 s3, ttmp6, 15
	s_add_co_i32 s2, s2, 1
	s_getreg_b32 s6, hwreg(HW_REG_IB_STS2, 6, 4)
	s_mul_i32 s2, ttmp9, s2
	s_delay_alu instid0(SALU_CYCLE_1)
	s_add_co_i32 s3, s3, s2
	s_cmp_eq_u32 s6, 0
	s_clause 0x1
	s_load_b32 s2, s[0:1], 0x2c
	s_load_b64 s[12:13], s[0:1], 0x38
	s_cselect_b32 s10, ttmp9, s3
	s_delay_alu instid0(SALU_CYCLE_1)
	s_ashr_i32 s11, s10, 31
	v_or_b32_e32 v1, s10, v0
	s_lshl_b64 s[6:7], s[10:11], 3
	s_wait_kmcnt 0x0
	s_add_nc_u64 s[8:9], s[4:5], s[6:7]
	s_load_b128 s[4:7], s[8:9], 0x0
	s_wait_xcnt 0x0
	s_mov_b32 s9, 0
	s_mov_b32 s8, exec_lo
	s_mov_b32 s3, s9
	v_cmpx_eq_u32_e32 0, v1
	s_cbranch_execz .LBB274_2
; %bb.1:
	v_mov_b64_e32 v[2:3], s[2:3]
	v_mov_b32_e32 v1, 0
	global_store_b64 v1, v[2:3], s[12:13]
.LBB274_2:
	s_wait_xcnt 0x0
	s_or_b32 exec_lo, exec_lo, s8
	s_load_b32 s8, s[0:1], 0xc
	v_dual_mov_b32 v3, 0 :: v_dual_bitop2_b32 v2, 1, v0 bitop3:0x40
	s_delay_alu instid0(VALU_DEP_1) | instskip(SKIP_3) | instid1(VALU_DEP_1)
	v_dual_mov_b32 v7, v3 :: v_dual_lshrrev_b32 v6, 1, v0
	s_wait_kmcnt 0x0
	s_sub_nc_u64 s[14:15], s[4:5], s[8:9]
	s_sub_nc_u64 s[6:7], s[6:7], s[8:9]
	v_add_nc_u64_e32 v[0:1], s[14:15], v[6:7]
	s_sub_nc_u64 s[16:17], s[6:7], s[14:15]
	s_lshl_b64 s[14:15], s[14:15], 2
	s_lshl_b64 s[16:17], s[16:17], 1
	v_lshl_or_b32 v7, s10, 1, v2
	v_mul_u64_e32 v[4:5], s[16:17], v[2:3]
	s_add_nc_u64 s[16:17], s[16:17], s[2:3]
	s_mov_b32 s3, exec_lo
	s_add_nc_u64 s[10:11], s[16:17], s[14:15]
	v_add_nc_u32_e32 v7, 1, v7
	s_delay_alu instid0(VALU_DEP_2)
	v_add_nc_u64_e32 v[8:9], s[10:11], v[4:5]
	global_store_b64 v7, v[8:9], s[12:13] scale_offset
	s_wait_xcnt 0x0
	v_cmpx_gt_i64_e64 s[6:7], v[0:1]
	s_cbranch_execz .LBB274_5
; %bb.3:
	s_clause 0x3
	s_load_b64 s[10:11], s[0:1], 0x20
	s_load_b64 s[12:13], s[0:1], 0x30
	s_load_b32 s3, s[0:1], 0x0
	s_load_b64 s[14:15], s[0:1], 0x40
	v_lshl_add_u64 v[4:5], s[4:5], 2, v[4:5]
	v_dual_mov_b32 v7, v3 :: v_dual_lshlrev_b32 v6, 1, v6
	s_wait_xcnt 0x0
	s_load_b64 s[0:1], s[0:1], 0x10
	v_lshlrev_b64_e32 v[8:9], 6, v[0:1]
	s_delay_alu instid0(VALU_DEP_2)
	v_add_nc_u64_e32 v[4:5], v[4:5], v[6:7]
	s_wait_kmcnt 0x0
	v_lshl_add_u64 v[6:7], v[0:1], 2, s[10:11]
	s_cmp_eq_u32 s3, 0
	s_cselect_b32 vcc_lo, -1, 0
	s_lshl_b64 s[4:5], s[8:9], 2
	s_delay_alu instid0(VALU_DEP_2) | instid1(SALU_CYCLE_1)
	v_sub_nc_u64_e64 v[4:5], v[4:5], s[4:5]
	v_add_nc_u64_e32 v[8:9], s[0:1], v[8:9]
	s_mov_b32 s1, 0
	s_delay_alu instid0(VALU_DEP_2) | instskip(SKIP_3) | instid1(VALU_DEP_4)
	v_lshl_add_u64 v[10:11], v[4:5], 2, s[14:15]
	v_lshl_add_u64 v[12:13], v[4:5], 4, s[12:13]
	v_dual_mov_b32 v5, v3 :: v_dual_lshlrev_b32 v4, 4, v2
	v_lshlrev_b32_e32 v2, 5, v2
	v_add_nc_u64_e32 v[10:11], 4, v[10:11]
	s_delay_alu instid0(VALU_DEP_4)
	v_add_nc_u64_e32 v[12:13], 16, v[12:13]
.LBB274_4:                              ; =>This Inner Loop Header: Depth=1
	s_delay_alu instid0(VALU_DEP_3)
	v_add_nc_u64_e32 v[14:15], v[8:9], v[2:3]
	v_add_nc_u64_e32 v[16:17], v[8:9], v[4:5]
	global_load_b32 v26, v[6:7], off
	v_add_nc_u64_e32 v[0:1], 0x80, v[0:1]
	s_wait_xcnt 0x0
	v_add_nc_u64_e32 v[6:7], 0x200, v[6:7]
	v_add_nc_u64_e32 v[8:9], 0x2000, v[8:9]
	;; [unrolled: 1-line block ×4, first 2 shown]
	v_dual_cndmask_b32 v23, v17, v15 :: v_dual_cndmask_b32 v22, v16, v14
	v_cmp_le_i64_e64 s0, s[6:7], v[0:1]
	s_delay_alu instid0(VALU_DEP_3)
	v_dual_cndmask_b32 v25, v21, v19 :: v_dual_cndmask_b32 v24, v20, v18
	global_load_b128 v[14:17], v[22:23], off
	global_load_b128 v[18:21], v[24:25], off
	s_or_b32 s1, s0, s1
	s_wait_loadcnt 0x2
	s_wait_xcnt 0x1
	v_subrev_nc_u32_e32 v22, s8, v26
	s_delay_alu instid0(VALU_DEP_1) | instskip(NEXT) | instid1(VALU_DEP_1)
	v_lshl_add_u32 v22, v22, 1, s2
	v_add_nc_u32_e32 v23, 1, v22
	s_wait_loadcnt 0x1
	global_store_b128 v[12:13], v[14:17], off offset:-16
	global_store_b64 v[10:11], v[22:23], off offset:-4
	s_wait_xcnt 0x0
	v_add_nc_u64_e32 v[10:11], 0x400, v[10:11]
	s_wait_loadcnt 0x0
	global_store_b128 v[12:13], v[18:21], off
	s_wait_xcnt 0x0
	v_add_nc_u64_e32 v[12:13], 0x1000, v[12:13]
	s_and_not1_b32 exec_lo, exec_lo, s1
	s_cbranch_execnz .LBB274_4
.LBB274_5:
	s_endpgm
	.section	.rodata,"a",@progbits
	.p2align	6, 0x0
	.amdhsa_kernel _ZN9rocsparseL32bsr2csr_block_per_row_2_7_kernelILj256ELj2E21rocsparse_complex_numIdEliEEv20rocsparse_direction_T3_S4_21rocsparse_index_base_PKT1_PKT2_PKS4_S4_S5_PS6_PS9_PS4_
		.amdhsa_group_segment_fixed_size 0
		.amdhsa_private_segment_fixed_size 0
		.amdhsa_kernarg_size 72
		.amdhsa_user_sgpr_count 2
		.amdhsa_user_sgpr_dispatch_ptr 0
		.amdhsa_user_sgpr_queue_ptr 0
		.amdhsa_user_sgpr_kernarg_segment_ptr 1
		.amdhsa_user_sgpr_dispatch_id 0
		.amdhsa_user_sgpr_kernarg_preload_length 0
		.amdhsa_user_sgpr_kernarg_preload_offset 0
		.amdhsa_user_sgpr_private_segment_size 0
		.amdhsa_wavefront_size32 1
		.amdhsa_uses_dynamic_stack 0
		.amdhsa_enable_private_segment 0
		.amdhsa_system_sgpr_workgroup_id_x 1
		.amdhsa_system_sgpr_workgroup_id_y 0
		.amdhsa_system_sgpr_workgroup_id_z 0
		.amdhsa_system_sgpr_workgroup_info 0
		.amdhsa_system_vgpr_workitem_id 0
		.amdhsa_next_free_vgpr 27
		.amdhsa_next_free_sgpr 18
		.amdhsa_named_barrier_count 0
		.amdhsa_reserve_vcc 1
		.amdhsa_float_round_mode_32 0
		.amdhsa_float_round_mode_16_64 0
		.amdhsa_float_denorm_mode_32 3
		.amdhsa_float_denorm_mode_16_64 3
		.amdhsa_fp16_overflow 0
		.amdhsa_memory_ordered 1
		.amdhsa_forward_progress 1
		.amdhsa_inst_pref_size 6
		.amdhsa_round_robin_scheduling 0
		.amdhsa_exception_fp_ieee_invalid_op 0
		.amdhsa_exception_fp_denorm_src 0
		.amdhsa_exception_fp_ieee_div_zero 0
		.amdhsa_exception_fp_ieee_overflow 0
		.amdhsa_exception_fp_ieee_underflow 0
		.amdhsa_exception_fp_ieee_inexact 0
		.amdhsa_exception_int_div_zero 0
	.end_amdhsa_kernel
	.section	.text._ZN9rocsparseL32bsr2csr_block_per_row_2_7_kernelILj256ELj2E21rocsparse_complex_numIdEliEEv20rocsparse_direction_T3_S4_21rocsparse_index_base_PKT1_PKT2_PKS4_S4_S5_PS6_PS9_PS4_,"axG",@progbits,_ZN9rocsparseL32bsr2csr_block_per_row_2_7_kernelILj256ELj2E21rocsparse_complex_numIdEliEEv20rocsparse_direction_T3_S4_21rocsparse_index_base_PKT1_PKT2_PKS4_S4_S5_PS6_PS9_PS4_,comdat
.Lfunc_end274:
	.size	_ZN9rocsparseL32bsr2csr_block_per_row_2_7_kernelILj256ELj2E21rocsparse_complex_numIdEliEEv20rocsparse_direction_T3_S4_21rocsparse_index_base_PKT1_PKT2_PKS4_S4_S5_PS6_PS9_PS4_, .Lfunc_end274-_ZN9rocsparseL32bsr2csr_block_per_row_2_7_kernelILj256ELj2E21rocsparse_complex_numIdEliEEv20rocsparse_direction_T3_S4_21rocsparse_index_base_PKT1_PKT2_PKS4_S4_S5_PS6_PS9_PS4_
                                        ; -- End function
	.set _ZN9rocsparseL32bsr2csr_block_per_row_2_7_kernelILj256ELj2E21rocsparse_complex_numIdEliEEv20rocsparse_direction_T3_S4_21rocsparse_index_base_PKT1_PKT2_PKS4_S4_S5_PS6_PS9_PS4_.num_vgpr, 27
	.set _ZN9rocsparseL32bsr2csr_block_per_row_2_7_kernelILj256ELj2E21rocsparse_complex_numIdEliEEv20rocsparse_direction_T3_S4_21rocsparse_index_base_PKT1_PKT2_PKS4_S4_S5_PS6_PS9_PS4_.num_agpr, 0
	.set _ZN9rocsparseL32bsr2csr_block_per_row_2_7_kernelILj256ELj2E21rocsparse_complex_numIdEliEEv20rocsparse_direction_T3_S4_21rocsparse_index_base_PKT1_PKT2_PKS4_S4_S5_PS6_PS9_PS4_.numbered_sgpr, 18
	.set _ZN9rocsparseL32bsr2csr_block_per_row_2_7_kernelILj256ELj2E21rocsparse_complex_numIdEliEEv20rocsparse_direction_T3_S4_21rocsparse_index_base_PKT1_PKT2_PKS4_S4_S5_PS6_PS9_PS4_.num_named_barrier, 0
	.set _ZN9rocsparseL32bsr2csr_block_per_row_2_7_kernelILj256ELj2E21rocsparse_complex_numIdEliEEv20rocsparse_direction_T3_S4_21rocsparse_index_base_PKT1_PKT2_PKS4_S4_S5_PS6_PS9_PS4_.private_seg_size, 0
	.set _ZN9rocsparseL32bsr2csr_block_per_row_2_7_kernelILj256ELj2E21rocsparse_complex_numIdEliEEv20rocsparse_direction_T3_S4_21rocsparse_index_base_PKT1_PKT2_PKS4_S4_S5_PS6_PS9_PS4_.uses_vcc, 1
	.set _ZN9rocsparseL32bsr2csr_block_per_row_2_7_kernelILj256ELj2E21rocsparse_complex_numIdEliEEv20rocsparse_direction_T3_S4_21rocsparse_index_base_PKT1_PKT2_PKS4_S4_S5_PS6_PS9_PS4_.uses_flat_scratch, 0
	.set _ZN9rocsparseL32bsr2csr_block_per_row_2_7_kernelILj256ELj2E21rocsparse_complex_numIdEliEEv20rocsparse_direction_T3_S4_21rocsparse_index_base_PKT1_PKT2_PKS4_S4_S5_PS6_PS9_PS4_.has_dyn_sized_stack, 0
	.set _ZN9rocsparseL32bsr2csr_block_per_row_2_7_kernelILj256ELj2E21rocsparse_complex_numIdEliEEv20rocsparse_direction_T3_S4_21rocsparse_index_base_PKT1_PKT2_PKS4_S4_S5_PS6_PS9_PS4_.has_recursion, 0
	.set _ZN9rocsparseL32bsr2csr_block_per_row_2_7_kernelILj256ELj2E21rocsparse_complex_numIdEliEEv20rocsparse_direction_T3_S4_21rocsparse_index_base_PKT1_PKT2_PKS4_S4_S5_PS6_PS9_PS4_.has_indirect_call, 0
	.section	.AMDGPU.csdata,"",@progbits
; Kernel info:
; codeLenInByte = 664
; TotalNumSgprs: 20
; NumVgprs: 27
; ScratchSize: 0
; MemoryBound: 0
; FloatMode: 240
; IeeeMode: 1
; LDSByteSize: 0 bytes/workgroup (compile time only)
; SGPRBlocks: 0
; VGPRBlocks: 1
; NumSGPRsForWavesPerEU: 20
; NumVGPRsForWavesPerEU: 27
; NamedBarCnt: 0
; Occupancy: 16
; WaveLimiterHint : 0
; COMPUTE_PGM_RSRC2:SCRATCH_EN: 0
; COMPUTE_PGM_RSRC2:USER_SGPR: 2
; COMPUTE_PGM_RSRC2:TRAP_HANDLER: 0
; COMPUTE_PGM_RSRC2:TGID_X_EN: 1
; COMPUTE_PGM_RSRC2:TGID_Y_EN: 0
; COMPUTE_PGM_RSRC2:TGID_Z_EN: 0
; COMPUTE_PGM_RSRC2:TIDIG_COMP_CNT: 0
	.section	.text._ZN9rocsparseL32bsr2csr_block_per_row_2_7_kernelILj256ELj3E21rocsparse_complex_numIdEliEEv20rocsparse_direction_T3_S4_21rocsparse_index_base_PKT1_PKT2_PKS4_S4_S5_PS6_PS9_PS4_,"axG",@progbits,_ZN9rocsparseL32bsr2csr_block_per_row_2_7_kernelILj256ELj3E21rocsparse_complex_numIdEliEEv20rocsparse_direction_T3_S4_21rocsparse_index_base_PKT1_PKT2_PKS4_S4_S5_PS6_PS9_PS4_,comdat
	.globl	_ZN9rocsparseL32bsr2csr_block_per_row_2_7_kernelILj256ELj3E21rocsparse_complex_numIdEliEEv20rocsparse_direction_T3_S4_21rocsparse_index_base_PKT1_PKT2_PKS4_S4_S5_PS6_PS9_PS4_ ; -- Begin function _ZN9rocsparseL32bsr2csr_block_per_row_2_7_kernelILj256ELj3E21rocsparse_complex_numIdEliEEv20rocsparse_direction_T3_S4_21rocsparse_index_base_PKT1_PKT2_PKS4_S4_S5_PS6_PS9_PS4_
	.p2align	8
	.type	_ZN9rocsparseL32bsr2csr_block_per_row_2_7_kernelILj256ELj3E21rocsparse_complex_numIdEliEEv20rocsparse_direction_T3_S4_21rocsparse_index_base_PKT1_PKT2_PKS4_S4_S5_PS6_PS9_PS4_,@function
_ZN9rocsparseL32bsr2csr_block_per_row_2_7_kernelILj256ELj3E21rocsparse_complex_numIdEliEEv20rocsparse_direction_T3_S4_21rocsparse_index_base_PKT1_PKT2_PKS4_S4_S5_PS6_PS9_PS4_: ; @_ZN9rocsparseL32bsr2csr_block_per_row_2_7_kernelILj256ELj3E21rocsparse_complex_numIdEliEEv20rocsparse_direction_T3_S4_21rocsparse_index_base_PKT1_PKT2_PKS4_S4_S5_PS6_PS9_PS4_
; %bb.0:
	s_clause 0x1
	s_load_b32 s2, s[0:1], 0x2c
	s_load_b64 s[10:11], s[0:1], 0x38
	s_bfe_u32 s3, ttmp6, 0x4000c
	s_and_b32 s4, ttmp6, 15
	s_add_co_i32 s3, s3, 1
	s_getreg_b32 s5, hwreg(HW_REG_IB_STS2, 6, 4)
	s_mul_i32 s3, ttmp9, s3
	s_delay_alu instid0(SALU_CYCLE_1) | instskip(SKIP_3) | instid1(SALU_CYCLE_1)
	s_add_co_i32 s4, s4, s3
	s_cmp_eq_u32 s5, 0
	s_mov_b32 s3, exec_lo
	s_cselect_b32 s12, ttmp9, s4
	v_or_b32_e32 v1, s12, v0
	s_delay_alu instid0(VALU_DEP_1)
	v_cmpx_eq_u32_e32 0, v1
	s_cbranch_execz .LBB275_2
; %bb.1:
	s_wait_kmcnt 0x0
	v_dual_mov_b32 v2, s2 :: v_dual_mov_b32 v3, 0
	global_store_b64 v3, v[2:3], s[10:11]
.LBB275_2:
	s_wait_xcnt 0x0
	s_or_b32 exec_lo, exec_lo, s3
	v_and_b32_e32 v2, 3, v0
	s_mov_b32 s3, exec_lo
	s_delay_alu instid0(VALU_DEP_1)
	v_cmpx_ne_u32_e32 3, v2
	s_cbranch_execz .LBB275_6
; %bb.3:
	s_clause 0x1
	s_load_b64 s[4:5], s[0:1], 0x18
	s_load_b32 s8, s[0:1], 0xc
	s_ashr_i32 s13, s12, 31
	s_mov_b32 s9, 0
	s_lshl_b64 s[6:7], s[12:13], 3
	v_dual_mov_b32 v3, 0 :: v_dual_lshrrev_b32 v4, 2, v0
	s_mov_b32 s3, s9
	s_delay_alu instid0(VALU_DEP_1)
	v_mov_b32_e32 v5, v3
	s_wait_kmcnt 0x0
	s_add_nc_u64 s[14:15], s[4:5], s[6:7]
	s_load_b128 s[4:7], s[14:15], 0x0
	s_wait_kmcnt 0x0
	s_sub_nc_u64 s[14:15], s[4:5], s[8:9]
	s_sub_nc_u64 s[6:7], s[6:7], s[8:9]
	v_add_nc_u64_e32 v[0:1], s[14:15], v[4:5]
	s_sub_nc_u64 s[16:17], s[6:7], s[14:15]
	s_mul_u64 s[18:19], s[14:15], 9
	s_mul_u64 s[16:17], s[16:17], 3
	s_delay_alu instid0(SALU_CYCLE_1)
	v_mul_u64_e32 v[6:7], s[16:17], v[2:3]
	s_add_nc_u64 s[14:15], s[16:17], s[2:3]
	s_mul_i32 s3, s12, 3
	s_add_nc_u64 s[14:15], s[14:15], s[18:19]
	v_cmp_gt_i64_e32 vcc_lo, s[6:7], v[0:1]
	v_add3_u32 v5, v2, s3, 1
	s_delay_alu instid0(VALU_DEP_3)
	v_add_nc_u64_e32 v[8:9], s[14:15], v[6:7]
	global_store_b64 v5, v[8:9], s[10:11] scale_offset
	s_wait_xcnt 0x0
	s_and_b32 exec_lo, exec_lo, vcc_lo
	s_cbranch_execz .LBB275_6
; %bb.4:
	v_mad_nc_u64_u32 v[6:7], s4, 9, v[6:7]
	s_load_b64 s[10:11], s[0:1], 0x10
	v_mul_u32_u24_e32 v12, 3, v2
	v_dual_mov_b32 v13, v3 :: v_dual_lshlrev_b32 v2, 4, v2
	s_delay_alu instid0(VALU_DEP_2) | instskip(NEXT) | instid1(VALU_DEP_4)
	v_lshlrev_b32_e32 v12, 4, v12
	v_mad_u32 v7, s5, 9, v7
	s_clause 0x3
	s_load_b64 s[4:5], s[0:1], 0x30
	s_load_b64 s[12:13], s[0:1], 0x40
	;; [unrolled: 1-line block ×3, first 2 shown]
	s_load_b32 s3, s[0:1], 0x0
	s_wait_xcnt 0x0
	s_mul_u64 s[0:1], s[8:9], 9
	s_delay_alu instid0(VALU_DEP_1) | instskip(SKIP_3) | instid1(VALU_DEP_2)
	v_mad_nc_u64_u32 v[6:7], v4, 3, v[6:7]
	s_wait_kmcnt 0x0
	v_mad_nc_u64_u32 v[4:5], 0x90, v0, s[10:11]
	s_cmp_eq_u32 s3, 0
	v_sub_nc_u64_e64 v[6:7], v[6:7], s[0:1]
	s_delay_alu instid0(VALU_DEP_2) | instskip(SKIP_1) | instid1(VALU_DEP_2)
	v_mad_u32 v5, 0x90, v1, v5
	s_cselect_b32 vcc_lo, -1, 0
	v_lshl_add_u64 v[8:9], v[6:7], 4, s[4:5]
	v_lshl_add_u64 v[10:11], v[6:7], 2, s[12:13]
	v_lshl_add_u64 v[6:7], v[0:1], 2, s[14:15]
	s_delay_alu instid0(VALU_DEP_3) | instskip(NEXT) | instid1(VALU_DEP_3)
	v_add_nc_u64_e32 v[8:9], 16, v[8:9]
	v_add_nc_u64_e32 v[10:11], 4, v[10:11]
.LBB275_5:                              ; =>This Inner Loop Header: Depth=1
	global_load_b32 v30, v[6:7], off
	v_add_nc_u64_e32 v[14:15], v[4:5], v[2:3]
	v_add_nc_u64_e32 v[16:17], v[4:5], v[12:13]
	;; [unrolled: 1-line block ×3, first 2 shown]
	s_wait_xcnt 0x0
	v_add_nc_u64_e32 v[6:7], 0x100, v[6:7]
	v_add_nc_u64_e32 v[4:5], 0x2400, v[4:5]
	;; [unrolled: 1-line block ×6, first 2 shown]
	v_dual_cndmask_b32 v19, v15, v17 :: v_dual_cndmask_b32 v18, v14, v16
	v_cmp_le_i64_e64 s0, s[6:7], v[0:1]
	v_dual_cndmask_b32 v29, v23, v21 :: v_dual_cndmask_b32 v28, v22, v20
	s_delay_alu instid0(VALU_DEP_4)
	v_dual_cndmask_b32 v27, v27, v25 :: v_dual_cndmask_b32 v26, v26, v24
	global_load_b128 v[14:17], v[18:19], off
	global_load_b128 v[18:21], v[28:29], off
	;; [unrolled: 1-line block ×3, first 2 shown]
	s_or_b32 s9, s0, s9
	s_wait_loadcnt 0x3
	s_wait_xcnt 0x0
	v_subrev_nc_u32_e32 v26, s8, v30
	s_delay_alu instid0(VALU_DEP_1) | instskip(NEXT) | instid1(VALU_DEP_1)
	v_mad_u32 v26, v26, 3, s2
	v_dual_add_nc_u32 v28, 2, v26 :: v_dual_add_nc_u32 v27, 1, v26
	s_wait_loadcnt 0x2
	global_store_b128 v[8:9], v[14:17], off offset:-16
	s_wait_loadcnt 0x1
	global_store_b128 v[8:9], v[18:21], off
	s_wait_loadcnt 0x0
	global_store_b128 v[8:9], v[22:25], off offset:16
	s_wait_xcnt 0x0
	v_add_nc_u64_e32 v[8:9], 0xc00, v[8:9]
	global_store_b96 v[10:11], v[26:28], off offset:-4
	s_wait_xcnt 0x0
	v_add_nc_u64_e32 v[10:11], 0x300, v[10:11]
	s_and_not1_b32 exec_lo, exec_lo, s9
	s_cbranch_execnz .LBB275_5
.LBB275_6:
	s_endpgm
	.section	.rodata,"a",@progbits
	.p2align	6, 0x0
	.amdhsa_kernel _ZN9rocsparseL32bsr2csr_block_per_row_2_7_kernelILj256ELj3E21rocsparse_complex_numIdEliEEv20rocsparse_direction_T3_S4_21rocsparse_index_base_PKT1_PKT2_PKS4_S4_S5_PS6_PS9_PS4_
		.amdhsa_group_segment_fixed_size 0
		.amdhsa_private_segment_fixed_size 0
		.amdhsa_kernarg_size 72
		.amdhsa_user_sgpr_count 2
		.amdhsa_user_sgpr_dispatch_ptr 0
		.amdhsa_user_sgpr_queue_ptr 0
		.amdhsa_user_sgpr_kernarg_segment_ptr 1
		.amdhsa_user_sgpr_dispatch_id 0
		.amdhsa_user_sgpr_kernarg_preload_length 0
		.amdhsa_user_sgpr_kernarg_preload_offset 0
		.amdhsa_user_sgpr_private_segment_size 0
		.amdhsa_wavefront_size32 1
		.amdhsa_uses_dynamic_stack 0
		.amdhsa_enable_private_segment 0
		.amdhsa_system_sgpr_workgroup_id_x 1
		.amdhsa_system_sgpr_workgroup_id_y 0
		.amdhsa_system_sgpr_workgroup_id_z 0
		.amdhsa_system_sgpr_workgroup_info 0
		.amdhsa_system_vgpr_workitem_id 0
		.amdhsa_next_free_vgpr 31
		.amdhsa_next_free_sgpr 20
		.amdhsa_named_barrier_count 0
		.amdhsa_reserve_vcc 1
		.amdhsa_float_round_mode_32 0
		.amdhsa_float_round_mode_16_64 0
		.amdhsa_float_denorm_mode_32 3
		.amdhsa_float_denorm_mode_16_64 3
		.amdhsa_fp16_overflow 0
		.amdhsa_memory_ordered 1
		.amdhsa_forward_progress 1
		.amdhsa_inst_pref_size 6
		.amdhsa_round_robin_scheduling 0
		.amdhsa_exception_fp_ieee_invalid_op 0
		.amdhsa_exception_fp_denorm_src 0
		.amdhsa_exception_fp_ieee_div_zero 0
		.amdhsa_exception_fp_ieee_overflow 0
		.amdhsa_exception_fp_ieee_underflow 0
		.amdhsa_exception_fp_ieee_inexact 0
		.amdhsa_exception_int_div_zero 0
	.end_amdhsa_kernel
	.section	.text._ZN9rocsparseL32bsr2csr_block_per_row_2_7_kernelILj256ELj3E21rocsparse_complex_numIdEliEEv20rocsparse_direction_T3_S4_21rocsparse_index_base_PKT1_PKT2_PKS4_S4_S5_PS6_PS9_PS4_,"axG",@progbits,_ZN9rocsparseL32bsr2csr_block_per_row_2_7_kernelILj256ELj3E21rocsparse_complex_numIdEliEEv20rocsparse_direction_T3_S4_21rocsparse_index_base_PKT1_PKT2_PKS4_S4_S5_PS6_PS9_PS4_,comdat
.Lfunc_end275:
	.size	_ZN9rocsparseL32bsr2csr_block_per_row_2_7_kernelILj256ELj3E21rocsparse_complex_numIdEliEEv20rocsparse_direction_T3_S4_21rocsparse_index_base_PKT1_PKT2_PKS4_S4_S5_PS6_PS9_PS4_, .Lfunc_end275-_ZN9rocsparseL32bsr2csr_block_per_row_2_7_kernelILj256ELj3E21rocsparse_complex_numIdEliEEv20rocsparse_direction_T3_S4_21rocsparse_index_base_PKT1_PKT2_PKS4_S4_S5_PS6_PS9_PS4_
                                        ; -- End function
	.set _ZN9rocsparseL32bsr2csr_block_per_row_2_7_kernelILj256ELj3E21rocsparse_complex_numIdEliEEv20rocsparse_direction_T3_S4_21rocsparse_index_base_PKT1_PKT2_PKS4_S4_S5_PS6_PS9_PS4_.num_vgpr, 31
	.set _ZN9rocsparseL32bsr2csr_block_per_row_2_7_kernelILj256ELj3E21rocsparse_complex_numIdEliEEv20rocsparse_direction_T3_S4_21rocsparse_index_base_PKT1_PKT2_PKS4_S4_S5_PS6_PS9_PS4_.num_agpr, 0
	.set _ZN9rocsparseL32bsr2csr_block_per_row_2_7_kernelILj256ELj3E21rocsparse_complex_numIdEliEEv20rocsparse_direction_T3_S4_21rocsparse_index_base_PKT1_PKT2_PKS4_S4_S5_PS6_PS9_PS4_.numbered_sgpr, 20
	.set _ZN9rocsparseL32bsr2csr_block_per_row_2_7_kernelILj256ELj3E21rocsparse_complex_numIdEliEEv20rocsparse_direction_T3_S4_21rocsparse_index_base_PKT1_PKT2_PKS4_S4_S5_PS6_PS9_PS4_.num_named_barrier, 0
	.set _ZN9rocsparseL32bsr2csr_block_per_row_2_7_kernelILj256ELj3E21rocsparse_complex_numIdEliEEv20rocsparse_direction_T3_S4_21rocsparse_index_base_PKT1_PKT2_PKS4_S4_S5_PS6_PS9_PS4_.private_seg_size, 0
	.set _ZN9rocsparseL32bsr2csr_block_per_row_2_7_kernelILj256ELj3E21rocsparse_complex_numIdEliEEv20rocsparse_direction_T3_S4_21rocsparse_index_base_PKT1_PKT2_PKS4_S4_S5_PS6_PS9_PS4_.uses_vcc, 1
	.set _ZN9rocsparseL32bsr2csr_block_per_row_2_7_kernelILj256ELj3E21rocsparse_complex_numIdEliEEv20rocsparse_direction_T3_S4_21rocsparse_index_base_PKT1_PKT2_PKS4_S4_S5_PS6_PS9_PS4_.uses_flat_scratch, 0
	.set _ZN9rocsparseL32bsr2csr_block_per_row_2_7_kernelILj256ELj3E21rocsparse_complex_numIdEliEEv20rocsparse_direction_T3_S4_21rocsparse_index_base_PKT1_PKT2_PKS4_S4_S5_PS6_PS9_PS4_.has_dyn_sized_stack, 0
	.set _ZN9rocsparseL32bsr2csr_block_per_row_2_7_kernelILj256ELj3E21rocsparse_complex_numIdEliEEv20rocsparse_direction_T3_S4_21rocsparse_index_base_PKT1_PKT2_PKS4_S4_S5_PS6_PS9_PS4_.has_recursion, 0
	.set _ZN9rocsparseL32bsr2csr_block_per_row_2_7_kernelILj256ELj3E21rocsparse_complex_numIdEliEEv20rocsparse_direction_T3_S4_21rocsparse_index_base_PKT1_PKT2_PKS4_S4_S5_PS6_PS9_PS4_.has_indirect_call, 0
	.section	.AMDGPU.csdata,"",@progbits
; Kernel info:
; codeLenInByte = 748
; TotalNumSgprs: 22
; NumVgprs: 31
; ScratchSize: 0
; MemoryBound: 0
; FloatMode: 240
; IeeeMode: 1
; LDSByteSize: 0 bytes/workgroup (compile time only)
; SGPRBlocks: 0
; VGPRBlocks: 1
; NumSGPRsForWavesPerEU: 22
; NumVGPRsForWavesPerEU: 31
; NamedBarCnt: 0
; Occupancy: 16
; WaveLimiterHint : 0
; COMPUTE_PGM_RSRC2:SCRATCH_EN: 0
; COMPUTE_PGM_RSRC2:USER_SGPR: 2
; COMPUTE_PGM_RSRC2:TRAP_HANDLER: 0
; COMPUTE_PGM_RSRC2:TGID_X_EN: 1
; COMPUTE_PGM_RSRC2:TGID_Y_EN: 0
; COMPUTE_PGM_RSRC2:TGID_Z_EN: 0
; COMPUTE_PGM_RSRC2:TIDIG_COMP_CNT: 0
	.section	.text._ZN9rocsparseL32bsr2csr_block_per_row_2_7_kernelILj256ELj4E21rocsparse_complex_numIdEliEEv20rocsparse_direction_T3_S4_21rocsparse_index_base_PKT1_PKT2_PKS4_S4_S5_PS6_PS9_PS4_,"axG",@progbits,_ZN9rocsparseL32bsr2csr_block_per_row_2_7_kernelILj256ELj4E21rocsparse_complex_numIdEliEEv20rocsparse_direction_T3_S4_21rocsparse_index_base_PKT1_PKT2_PKS4_S4_S5_PS6_PS9_PS4_,comdat
	.globl	_ZN9rocsparseL32bsr2csr_block_per_row_2_7_kernelILj256ELj4E21rocsparse_complex_numIdEliEEv20rocsparse_direction_T3_S4_21rocsparse_index_base_PKT1_PKT2_PKS4_S4_S5_PS6_PS9_PS4_ ; -- Begin function _ZN9rocsparseL32bsr2csr_block_per_row_2_7_kernelILj256ELj4E21rocsparse_complex_numIdEliEEv20rocsparse_direction_T3_S4_21rocsparse_index_base_PKT1_PKT2_PKS4_S4_S5_PS6_PS9_PS4_
	.p2align	8
	.type	_ZN9rocsparseL32bsr2csr_block_per_row_2_7_kernelILj256ELj4E21rocsparse_complex_numIdEliEEv20rocsparse_direction_T3_S4_21rocsparse_index_base_PKT1_PKT2_PKS4_S4_S5_PS6_PS9_PS4_,@function
_ZN9rocsparseL32bsr2csr_block_per_row_2_7_kernelILj256ELj4E21rocsparse_complex_numIdEliEEv20rocsparse_direction_T3_S4_21rocsparse_index_base_PKT1_PKT2_PKS4_S4_S5_PS6_PS9_PS4_: ; @_ZN9rocsparseL32bsr2csr_block_per_row_2_7_kernelILj256ELj4E21rocsparse_complex_numIdEliEEv20rocsparse_direction_T3_S4_21rocsparse_index_base_PKT1_PKT2_PKS4_S4_S5_PS6_PS9_PS4_
; %bb.0:
	s_load_b64 s[4:5], s[0:1], 0x18
	s_bfe_u32 s2, ttmp6, 0x4000c
	s_and_b32 s3, ttmp6, 15
	s_add_co_i32 s2, s2, 1
	s_getreg_b32 s6, hwreg(HW_REG_IB_STS2, 6, 4)
	s_mul_i32 s2, ttmp9, s2
	s_delay_alu instid0(SALU_CYCLE_1)
	s_add_co_i32 s3, s3, s2
	s_cmp_eq_u32 s6, 0
	s_clause 0x1
	s_load_b32 s2, s[0:1], 0x2c
	s_load_b64 s[12:13], s[0:1], 0x38
	s_cselect_b32 s10, ttmp9, s3
	s_delay_alu instid0(SALU_CYCLE_1)
	s_ashr_i32 s11, s10, 31
	v_or_b32_e32 v1, s10, v0
	s_lshl_b64 s[6:7], s[10:11], 3
	s_wait_kmcnt 0x0
	s_add_nc_u64 s[8:9], s[4:5], s[6:7]
	s_load_b128 s[4:7], s[8:9], 0x0
	s_wait_xcnt 0x0
	s_mov_b32 s9, 0
	s_mov_b32 s8, exec_lo
	s_mov_b32 s3, s9
	v_cmpx_eq_u32_e32 0, v1
	s_cbranch_execz .LBB276_2
; %bb.1:
	v_mov_b64_e32 v[2:3], s[2:3]
	v_mov_b32_e32 v1, 0
	global_store_b64 v1, v[2:3], s[12:13]
.LBB276_2:
	s_wait_xcnt 0x0
	s_or_b32 exec_lo, exec_lo, s8
	s_load_b32 s8, s[0:1], 0xc
	v_dual_mov_b32 v3, 0 :: v_dual_bitop2_b32 v2, 3, v0 bitop3:0x40
	s_delay_alu instid0(VALU_DEP_1) | instskip(SKIP_3) | instid1(VALU_DEP_1)
	v_dual_mov_b32 v7, v3 :: v_dual_lshrrev_b32 v6, 2, v0
	s_wait_kmcnt 0x0
	s_sub_nc_u64 s[14:15], s[4:5], s[8:9]
	s_sub_nc_u64 s[6:7], s[6:7], s[8:9]
	v_add_nc_u64_e32 v[0:1], s[14:15], v[6:7]
	s_sub_nc_u64 s[16:17], s[6:7], s[14:15]
	s_lshl_b64 s[14:15], s[14:15], 4
	s_lshl_b64 s[16:17], s[16:17], 2
	v_lshl_or_b32 v7, s10, 2, v2
	v_mul_u64_e32 v[4:5], s[16:17], v[2:3]
	s_add_nc_u64 s[16:17], s[16:17], s[2:3]
	s_mov_b32 s3, exec_lo
	s_add_nc_u64 s[10:11], s[16:17], s[14:15]
	v_add_nc_u32_e32 v7, 1, v7
	s_delay_alu instid0(VALU_DEP_2)
	v_add_nc_u64_e32 v[8:9], s[10:11], v[4:5]
	global_store_b64 v7, v[8:9], s[12:13] scale_offset
	s_wait_xcnt 0x0
	v_cmpx_gt_i64_e64 s[6:7], v[0:1]
	s_cbranch_execz .LBB276_5
; %bb.3:
	s_clause 0x2
	s_load_b64 s[10:11], s[0:1], 0x20
	s_load_b64 s[12:13], s[0:1], 0x30
	s_load_b32 s3, s[0:1], 0x0
	v_lshl_add_u64 v[4:5], s[4:5], 4, v[4:5]
	v_dual_mov_b32 v7, v3 :: v_dual_lshlrev_b32 v6, 2, v6
	s_clause 0x1
	s_load_b64 s[4:5], s[0:1], 0x40
	s_load_b64 s[14:15], s[0:1], 0x10
	v_lshlrev_b64_e32 v[10:11], 8, v[0:1]
	v_dual_mov_b32 v9, v3 :: v_dual_lshlrev_b32 v8, 4, v2
	v_add_nc_u64_e32 v[4:5], v[4:5], v[6:7]
	v_lshlrev_b32_e32 v2, 6, v2
	s_wait_kmcnt 0x0
	s_cmp_eq_u32 s3, 0
	s_cselect_b32 vcc_lo, -1, 0
	s_lshl_b64 s[0:1], s[8:9], 4
	v_add_nc_u64_e32 v[10:11], s[14:15], v[10:11]
	v_sub_nc_u64_e64 v[6:7], v[4:5], s[0:1]
	v_lshl_add_u64 v[4:5], v[0:1], 2, s[10:11]
	s_mov_b32 s1, 0
	s_delay_alu instid0(VALU_DEP_2) | instskip(SKIP_1) | instid1(VALU_DEP_2)
	v_lshl_add_u64 v[12:13], v[6:7], 4, s[12:13]
	v_lshl_add_u64 v[6:7], v[6:7], 2, s[4:5]
	v_add_nc_u64_e32 v[12:13], 32, v[12:13]
.LBB276_4:                              ; =>This Inner Loop Header: Depth=1
	v_add_nc_u64_e32 v[14:15], v[10:11], v[2:3]
	v_add_nc_u64_e32 v[16:17], v[10:11], v[8:9]
	global_load_b32 v38, v[4:5], off
	v_add_nc_u64_e32 v[0:1], 64, v[0:1]
	s_wait_xcnt 0x0
	v_add_nc_u64_e32 v[4:5], 0x100, v[4:5]
	v_add_nc_u64_e32 v[10:11], 0x4000, v[10:11]
	;; [unrolled: 1-line block ×8, first 2 shown]
	v_dual_cndmask_b32 v31, v17, v15 :: v_dual_cndmask_b32 v30, v16, v14
	v_dual_cndmask_b32 v33, v21, v19 :: v_dual_cndmask_b32 v32, v20, v18
	;; [unrolled: 1-line block ×3, first 2 shown]
	s_delay_alu instid0(VALU_DEP_4)
	v_dual_cndmask_b32 v37, v29, v27 :: v_dual_cndmask_b32 v36, v28, v26
	global_load_b128 v[14:17], v[30:31], off
	global_load_b128 v[18:21], v[32:33], off
	;; [unrolled: 1-line block ×4, first 2 shown]
	v_cmp_le_i64_e64 s0, s[6:7], v[0:1]
	s_or_b32 s1, s0, s1
	s_wait_loadcnt 0x4
	s_wait_xcnt 0x3
	v_subrev_nc_u32_e32 v30, s8, v38
	s_delay_alu instid0(VALU_DEP_1) | instskip(SKIP_1) | instid1(VALU_DEP_1)
	v_lshl_add_u32 v30, v30, 2, s2
	s_wait_xcnt 0x2
	v_dual_add_nc_u32 v32, 2, v30 :: v_dual_add_nc_u32 v31, 1, v30
	v_add_nc_u32_e32 v33, 3, v30
	s_wait_loadcnt 0x3
	global_store_b128 v[12:13], v[14:17], off offset:-32
	global_store_b128 v[6:7], v[30:33], off
	s_wait_xcnt 0x0
	v_add_nc_u64_e32 v[6:7], 0x400, v[6:7]
	s_wait_loadcnt 0x2
	global_store_b128 v[12:13], v[18:21], off offset:-16
	s_wait_loadcnt 0x1
	global_store_b128 v[12:13], v[22:25], off
	s_wait_loadcnt 0x0
	global_store_b128 v[12:13], v[26:29], off offset:16
	s_wait_xcnt 0x0
	v_add_nc_u64_e32 v[12:13], 0x1000, v[12:13]
	s_and_not1_b32 exec_lo, exec_lo, s1
	s_cbranch_execnz .LBB276_4
.LBB276_5:
	s_endpgm
	.section	.rodata,"a",@progbits
	.p2align	6, 0x0
	.amdhsa_kernel _ZN9rocsparseL32bsr2csr_block_per_row_2_7_kernelILj256ELj4E21rocsparse_complex_numIdEliEEv20rocsparse_direction_T3_S4_21rocsparse_index_base_PKT1_PKT2_PKS4_S4_S5_PS6_PS9_PS4_
		.amdhsa_group_segment_fixed_size 0
		.amdhsa_private_segment_fixed_size 0
		.amdhsa_kernarg_size 72
		.amdhsa_user_sgpr_count 2
		.amdhsa_user_sgpr_dispatch_ptr 0
		.amdhsa_user_sgpr_queue_ptr 0
		.amdhsa_user_sgpr_kernarg_segment_ptr 1
		.amdhsa_user_sgpr_dispatch_id 0
		.amdhsa_user_sgpr_kernarg_preload_length 0
		.amdhsa_user_sgpr_kernarg_preload_offset 0
		.amdhsa_user_sgpr_private_segment_size 0
		.amdhsa_wavefront_size32 1
		.amdhsa_uses_dynamic_stack 0
		.amdhsa_enable_private_segment 0
		.amdhsa_system_sgpr_workgroup_id_x 1
		.amdhsa_system_sgpr_workgroup_id_y 0
		.amdhsa_system_sgpr_workgroup_id_z 0
		.amdhsa_system_sgpr_workgroup_info 0
		.amdhsa_system_vgpr_workitem_id 0
		.amdhsa_next_free_vgpr 39
		.amdhsa_next_free_sgpr 18
		.amdhsa_named_barrier_count 0
		.amdhsa_reserve_vcc 1
		.amdhsa_float_round_mode_32 0
		.amdhsa_float_round_mode_16_64 0
		.amdhsa_float_denorm_mode_32 3
		.amdhsa_float_denorm_mode_16_64 3
		.amdhsa_fp16_overflow 0
		.amdhsa_memory_ordered 1
		.amdhsa_forward_progress 1
		.amdhsa_inst_pref_size 6
		.amdhsa_round_robin_scheduling 0
		.amdhsa_exception_fp_ieee_invalid_op 0
		.amdhsa_exception_fp_denorm_src 0
		.amdhsa_exception_fp_ieee_div_zero 0
		.amdhsa_exception_fp_ieee_overflow 0
		.amdhsa_exception_fp_ieee_underflow 0
		.amdhsa_exception_fp_ieee_inexact 0
		.amdhsa_exception_int_div_zero 0
	.end_amdhsa_kernel
	.section	.text._ZN9rocsparseL32bsr2csr_block_per_row_2_7_kernelILj256ELj4E21rocsparse_complex_numIdEliEEv20rocsparse_direction_T3_S4_21rocsparse_index_base_PKT1_PKT2_PKS4_S4_S5_PS6_PS9_PS4_,"axG",@progbits,_ZN9rocsparseL32bsr2csr_block_per_row_2_7_kernelILj256ELj4E21rocsparse_complex_numIdEliEEv20rocsparse_direction_T3_S4_21rocsparse_index_base_PKT1_PKT2_PKS4_S4_S5_PS6_PS9_PS4_,comdat
.Lfunc_end276:
	.size	_ZN9rocsparseL32bsr2csr_block_per_row_2_7_kernelILj256ELj4E21rocsparse_complex_numIdEliEEv20rocsparse_direction_T3_S4_21rocsparse_index_base_PKT1_PKT2_PKS4_S4_S5_PS6_PS9_PS4_, .Lfunc_end276-_ZN9rocsparseL32bsr2csr_block_per_row_2_7_kernelILj256ELj4E21rocsparse_complex_numIdEliEEv20rocsparse_direction_T3_S4_21rocsparse_index_base_PKT1_PKT2_PKS4_S4_S5_PS6_PS9_PS4_
                                        ; -- End function
	.set _ZN9rocsparseL32bsr2csr_block_per_row_2_7_kernelILj256ELj4E21rocsparse_complex_numIdEliEEv20rocsparse_direction_T3_S4_21rocsparse_index_base_PKT1_PKT2_PKS4_S4_S5_PS6_PS9_PS4_.num_vgpr, 39
	.set _ZN9rocsparseL32bsr2csr_block_per_row_2_7_kernelILj256ELj4E21rocsparse_complex_numIdEliEEv20rocsparse_direction_T3_S4_21rocsparse_index_base_PKT1_PKT2_PKS4_S4_S5_PS6_PS9_PS4_.num_agpr, 0
	.set _ZN9rocsparseL32bsr2csr_block_per_row_2_7_kernelILj256ELj4E21rocsparse_complex_numIdEliEEv20rocsparse_direction_T3_S4_21rocsparse_index_base_PKT1_PKT2_PKS4_S4_S5_PS6_PS9_PS4_.numbered_sgpr, 18
	.set _ZN9rocsparseL32bsr2csr_block_per_row_2_7_kernelILj256ELj4E21rocsparse_complex_numIdEliEEv20rocsparse_direction_T3_S4_21rocsparse_index_base_PKT1_PKT2_PKS4_S4_S5_PS6_PS9_PS4_.num_named_barrier, 0
	.set _ZN9rocsparseL32bsr2csr_block_per_row_2_7_kernelILj256ELj4E21rocsparse_complex_numIdEliEEv20rocsparse_direction_T3_S4_21rocsparse_index_base_PKT1_PKT2_PKS4_S4_S5_PS6_PS9_PS4_.private_seg_size, 0
	.set _ZN9rocsparseL32bsr2csr_block_per_row_2_7_kernelILj256ELj4E21rocsparse_complex_numIdEliEEv20rocsparse_direction_T3_S4_21rocsparse_index_base_PKT1_PKT2_PKS4_S4_S5_PS6_PS9_PS4_.uses_vcc, 1
	.set _ZN9rocsparseL32bsr2csr_block_per_row_2_7_kernelILj256ELj4E21rocsparse_complex_numIdEliEEv20rocsparse_direction_T3_S4_21rocsparse_index_base_PKT1_PKT2_PKS4_S4_S5_PS6_PS9_PS4_.uses_flat_scratch, 0
	.set _ZN9rocsparseL32bsr2csr_block_per_row_2_7_kernelILj256ELj4E21rocsparse_complex_numIdEliEEv20rocsparse_direction_T3_S4_21rocsparse_index_base_PKT1_PKT2_PKS4_S4_S5_PS6_PS9_PS4_.has_dyn_sized_stack, 0
	.set _ZN9rocsparseL32bsr2csr_block_per_row_2_7_kernelILj256ELj4E21rocsparse_complex_numIdEliEEv20rocsparse_direction_T3_S4_21rocsparse_index_base_PKT1_PKT2_PKS4_S4_S5_PS6_PS9_PS4_.has_recursion, 0
	.set _ZN9rocsparseL32bsr2csr_block_per_row_2_7_kernelILj256ELj4E21rocsparse_complex_numIdEliEEv20rocsparse_direction_T3_S4_21rocsparse_index_base_PKT1_PKT2_PKS4_S4_S5_PS6_PS9_PS4_.has_indirect_call, 0
	.section	.AMDGPU.csdata,"",@progbits
; Kernel info:
; codeLenInByte = 752
; TotalNumSgprs: 20
; NumVgprs: 39
; ScratchSize: 0
; MemoryBound: 0
; FloatMode: 240
; IeeeMode: 1
; LDSByteSize: 0 bytes/workgroup (compile time only)
; SGPRBlocks: 0
; VGPRBlocks: 2
; NumSGPRsForWavesPerEU: 20
; NumVGPRsForWavesPerEU: 39
; NamedBarCnt: 0
; Occupancy: 16
; WaveLimiterHint : 0
; COMPUTE_PGM_RSRC2:SCRATCH_EN: 0
; COMPUTE_PGM_RSRC2:USER_SGPR: 2
; COMPUTE_PGM_RSRC2:TRAP_HANDLER: 0
; COMPUTE_PGM_RSRC2:TGID_X_EN: 1
; COMPUTE_PGM_RSRC2:TGID_Y_EN: 0
; COMPUTE_PGM_RSRC2:TGID_Z_EN: 0
; COMPUTE_PGM_RSRC2:TIDIG_COMP_CNT: 0
	.section	.text._ZN9rocsparseL32bsr2csr_block_per_row_2_7_kernelILj256ELj5E21rocsparse_complex_numIdEliEEv20rocsparse_direction_T3_S4_21rocsparse_index_base_PKT1_PKT2_PKS4_S4_S5_PS6_PS9_PS4_,"axG",@progbits,_ZN9rocsparseL32bsr2csr_block_per_row_2_7_kernelILj256ELj5E21rocsparse_complex_numIdEliEEv20rocsparse_direction_T3_S4_21rocsparse_index_base_PKT1_PKT2_PKS4_S4_S5_PS6_PS9_PS4_,comdat
	.globl	_ZN9rocsparseL32bsr2csr_block_per_row_2_7_kernelILj256ELj5E21rocsparse_complex_numIdEliEEv20rocsparse_direction_T3_S4_21rocsparse_index_base_PKT1_PKT2_PKS4_S4_S5_PS6_PS9_PS4_ ; -- Begin function _ZN9rocsparseL32bsr2csr_block_per_row_2_7_kernelILj256ELj5E21rocsparse_complex_numIdEliEEv20rocsparse_direction_T3_S4_21rocsparse_index_base_PKT1_PKT2_PKS4_S4_S5_PS6_PS9_PS4_
	.p2align	8
	.type	_ZN9rocsparseL32bsr2csr_block_per_row_2_7_kernelILj256ELj5E21rocsparse_complex_numIdEliEEv20rocsparse_direction_T3_S4_21rocsparse_index_base_PKT1_PKT2_PKS4_S4_S5_PS6_PS9_PS4_,@function
_ZN9rocsparseL32bsr2csr_block_per_row_2_7_kernelILj256ELj5E21rocsparse_complex_numIdEliEEv20rocsparse_direction_T3_S4_21rocsparse_index_base_PKT1_PKT2_PKS4_S4_S5_PS6_PS9_PS4_: ; @_ZN9rocsparseL32bsr2csr_block_per_row_2_7_kernelILj256ELj5E21rocsparse_complex_numIdEliEEv20rocsparse_direction_T3_S4_21rocsparse_index_base_PKT1_PKT2_PKS4_S4_S5_PS6_PS9_PS4_
; %bb.0:
	s_clause 0x1
	s_load_b32 s2, s[0:1], 0x2c
	s_load_b64 s[10:11], s[0:1], 0x38
	s_bfe_u32 s3, ttmp6, 0x4000c
	s_and_b32 s4, ttmp6, 15
	s_add_co_i32 s3, s3, 1
	s_getreg_b32 s5, hwreg(HW_REG_IB_STS2, 6, 4)
	s_mul_i32 s3, ttmp9, s3
	s_delay_alu instid0(SALU_CYCLE_1) | instskip(SKIP_3) | instid1(SALU_CYCLE_1)
	s_add_co_i32 s4, s4, s3
	s_cmp_eq_u32 s5, 0
	s_mov_b32 s3, exec_lo
	s_cselect_b32 s12, ttmp9, s4
	v_or_b32_e32 v1, s12, v0
	s_delay_alu instid0(VALU_DEP_1)
	v_cmpx_eq_u32_e32 0, v1
	s_cbranch_execz .LBB277_2
; %bb.1:
	s_wait_kmcnt 0x0
	v_dual_mov_b32 v2, s2 :: v_dual_mov_b32 v3, 0
	global_store_b64 v3, v[2:3], s[10:11]
.LBB277_2:
	s_wait_xcnt 0x0
	s_or_b32 exec_lo, exec_lo, s3
	v_and_b32_e32 v2, 7, v0
	s_mov_b32 s3, exec_lo
	s_delay_alu instid0(VALU_DEP_1)
	v_cmpx_gt_u32_e32 5, v2
	s_cbranch_execz .LBB277_6
; %bb.3:
	s_clause 0x1
	s_load_b64 s[4:5], s[0:1], 0x18
	s_load_b32 s8, s[0:1], 0xc
	s_ashr_i32 s13, s12, 31
	s_mov_b32 s9, 0
	s_lshl_b64 s[6:7], s[12:13], 3
	v_dual_mov_b32 v3, 0 :: v_dual_lshrrev_b32 v4, 3, v0
	s_mov_b32 s3, s9
	s_delay_alu instid0(VALU_DEP_1)
	v_mov_b32_e32 v5, v3
	s_wait_kmcnt 0x0
	s_add_nc_u64 s[14:15], s[4:5], s[6:7]
	s_load_b128 s[4:7], s[14:15], 0x0
	s_wait_kmcnt 0x0
	s_sub_nc_u64 s[14:15], s[4:5], s[8:9]
	s_sub_nc_u64 s[6:7], s[6:7], s[8:9]
	v_add_nc_u64_e32 v[0:1], s[14:15], v[4:5]
	s_sub_nc_u64 s[16:17], s[6:7], s[14:15]
	s_mul_u64 s[18:19], s[14:15], 25
	s_mul_u64 s[16:17], s[16:17], 5
	s_delay_alu instid0(SALU_CYCLE_1)
	v_mul_u64_e32 v[6:7], s[16:17], v[2:3]
	s_add_nc_u64 s[14:15], s[16:17], s[2:3]
	s_mul_i32 s3, s12, 5
	s_add_nc_u64 s[14:15], s[14:15], s[18:19]
	v_cmp_gt_i64_e32 vcc_lo, s[6:7], v[0:1]
	v_add3_u32 v5, v2, s3, 1
	s_delay_alu instid0(VALU_DEP_3)
	v_add_nc_u64_e32 v[8:9], s[14:15], v[6:7]
	global_store_b64 v5, v[8:9], s[10:11] scale_offset
	s_wait_xcnt 0x0
	s_and_b32 exec_lo, exec_lo, vcc_lo
	s_cbranch_execz .LBB277_6
; %bb.4:
	v_mad_nc_u64_u32 v[6:7], s4, 25, v[6:7]
	s_load_b64 s[10:11], s[0:1], 0x10
	v_mul_u32_u24_e32 v12, 5, v2
	v_dual_mov_b32 v13, v3 :: v_dual_lshlrev_b32 v2, 4, v2
	s_delay_alu instid0(VALU_DEP_2) | instskip(NEXT) | instid1(VALU_DEP_4)
	v_lshlrev_b32_e32 v12, 4, v12
	v_mad_u32 v7, s5, 25, v7
	s_clause 0x3
	s_load_b64 s[4:5], s[0:1], 0x30
	s_load_b64 s[12:13], s[0:1], 0x40
	;; [unrolled: 1-line block ×3, first 2 shown]
	s_load_b32 s3, s[0:1], 0x0
	s_wait_xcnt 0x0
	s_mul_u64 s[0:1], s[8:9], 25
	s_delay_alu instid0(VALU_DEP_1) | instskip(SKIP_3) | instid1(VALU_DEP_2)
	v_mad_nc_u64_u32 v[6:7], v4, 5, v[6:7]
	s_wait_kmcnt 0x0
	v_mad_nc_u64_u32 v[4:5], 0x190, v0, s[10:11]
	s_cmp_eq_u32 s3, 0
	v_sub_nc_u64_e64 v[6:7], v[6:7], s[0:1]
	s_delay_alu instid0(VALU_DEP_2) | instskip(SKIP_1) | instid1(VALU_DEP_2)
	v_mad_u32 v5, 0x190, v1, v5
	s_cselect_b32 vcc_lo, -1, 0
	v_lshl_add_u64 v[8:9], v[6:7], 4, s[4:5]
	v_lshl_add_u64 v[10:11], v[6:7], 2, s[12:13]
	v_lshl_add_u64 v[6:7], v[0:1], 2, s[14:15]
	s_delay_alu instid0(VALU_DEP_3) | instskip(NEXT) | instid1(VALU_DEP_3)
	v_add_nc_u64_e32 v[8:9], 32, v[8:9]
	v_add_nc_u64_e32 v[10:11], 12, v[10:11]
.LBB277_5:                              ; =>This Inner Loop Header: Depth=1
	global_load_b32 v42, v[6:7], off
	v_add_nc_u64_e32 v[14:15], v[4:5], v[2:3]
	v_add_nc_u64_e32 v[16:17], v[4:5], v[12:13]
	v_add_nc_u64_e32 v[0:1], 32, v[0:1]
	s_wait_xcnt 0x0
	v_add_nc_u64_e32 v[6:7], 0x80, v[6:7]
	v_add_nc_u64_e32 v[4:5], 0x3200, v[4:5]
	;; [unrolled: 1-line block ×8, first 2 shown]
	v_dual_cndmask_b32 v19, v15, v17 :: v_dual_cndmask_b32 v18, v14, v16
	v_add_nc_u64_e32 v[32:33], 64, v[16:17]
	v_add_nc_u64_e32 v[34:35], 0x140, v[14:15]
	v_dual_cndmask_b32 v37, v23, v21 :: v_dual_cndmask_b32 v36, v22, v20
	global_load_b128 v[14:17], v[18:19], off
	v_dual_cndmask_b32 v39, v27, v25 :: v_dual_cndmask_b32 v38, v26, v24
	v_dual_cndmask_b32 v41, v31, v29 :: v_dual_cndmask_b32 v40, v30, v28
	;; [unrolled: 1-line block ×3, first 2 shown]
	global_load_b128 v[18:21], v[36:37], off
	global_load_b128 v[22:25], v[38:39], off
	;; [unrolled: 1-line block ×4, first 2 shown]
	v_cmp_le_i64_e64 s0, s[6:7], v[0:1]
	s_or_b32 s9, s0, s9
	s_wait_loadcnt 0x5
	s_wait_xcnt 0x0
	v_subrev_nc_u32_e32 v34, s8, v42
	s_delay_alu instid0(VALU_DEP_1) | instskip(NEXT) | instid1(VALU_DEP_1)
	v_mad_u32 v34, v34, 5, s2
	v_dual_add_nc_u32 v36, 2, v34 :: v_dual_add_nc_u32 v35, 1, v34
	s_wait_loadcnt 0x4
	global_store_b128 v[8:9], v[14:17], off offset:-32
	s_wait_xcnt 0x0
	v_dual_add_nc_u32 v15, 4, v34 :: v_dual_add_nc_u32 v14, 3, v34
	s_wait_loadcnt 0x3
	global_store_b128 v[8:9], v[18:21], off offset:-16
	s_wait_loadcnt 0x2
	global_store_b128 v[8:9], v[22:25], off
	s_wait_loadcnt 0x1
	global_store_b128 v[8:9], v[26:29], off offset:16
	s_wait_loadcnt 0x0
	global_store_b128 v[8:9], v[30:33], off offset:32
	s_wait_xcnt 0x0
	v_add_nc_u64_e32 v[8:9], 0xa00, v[8:9]
	s_clause 0x1
	global_store_b96 v[10:11], v[34:36], off offset:-12
	global_store_b64 v[10:11], v[14:15], off
	s_wait_xcnt 0x0
	v_add_nc_u64_e32 v[10:11], 0x280, v[10:11]
	s_and_not1_b32 exec_lo, exec_lo, s9
	s_cbranch_execnz .LBB277_5
.LBB277_6:
	s_endpgm
	.section	.rodata,"a",@progbits
	.p2align	6, 0x0
	.amdhsa_kernel _ZN9rocsparseL32bsr2csr_block_per_row_2_7_kernelILj256ELj5E21rocsparse_complex_numIdEliEEv20rocsparse_direction_T3_S4_21rocsparse_index_base_PKT1_PKT2_PKS4_S4_S5_PS6_PS9_PS4_
		.amdhsa_group_segment_fixed_size 0
		.amdhsa_private_segment_fixed_size 0
		.amdhsa_kernarg_size 72
		.amdhsa_user_sgpr_count 2
		.amdhsa_user_sgpr_dispatch_ptr 0
		.amdhsa_user_sgpr_queue_ptr 0
		.amdhsa_user_sgpr_kernarg_segment_ptr 1
		.amdhsa_user_sgpr_dispatch_id 0
		.amdhsa_user_sgpr_kernarg_preload_length 0
		.amdhsa_user_sgpr_kernarg_preload_offset 0
		.amdhsa_user_sgpr_private_segment_size 0
		.amdhsa_wavefront_size32 1
		.amdhsa_uses_dynamic_stack 0
		.amdhsa_enable_private_segment 0
		.amdhsa_system_sgpr_workgroup_id_x 1
		.amdhsa_system_sgpr_workgroup_id_y 0
		.amdhsa_system_sgpr_workgroup_id_z 0
		.amdhsa_system_sgpr_workgroup_info 0
		.amdhsa_system_vgpr_workitem_id 0
		.amdhsa_next_free_vgpr 43
		.amdhsa_next_free_sgpr 20
		.amdhsa_named_barrier_count 0
		.amdhsa_reserve_vcc 1
		.amdhsa_float_round_mode_32 0
		.amdhsa_float_round_mode_16_64 0
		.amdhsa_float_denorm_mode_32 3
		.amdhsa_float_denorm_mode_16_64 3
		.amdhsa_fp16_overflow 0
		.amdhsa_memory_ordered 1
		.amdhsa_forward_progress 1
		.amdhsa_inst_pref_size 7
		.amdhsa_round_robin_scheduling 0
		.amdhsa_exception_fp_ieee_invalid_op 0
		.amdhsa_exception_fp_denorm_src 0
		.amdhsa_exception_fp_ieee_div_zero 0
		.amdhsa_exception_fp_ieee_overflow 0
		.amdhsa_exception_fp_ieee_underflow 0
		.amdhsa_exception_fp_ieee_inexact 0
		.amdhsa_exception_int_div_zero 0
	.end_amdhsa_kernel
	.section	.text._ZN9rocsparseL32bsr2csr_block_per_row_2_7_kernelILj256ELj5E21rocsparse_complex_numIdEliEEv20rocsparse_direction_T3_S4_21rocsparse_index_base_PKT1_PKT2_PKS4_S4_S5_PS6_PS9_PS4_,"axG",@progbits,_ZN9rocsparseL32bsr2csr_block_per_row_2_7_kernelILj256ELj5E21rocsparse_complex_numIdEliEEv20rocsparse_direction_T3_S4_21rocsparse_index_base_PKT1_PKT2_PKS4_S4_S5_PS6_PS9_PS4_,comdat
.Lfunc_end277:
	.size	_ZN9rocsparseL32bsr2csr_block_per_row_2_7_kernelILj256ELj5E21rocsparse_complex_numIdEliEEv20rocsparse_direction_T3_S4_21rocsparse_index_base_PKT1_PKT2_PKS4_S4_S5_PS6_PS9_PS4_, .Lfunc_end277-_ZN9rocsparseL32bsr2csr_block_per_row_2_7_kernelILj256ELj5E21rocsparse_complex_numIdEliEEv20rocsparse_direction_T3_S4_21rocsparse_index_base_PKT1_PKT2_PKS4_S4_S5_PS6_PS9_PS4_
                                        ; -- End function
	.set _ZN9rocsparseL32bsr2csr_block_per_row_2_7_kernelILj256ELj5E21rocsparse_complex_numIdEliEEv20rocsparse_direction_T3_S4_21rocsparse_index_base_PKT1_PKT2_PKS4_S4_S5_PS6_PS9_PS4_.num_vgpr, 43
	.set _ZN9rocsparseL32bsr2csr_block_per_row_2_7_kernelILj256ELj5E21rocsparse_complex_numIdEliEEv20rocsparse_direction_T3_S4_21rocsparse_index_base_PKT1_PKT2_PKS4_S4_S5_PS6_PS9_PS4_.num_agpr, 0
	.set _ZN9rocsparseL32bsr2csr_block_per_row_2_7_kernelILj256ELj5E21rocsparse_complex_numIdEliEEv20rocsparse_direction_T3_S4_21rocsparse_index_base_PKT1_PKT2_PKS4_S4_S5_PS6_PS9_PS4_.numbered_sgpr, 20
	.set _ZN9rocsparseL32bsr2csr_block_per_row_2_7_kernelILj256ELj5E21rocsparse_complex_numIdEliEEv20rocsparse_direction_T3_S4_21rocsparse_index_base_PKT1_PKT2_PKS4_S4_S5_PS6_PS9_PS4_.num_named_barrier, 0
	.set _ZN9rocsparseL32bsr2csr_block_per_row_2_7_kernelILj256ELj5E21rocsparse_complex_numIdEliEEv20rocsparse_direction_T3_S4_21rocsparse_index_base_PKT1_PKT2_PKS4_S4_S5_PS6_PS9_PS4_.private_seg_size, 0
	.set _ZN9rocsparseL32bsr2csr_block_per_row_2_7_kernelILj256ELj5E21rocsparse_complex_numIdEliEEv20rocsparse_direction_T3_S4_21rocsparse_index_base_PKT1_PKT2_PKS4_S4_S5_PS6_PS9_PS4_.uses_vcc, 1
	.set _ZN9rocsparseL32bsr2csr_block_per_row_2_7_kernelILj256ELj5E21rocsparse_complex_numIdEliEEv20rocsparse_direction_T3_S4_21rocsparse_index_base_PKT1_PKT2_PKS4_S4_S5_PS6_PS9_PS4_.uses_flat_scratch, 0
	.set _ZN9rocsparseL32bsr2csr_block_per_row_2_7_kernelILj256ELj5E21rocsparse_complex_numIdEliEEv20rocsparse_direction_T3_S4_21rocsparse_index_base_PKT1_PKT2_PKS4_S4_S5_PS6_PS9_PS4_.has_dyn_sized_stack, 0
	.set _ZN9rocsparseL32bsr2csr_block_per_row_2_7_kernelILj256ELj5E21rocsparse_complex_numIdEliEEv20rocsparse_direction_T3_S4_21rocsparse_index_base_PKT1_PKT2_PKS4_S4_S5_PS6_PS9_PS4_.has_recursion, 0
	.set _ZN9rocsparseL32bsr2csr_block_per_row_2_7_kernelILj256ELj5E21rocsparse_complex_numIdEliEEv20rocsparse_direction_T3_S4_21rocsparse_index_base_PKT1_PKT2_PKS4_S4_S5_PS6_PS9_PS4_.has_indirect_call, 0
	.section	.AMDGPU.csdata,"",@progbits
; Kernel info:
; codeLenInByte = 876
; TotalNumSgprs: 22
; NumVgprs: 43
; ScratchSize: 0
; MemoryBound: 0
; FloatMode: 240
; IeeeMode: 1
; LDSByteSize: 0 bytes/workgroup (compile time only)
; SGPRBlocks: 0
; VGPRBlocks: 2
; NumSGPRsForWavesPerEU: 22
; NumVGPRsForWavesPerEU: 43
; NamedBarCnt: 0
; Occupancy: 16
; WaveLimiterHint : 0
; COMPUTE_PGM_RSRC2:SCRATCH_EN: 0
; COMPUTE_PGM_RSRC2:USER_SGPR: 2
; COMPUTE_PGM_RSRC2:TRAP_HANDLER: 0
; COMPUTE_PGM_RSRC2:TGID_X_EN: 1
; COMPUTE_PGM_RSRC2:TGID_Y_EN: 0
; COMPUTE_PGM_RSRC2:TGID_Z_EN: 0
; COMPUTE_PGM_RSRC2:TIDIG_COMP_CNT: 0
	.section	.text._ZN9rocsparseL32bsr2csr_block_per_row_2_7_kernelILj256ELj6E21rocsparse_complex_numIdEliEEv20rocsparse_direction_T3_S4_21rocsparse_index_base_PKT1_PKT2_PKS4_S4_S5_PS6_PS9_PS4_,"axG",@progbits,_ZN9rocsparseL32bsr2csr_block_per_row_2_7_kernelILj256ELj6E21rocsparse_complex_numIdEliEEv20rocsparse_direction_T3_S4_21rocsparse_index_base_PKT1_PKT2_PKS4_S4_S5_PS6_PS9_PS4_,comdat
	.globl	_ZN9rocsparseL32bsr2csr_block_per_row_2_7_kernelILj256ELj6E21rocsparse_complex_numIdEliEEv20rocsparse_direction_T3_S4_21rocsparse_index_base_PKT1_PKT2_PKS4_S4_S5_PS6_PS9_PS4_ ; -- Begin function _ZN9rocsparseL32bsr2csr_block_per_row_2_7_kernelILj256ELj6E21rocsparse_complex_numIdEliEEv20rocsparse_direction_T3_S4_21rocsparse_index_base_PKT1_PKT2_PKS4_S4_S5_PS6_PS9_PS4_
	.p2align	8
	.type	_ZN9rocsparseL32bsr2csr_block_per_row_2_7_kernelILj256ELj6E21rocsparse_complex_numIdEliEEv20rocsparse_direction_T3_S4_21rocsparse_index_base_PKT1_PKT2_PKS4_S4_S5_PS6_PS9_PS4_,@function
_ZN9rocsparseL32bsr2csr_block_per_row_2_7_kernelILj256ELj6E21rocsparse_complex_numIdEliEEv20rocsparse_direction_T3_S4_21rocsparse_index_base_PKT1_PKT2_PKS4_S4_S5_PS6_PS9_PS4_: ; @_ZN9rocsparseL32bsr2csr_block_per_row_2_7_kernelILj256ELj6E21rocsparse_complex_numIdEliEEv20rocsparse_direction_T3_S4_21rocsparse_index_base_PKT1_PKT2_PKS4_S4_S5_PS6_PS9_PS4_
; %bb.0:
	s_clause 0x1
	s_load_b32 s2, s[0:1], 0x2c
	s_load_b64 s[10:11], s[0:1], 0x38
	s_bfe_u32 s3, ttmp6, 0x4000c
	s_and_b32 s4, ttmp6, 15
	s_add_co_i32 s3, s3, 1
	s_getreg_b32 s5, hwreg(HW_REG_IB_STS2, 6, 4)
	s_mul_i32 s3, ttmp9, s3
	s_delay_alu instid0(SALU_CYCLE_1) | instskip(SKIP_3) | instid1(SALU_CYCLE_1)
	s_add_co_i32 s4, s4, s3
	s_cmp_eq_u32 s5, 0
	s_mov_b32 s3, exec_lo
	s_cselect_b32 s12, ttmp9, s4
	v_or_b32_e32 v1, s12, v0
	s_delay_alu instid0(VALU_DEP_1)
	v_cmpx_eq_u32_e32 0, v1
	s_cbranch_execz .LBB278_2
; %bb.1:
	s_wait_kmcnt 0x0
	v_dual_mov_b32 v2, s2 :: v_dual_mov_b32 v3, 0
	global_store_b64 v3, v[2:3], s[10:11]
.LBB278_2:
	s_wait_xcnt 0x0
	s_or_b32 exec_lo, exec_lo, s3
	v_and_b32_e32 v2, 7, v0
	s_mov_b32 s3, exec_lo
	s_delay_alu instid0(VALU_DEP_1)
	v_cmpx_gt_u32_e32 6, v2
	s_cbranch_execz .LBB278_6
; %bb.3:
	s_clause 0x1
	s_load_b64 s[4:5], s[0:1], 0x18
	s_load_b32 s8, s[0:1], 0xc
	s_ashr_i32 s13, s12, 31
	s_mov_b32 s9, 0
	s_lshl_b64 s[6:7], s[12:13], 3
	v_dual_mov_b32 v3, 0 :: v_dual_lshrrev_b32 v4, 3, v0
	s_mov_b32 s3, s9
	s_delay_alu instid0(VALU_DEP_1)
	v_mov_b32_e32 v5, v3
	s_wait_kmcnt 0x0
	s_add_nc_u64 s[14:15], s[4:5], s[6:7]
	s_load_b128 s[4:7], s[14:15], 0x0
	s_wait_kmcnt 0x0
	s_sub_nc_u64 s[14:15], s[4:5], s[8:9]
	s_sub_nc_u64 s[6:7], s[6:7], s[8:9]
	v_add_nc_u64_e32 v[0:1], s[14:15], v[4:5]
	s_sub_nc_u64 s[16:17], s[6:7], s[14:15]
	s_mul_u64 s[18:19], s[14:15], 36
	s_mul_u64 s[16:17], s[16:17], 6
	s_delay_alu instid0(SALU_CYCLE_1)
	v_mul_u64_e32 v[6:7], s[16:17], v[2:3]
	s_add_nc_u64 s[14:15], s[16:17], s[2:3]
	s_mul_i32 s3, s12, 6
	s_add_nc_u64 s[14:15], s[14:15], s[18:19]
	v_cmp_gt_i64_e32 vcc_lo, s[6:7], v[0:1]
	v_add3_u32 v5, v2, s3, 1
	s_delay_alu instid0(VALU_DEP_3)
	v_add_nc_u64_e32 v[8:9], s[14:15], v[6:7]
	global_store_b64 v5, v[8:9], s[10:11] scale_offset
	s_wait_xcnt 0x0
	s_and_b32 exec_lo, exec_lo, vcc_lo
	s_cbranch_execz .LBB278_6
; %bb.4:
	v_mad_nc_u64_u32 v[6:7], s4, 36, v[6:7]
	s_load_b64 s[10:11], s[0:1], 0x10
	v_mul_u32_u24_e32 v12, 6, v2
	v_dual_mov_b32 v13, v3 :: v_dual_lshlrev_b32 v2, 4, v2
	s_delay_alu instid0(VALU_DEP_2) | instskip(NEXT) | instid1(VALU_DEP_4)
	v_lshlrev_b32_e32 v12, 4, v12
	v_mad_u32 v7, s5, 36, v7
	s_clause 0x3
	s_load_b64 s[4:5], s[0:1], 0x30
	s_load_b64 s[12:13], s[0:1], 0x40
	;; [unrolled: 1-line block ×3, first 2 shown]
	s_load_b32 s3, s[0:1], 0x0
	s_wait_xcnt 0x0
	s_mul_u64 s[0:1], s[8:9], 36
	s_delay_alu instid0(VALU_DEP_1) | instskip(SKIP_3) | instid1(VALU_DEP_2)
	v_mad_nc_u64_u32 v[6:7], v4, 6, v[6:7]
	s_wait_kmcnt 0x0
	v_mad_nc_u64_u32 v[4:5], 0x240, v0, s[10:11]
	s_cmp_eq_u32 s3, 0
	v_sub_nc_u64_e64 v[6:7], v[6:7], s[0:1]
	s_delay_alu instid0(VALU_DEP_2) | instskip(SKIP_1) | instid1(VALU_DEP_2)
	v_mad_u32 v5, 0x240, v1, v5
	s_cselect_b32 vcc_lo, -1, 0
	v_lshl_add_u64 v[8:9], v[6:7], 4, s[4:5]
	v_lshl_add_u64 v[10:11], v[6:7], 2, s[12:13]
	v_lshl_add_u64 v[6:7], v[0:1], 2, s[14:15]
	s_delay_alu instid0(VALU_DEP_3) | instskip(NEXT) | instid1(VALU_DEP_3)
	v_add_nc_u64_e32 v[8:9], 48, v[8:9]
	v_add_nc_u64_e32 v[10:11], 12, v[10:11]
.LBB278_5:                              ; =>This Inner Loop Header: Depth=1
	global_load_b32 v48, v[6:7], off
	v_add_nc_u64_e32 v[14:15], v[4:5], v[2:3]
	v_add_nc_u64_e32 v[16:17], v[4:5], v[12:13]
	;; [unrolled: 1-line block ×3, first 2 shown]
	s_wait_xcnt 0x0
	v_add_nc_u64_e32 v[6:7], 0x80, v[6:7]
	v_add_nc_u64_e32 v[4:5], 0x4800, v[4:5]
	;; [unrolled: 1-line block ×8, first 2 shown]
	v_dual_cndmask_b32 v19, v15, v17 :: v_dual_cndmask_b32 v18, v14, v16
	v_add_nc_u64_e32 v[32:33], 64, v[16:17]
	v_add_nc_u64_e32 v[34:35], 0x180, v[14:15]
	;; [unrolled: 1-line block ×4, first 2 shown]
	v_dual_cndmask_b32 v41, v23, v21 :: v_dual_cndmask_b32 v40, v22, v20
	global_load_b128 v[14:17], v[18:19], off
	v_dual_cndmask_b32 v43, v27, v25 :: v_dual_cndmask_b32 v42, v26, v24
	v_dual_cndmask_b32 v45, v31, v29 :: v_dual_cndmask_b32 v44, v30, v28
	;; [unrolled: 1-line block ×4, first 2 shown]
	global_load_b128 v[18:21], v[40:41], off
	global_load_b128 v[22:25], v[42:43], off
	;; [unrolled: 1-line block ×5, first 2 shown]
	v_cmp_le_i64_e64 s0, s[6:7], v[0:1]
	s_or_b32 s9, s0, s9
	s_wait_loadcnt 0x6
	s_wait_xcnt 0x0
	v_subrev_nc_u32_e32 v38, s8, v48
	s_delay_alu instid0(VALU_DEP_1) | instskip(NEXT) | instid1(VALU_DEP_1)
	v_mad_u32 v38, v38, 6, s2
	v_dual_add_nc_u32 v40, 2, v38 :: v_dual_add_nc_u32 v39, 1, v38
	s_wait_loadcnt 0x5
	global_store_b128 v[8:9], v[14:17], off offset:-48
	s_wait_xcnt 0x0
	v_dual_add_nc_u32 v15, 4, v38 :: v_dual_add_nc_u32 v14, 3, v38
	v_add_nc_u32_e32 v16, 5, v38
	s_wait_loadcnt 0x4
	global_store_b128 v[8:9], v[18:21], off offset:-32
	s_wait_loadcnt 0x3
	global_store_b128 v[8:9], v[22:25], off offset:-16
	s_wait_loadcnt 0x2
	global_store_b128 v[8:9], v[26:29], off
	s_wait_loadcnt 0x1
	global_store_b128 v[8:9], v[30:33], off offset:16
	s_wait_loadcnt 0x0
	global_store_b128 v[8:9], v[34:37], off offset:32
	s_wait_xcnt 0x0
	v_add_nc_u64_e32 v[8:9], 0xc00, v[8:9]
	s_clause 0x1
	global_store_b96 v[10:11], v[38:40], off offset:-12
	global_store_b96 v[10:11], v[14:16], off
	s_wait_xcnt 0x0
	v_add_nc_u64_e32 v[10:11], 0x300, v[10:11]
	s_and_not1_b32 exec_lo, exec_lo, s9
	s_cbranch_execnz .LBB278_5
.LBB278_6:
	s_endpgm
	.section	.rodata,"a",@progbits
	.p2align	6, 0x0
	.amdhsa_kernel _ZN9rocsparseL32bsr2csr_block_per_row_2_7_kernelILj256ELj6E21rocsparse_complex_numIdEliEEv20rocsparse_direction_T3_S4_21rocsparse_index_base_PKT1_PKT2_PKS4_S4_S5_PS6_PS9_PS4_
		.amdhsa_group_segment_fixed_size 0
		.amdhsa_private_segment_fixed_size 0
		.amdhsa_kernarg_size 72
		.amdhsa_user_sgpr_count 2
		.amdhsa_user_sgpr_dispatch_ptr 0
		.amdhsa_user_sgpr_queue_ptr 0
		.amdhsa_user_sgpr_kernarg_segment_ptr 1
		.amdhsa_user_sgpr_dispatch_id 0
		.amdhsa_user_sgpr_kernarg_preload_length 0
		.amdhsa_user_sgpr_kernarg_preload_offset 0
		.amdhsa_user_sgpr_private_segment_size 0
		.amdhsa_wavefront_size32 1
		.amdhsa_uses_dynamic_stack 0
		.amdhsa_enable_private_segment 0
		.amdhsa_system_sgpr_workgroup_id_x 1
		.amdhsa_system_sgpr_workgroup_id_y 0
		.amdhsa_system_sgpr_workgroup_id_z 0
		.amdhsa_system_sgpr_workgroup_info 0
		.amdhsa_system_vgpr_workitem_id 0
		.amdhsa_next_free_vgpr 49
		.amdhsa_next_free_sgpr 20
		.amdhsa_named_barrier_count 0
		.amdhsa_reserve_vcc 1
		.amdhsa_float_round_mode_32 0
		.amdhsa_float_round_mode_16_64 0
		.amdhsa_float_denorm_mode_32 3
		.amdhsa_float_denorm_mode_16_64 3
		.amdhsa_fp16_overflow 0
		.amdhsa_memory_ordered 1
		.amdhsa_forward_progress 1
		.amdhsa_inst_pref_size 8
		.amdhsa_round_robin_scheduling 0
		.amdhsa_exception_fp_ieee_invalid_op 0
		.amdhsa_exception_fp_denorm_src 0
		.amdhsa_exception_fp_ieee_div_zero 0
		.amdhsa_exception_fp_ieee_overflow 0
		.amdhsa_exception_fp_ieee_underflow 0
		.amdhsa_exception_fp_ieee_inexact 0
		.amdhsa_exception_int_div_zero 0
	.end_amdhsa_kernel
	.section	.text._ZN9rocsparseL32bsr2csr_block_per_row_2_7_kernelILj256ELj6E21rocsparse_complex_numIdEliEEv20rocsparse_direction_T3_S4_21rocsparse_index_base_PKT1_PKT2_PKS4_S4_S5_PS6_PS9_PS4_,"axG",@progbits,_ZN9rocsparseL32bsr2csr_block_per_row_2_7_kernelILj256ELj6E21rocsparse_complex_numIdEliEEv20rocsparse_direction_T3_S4_21rocsparse_index_base_PKT1_PKT2_PKS4_S4_S5_PS6_PS9_PS4_,comdat
.Lfunc_end278:
	.size	_ZN9rocsparseL32bsr2csr_block_per_row_2_7_kernelILj256ELj6E21rocsparse_complex_numIdEliEEv20rocsparse_direction_T3_S4_21rocsparse_index_base_PKT1_PKT2_PKS4_S4_S5_PS6_PS9_PS4_, .Lfunc_end278-_ZN9rocsparseL32bsr2csr_block_per_row_2_7_kernelILj256ELj6E21rocsparse_complex_numIdEliEEv20rocsparse_direction_T3_S4_21rocsparse_index_base_PKT1_PKT2_PKS4_S4_S5_PS6_PS9_PS4_
                                        ; -- End function
	.set _ZN9rocsparseL32bsr2csr_block_per_row_2_7_kernelILj256ELj6E21rocsparse_complex_numIdEliEEv20rocsparse_direction_T3_S4_21rocsparse_index_base_PKT1_PKT2_PKS4_S4_S5_PS6_PS9_PS4_.num_vgpr, 49
	.set _ZN9rocsparseL32bsr2csr_block_per_row_2_7_kernelILj256ELj6E21rocsparse_complex_numIdEliEEv20rocsparse_direction_T3_S4_21rocsparse_index_base_PKT1_PKT2_PKS4_S4_S5_PS6_PS9_PS4_.num_agpr, 0
	.set _ZN9rocsparseL32bsr2csr_block_per_row_2_7_kernelILj256ELj6E21rocsparse_complex_numIdEliEEv20rocsparse_direction_T3_S4_21rocsparse_index_base_PKT1_PKT2_PKS4_S4_S5_PS6_PS9_PS4_.numbered_sgpr, 20
	.set _ZN9rocsparseL32bsr2csr_block_per_row_2_7_kernelILj256ELj6E21rocsparse_complex_numIdEliEEv20rocsparse_direction_T3_S4_21rocsparse_index_base_PKT1_PKT2_PKS4_S4_S5_PS6_PS9_PS4_.num_named_barrier, 0
	.set _ZN9rocsparseL32bsr2csr_block_per_row_2_7_kernelILj256ELj6E21rocsparse_complex_numIdEliEEv20rocsparse_direction_T3_S4_21rocsparse_index_base_PKT1_PKT2_PKS4_S4_S5_PS6_PS9_PS4_.private_seg_size, 0
	.set _ZN9rocsparseL32bsr2csr_block_per_row_2_7_kernelILj256ELj6E21rocsparse_complex_numIdEliEEv20rocsparse_direction_T3_S4_21rocsparse_index_base_PKT1_PKT2_PKS4_S4_S5_PS6_PS9_PS4_.uses_vcc, 1
	.set _ZN9rocsparseL32bsr2csr_block_per_row_2_7_kernelILj256ELj6E21rocsparse_complex_numIdEliEEv20rocsparse_direction_T3_S4_21rocsparse_index_base_PKT1_PKT2_PKS4_S4_S5_PS6_PS9_PS4_.uses_flat_scratch, 0
	.set _ZN9rocsparseL32bsr2csr_block_per_row_2_7_kernelILj256ELj6E21rocsparse_complex_numIdEliEEv20rocsparse_direction_T3_S4_21rocsparse_index_base_PKT1_PKT2_PKS4_S4_S5_PS6_PS9_PS4_.has_dyn_sized_stack, 0
	.set _ZN9rocsparseL32bsr2csr_block_per_row_2_7_kernelILj256ELj6E21rocsparse_complex_numIdEliEEv20rocsparse_direction_T3_S4_21rocsparse_index_base_PKT1_PKT2_PKS4_S4_S5_PS6_PS9_PS4_.has_recursion, 0
	.set _ZN9rocsparseL32bsr2csr_block_per_row_2_7_kernelILj256ELj6E21rocsparse_complex_numIdEliEEv20rocsparse_direction_T3_S4_21rocsparse_index_base_PKT1_PKT2_PKS4_S4_S5_PS6_PS9_PS4_.has_indirect_call, 0
	.section	.AMDGPU.csdata,"",@progbits
; Kernel info:
; codeLenInByte = 932
; TotalNumSgprs: 22
; NumVgprs: 49
; ScratchSize: 0
; MemoryBound: 0
; FloatMode: 240
; IeeeMode: 1
; LDSByteSize: 0 bytes/workgroup (compile time only)
; SGPRBlocks: 0
; VGPRBlocks: 3
; NumSGPRsForWavesPerEU: 22
; NumVGPRsForWavesPerEU: 49
; NamedBarCnt: 0
; Occupancy: 16
; WaveLimiterHint : 0
; COMPUTE_PGM_RSRC2:SCRATCH_EN: 0
; COMPUTE_PGM_RSRC2:USER_SGPR: 2
; COMPUTE_PGM_RSRC2:TRAP_HANDLER: 0
; COMPUTE_PGM_RSRC2:TGID_X_EN: 1
; COMPUTE_PGM_RSRC2:TGID_Y_EN: 0
; COMPUTE_PGM_RSRC2:TGID_Z_EN: 0
; COMPUTE_PGM_RSRC2:TIDIG_COMP_CNT: 0
	.section	.text._ZN9rocsparseL32bsr2csr_block_per_row_2_7_kernelILj256ELj7E21rocsparse_complex_numIdEliEEv20rocsparse_direction_T3_S4_21rocsparse_index_base_PKT1_PKT2_PKS4_S4_S5_PS6_PS9_PS4_,"axG",@progbits,_ZN9rocsparseL32bsr2csr_block_per_row_2_7_kernelILj256ELj7E21rocsparse_complex_numIdEliEEv20rocsparse_direction_T3_S4_21rocsparse_index_base_PKT1_PKT2_PKS4_S4_S5_PS6_PS9_PS4_,comdat
	.globl	_ZN9rocsparseL32bsr2csr_block_per_row_2_7_kernelILj256ELj7E21rocsparse_complex_numIdEliEEv20rocsparse_direction_T3_S4_21rocsparse_index_base_PKT1_PKT2_PKS4_S4_S5_PS6_PS9_PS4_ ; -- Begin function _ZN9rocsparseL32bsr2csr_block_per_row_2_7_kernelILj256ELj7E21rocsparse_complex_numIdEliEEv20rocsparse_direction_T3_S4_21rocsparse_index_base_PKT1_PKT2_PKS4_S4_S5_PS6_PS9_PS4_
	.p2align	8
	.type	_ZN9rocsparseL32bsr2csr_block_per_row_2_7_kernelILj256ELj7E21rocsparse_complex_numIdEliEEv20rocsparse_direction_T3_S4_21rocsparse_index_base_PKT1_PKT2_PKS4_S4_S5_PS6_PS9_PS4_,@function
_ZN9rocsparseL32bsr2csr_block_per_row_2_7_kernelILj256ELj7E21rocsparse_complex_numIdEliEEv20rocsparse_direction_T3_S4_21rocsparse_index_base_PKT1_PKT2_PKS4_S4_S5_PS6_PS9_PS4_: ; @_ZN9rocsparseL32bsr2csr_block_per_row_2_7_kernelILj256ELj7E21rocsparse_complex_numIdEliEEv20rocsparse_direction_T3_S4_21rocsparse_index_base_PKT1_PKT2_PKS4_S4_S5_PS6_PS9_PS4_
; %bb.0:
	s_clause 0x1
	s_load_b32 s2, s[0:1], 0x2c
	s_load_b64 s[10:11], s[0:1], 0x38
	s_bfe_u32 s3, ttmp6, 0x4000c
	s_and_b32 s4, ttmp6, 15
	s_add_co_i32 s3, s3, 1
	s_getreg_b32 s5, hwreg(HW_REG_IB_STS2, 6, 4)
	s_mul_i32 s3, ttmp9, s3
	s_delay_alu instid0(SALU_CYCLE_1) | instskip(SKIP_3) | instid1(SALU_CYCLE_1)
	s_add_co_i32 s4, s4, s3
	s_cmp_eq_u32 s5, 0
	s_mov_b32 s3, exec_lo
	s_cselect_b32 s12, ttmp9, s4
	v_or_b32_e32 v1, s12, v0
	s_delay_alu instid0(VALU_DEP_1)
	v_cmpx_eq_u32_e32 0, v1
	s_cbranch_execz .LBB279_2
; %bb.1:
	s_wait_kmcnt 0x0
	v_dual_mov_b32 v2, s2 :: v_dual_mov_b32 v3, 0
	global_store_b64 v3, v[2:3], s[10:11]
.LBB279_2:
	s_wait_xcnt 0x0
	s_or_b32 exec_lo, exec_lo, s3
	v_and_b32_e32 v2, 7, v0
	s_mov_b32 s3, exec_lo
	s_delay_alu instid0(VALU_DEP_1)
	v_cmpx_ne_u32_e32 7, v2
	s_cbranch_execz .LBB279_6
; %bb.3:
	s_clause 0x1
	s_load_b64 s[4:5], s[0:1], 0x18
	s_load_b32 s8, s[0:1], 0xc
	s_ashr_i32 s13, s12, 31
	s_mov_b32 s9, 0
	s_lshl_b64 s[6:7], s[12:13], 3
	v_dual_mov_b32 v3, 0 :: v_dual_lshrrev_b32 v4, 3, v0
	s_mov_b32 s3, s9
	s_delay_alu instid0(VALU_DEP_1)
	v_mov_b32_e32 v5, v3
	s_wait_kmcnt 0x0
	s_add_nc_u64 s[14:15], s[4:5], s[6:7]
	s_load_b128 s[4:7], s[14:15], 0x0
	s_wait_kmcnt 0x0
	s_sub_nc_u64 s[14:15], s[4:5], s[8:9]
	s_sub_nc_u64 s[6:7], s[6:7], s[8:9]
	v_add_nc_u64_e32 v[0:1], s[14:15], v[4:5]
	s_sub_nc_u64 s[16:17], s[6:7], s[14:15]
	s_mul_u64 s[18:19], s[14:15], 49
	s_mul_u64 s[16:17], s[16:17], 7
	s_delay_alu instid0(SALU_CYCLE_1)
	v_mul_u64_e32 v[6:7], s[16:17], v[2:3]
	s_add_nc_u64 s[14:15], s[16:17], s[2:3]
	s_mul_i32 s3, s12, 7
	s_add_nc_u64 s[14:15], s[14:15], s[18:19]
	v_cmp_gt_i64_e32 vcc_lo, s[6:7], v[0:1]
	v_add3_u32 v5, v2, s3, 1
	s_delay_alu instid0(VALU_DEP_3)
	v_add_nc_u64_e32 v[8:9], s[14:15], v[6:7]
	global_store_b64 v5, v[8:9], s[10:11] scale_offset
	s_wait_xcnt 0x0
	s_and_b32 exec_lo, exec_lo, vcc_lo
	s_cbranch_execz .LBB279_6
; %bb.4:
	v_mad_nc_u64_u32 v[6:7], s4, 49, v[6:7]
	s_load_b64 s[10:11], s[0:1], 0x10
	v_mul_u32_u24_e32 v12, 7, v2
	v_dual_mov_b32 v13, v3 :: v_dual_lshlrev_b32 v2, 4, v2
	s_delay_alu instid0(VALU_DEP_2) | instskip(NEXT) | instid1(VALU_DEP_4)
	v_lshlrev_b32_e32 v12, 4, v12
	v_mad_u32 v7, s5, 49, v7
	s_clause 0x3
	s_load_b64 s[4:5], s[0:1], 0x30
	s_load_b64 s[12:13], s[0:1], 0x40
	;; [unrolled: 1-line block ×3, first 2 shown]
	s_load_b32 s3, s[0:1], 0x0
	s_wait_xcnt 0x0
	s_mul_u64 s[0:1], s[8:9], 49
	s_delay_alu instid0(VALU_DEP_1) | instskip(SKIP_3) | instid1(VALU_DEP_2)
	v_mad_nc_u64_u32 v[6:7], v4, 7, v[6:7]
	s_wait_kmcnt 0x0
	v_mad_nc_u64_u32 v[4:5], 0x310, v0, s[10:11]
	s_cmp_eq_u32 s3, 0
	v_sub_nc_u64_e64 v[6:7], v[6:7], s[0:1]
	s_delay_alu instid0(VALU_DEP_2) | instskip(SKIP_1) | instid1(VALU_DEP_2)
	v_mad_u32 v5, 0x310, v1, v5
	s_cselect_b32 vcc_lo, -1, 0
	v_lshl_add_u64 v[8:9], v[6:7], 4, s[4:5]
	v_lshl_add_u64 v[10:11], v[6:7], 2, s[12:13]
	;; [unrolled: 1-line block ×3, first 2 shown]
	s_delay_alu instid0(VALU_DEP_3) | instskip(NEXT) | instid1(VALU_DEP_3)
	v_add_nc_u64_e32 v[8:9], 48, v[8:9]
	v_add_nc_u64_e32 v[10:11], 20, v[10:11]
.LBB279_5:                              ; =>This Inner Loop Header: Depth=1
	global_load_b32 v54, v[6:7], off
	v_add_nc_u64_e32 v[14:15], v[4:5], v[2:3]
	v_add_nc_u64_e32 v[16:17], v[4:5], v[12:13]
	;; [unrolled: 1-line block ×3, first 2 shown]
	s_wait_xcnt 0x0
	v_add_nc_u64_e32 v[6:7], 0x80, v[6:7]
	v_add_nc_u64_e32 v[4:5], 0x6200, v[4:5]
	;; [unrolled: 1-line block ×8, first 2 shown]
	v_dual_cndmask_b32 v19, v15, v17 :: v_dual_cndmask_b32 v18, v14, v16
	v_add_nc_u64_e32 v[32:33], 64, v[16:17]
	v_add_nc_u64_e32 v[34:35], 0x1c0, v[14:15]
	;; [unrolled: 1-line block ×6, first 2 shown]
	v_dual_cndmask_b32 v45, v23, v21 :: v_dual_cndmask_b32 v44, v22, v20
	global_load_b128 v[14:17], v[18:19], off
	v_dual_cndmask_b32 v47, v27, v25 :: v_dual_cndmask_b32 v46, v26, v24
	v_dual_cndmask_b32 v49, v31, v29 :: v_dual_cndmask_b32 v48, v30, v28
	;; [unrolled: 1-line block ×5, first 2 shown]
	global_load_b128 v[18:21], v[44:45], off
	global_load_b128 v[22:25], v[46:47], off
	;; [unrolled: 1-line block ×6, first 2 shown]
	v_cmp_le_i64_e64 s0, s[6:7], v[0:1]
	s_or_b32 s9, s0, s9
	s_wait_loadcnt 0x7
	s_wait_xcnt 0x0
	v_subrev_nc_u32_e32 v42, s8, v54
	s_delay_alu instid0(VALU_DEP_1) | instskip(NEXT) | instid1(VALU_DEP_1)
	v_mad_u32 v42, v42, 7, s2
	v_dual_add_nc_u32 v44, 2, v42 :: v_dual_add_nc_u32 v43, 1, v42
	s_wait_loadcnt 0x6
	global_store_b128 v[8:9], v[14:17], off offset:-48
	s_wait_xcnt 0x0
	v_dual_add_nc_u32 v15, 4, v42 :: v_dual_add_nc_u32 v14, 3, v42
	v_dual_add_nc_u32 v17, 6, v42 :: v_dual_add_nc_u32 v16, 5, v42
	s_wait_loadcnt 0x5
	global_store_b128 v[8:9], v[18:21], off offset:-32
	s_wait_loadcnt 0x4
	global_store_b128 v[8:9], v[22:25], off offset:-16
	s_wait_loadcnt 0x3
	global_store_b128 v[8:9], v[26:29], off
	s_wait_loadcnt 0x2
	global_store_b128 v[8:9], v[30:33], off offset:16
	s_wait_loadcnt 0x1
	global_store_b128 v[8:9], v[34:37], off offset:32
	;; [unrolled: 2-line block ×3, first 2 shown]
	s_wait_xcnt 0x0
	v_add_nc_u64_e32 v[8:9], 0xe00, v[8:9]
	s_clause 0x1
	global_store_b96 v[10:11], v[42:44], off offset:-20
	global_store_b128 v[10:11], v[14:17], off offset:-8
	s_wait_xcnt 0x0
	v_add_nc_u64_e32 v[10:11], 0x380, v[10:11]
	s_and_not1_b32 exec_lo, exec_lo, s9
	s_cbranch_execnz .LBB279_5
.LBB279_6:
	s_endpgm
	.section	.rodata,"a",@progbits
	.p2align	6, 0x0
	.amdhsa_kernel _ZN9rocsparseL32bsr2csr_block_per_row_2_7_kernelILj256ELj7E21rocsparse_complex_numIdEliEEv20rocsparse_direction_T3_S4_21rocsparse_index_base_PKT1_PKT2_PKS4_S4_S5_PS6_PS9_PS4_
		.amdhsa_group_segment_fixed_size 0
		.amdhsa_private_segment_fixed_size 0
		.amdhsa_kernarg_size 72
		.amdhsa_user_sgpr_count 2
		.amdhsa_user_sgpr_dispatch_ptr 0
		.amdhsa_user_sgpr_queue_ptr 0
		.amdhsa_user_sgpr_kernarg_segment_ptr 1
		.amdhsa_user_sgpr_dispatch_id 0
		.amdhsa_user_sgpr_kernarg_preload_length 0
		.amdhsa_user_sgpr_kernarg_preload_offset 0
		.amdhsa_user_sgpr_private_segment_size 0
		.amdhsa_wavefront_size32 1
		.amdhsa_uses_dynamic_stack 0
		.amdhsa_enable_private_segment 0
		.amdhsa_system_sgpr_workgroup_id_x 1
		.amdhsa_system_sgpr_workgroup_id_y 0
		.amdhsa_system_sgpr_workgroup_id_z 0
		.amdhsa_system_sgpr_workgroup_info 0
		.amdhsa_system_vgpr_workitem_id 0
		.amdhsa_next_free_vgpr 55
		.amdhsa_next_free_sgpr 20
		.amdhsa_named_barrier_count 0
		.amdhsa_reserve_vcc 1
		.amdhsa_float_round_mode_32 0
		.amdhsa_float_round_mode_16_64 0
		.amdhsa_float_denorm_mode_32 3
		.amdhsa_float_denorm_mode_16_64 3
		.amdhsa_fp16_overflow 0
		.amdhsa_memory_ordered 1
		.amdhsa_forward_progress 1
		.amdhsa_inst_pref_size 8
		.amdhsa_round_robin_scheduling 0
		.amdhsa_exception_fp_ieee_invalid_op 0
		.amdhsa_exception_fp_denorm_src 0
		.amdhsa_exception_fp_ieee_div_zero 0
		.amdhsa_exception_fp_ieee_overflow 0
		.amdhsa_exception_fp_ieee_underflow 0
		.amdhsa_exception_fp_ieee_inexact 0
		.amdhsa_exception_int_div_zero 0
	.end_amdhsa_kernel
	.section	.text._ZN9rocsparseL32bsr2csr_block_per_row_2_7_kernelILj256ELj7E21rocsparse_complex_numIdEliEEv20rocsparse_direction_T3_S4_21rocsparse_index_base_PKT1_PKT2_PKS4_S4_S5_PS6_PS9_PS4_,"axG",@progbits,_ZN9rocsparseL32bsr2csr_block_per_row_2_7_kernelILj256ELj7E21rocsparse_complex_numIdEliEEv20rocsparse_direction_T3_S4_21rocsparse_index_base_PKT1_PKT2_PKS4_S4_S5_PS6_PS9_PS4_,comdat
.Lfunc_end279:
	.size	_ZN9rocsparseL32bsr2csr_block_per_row_2_7_kernelILj256ELj7E21rocsparse_complex_numIdEliEEv20rocsparse_direction_T3_S4_21rocsparse_index_base_PKT1_PKT2_PKS4_S4_S5_PS6_PS9_PS4_, .Lfunc_end279-_ZN9rocsparseL32bsr2csr_block_per_row_2_7_kernelILj256ELj7E21rocsparse_complex_numIdEliEEv20rocsparse_direction_T3_S4_21rocsparse_index_base_PKT1_PKT2_PKS4_S4_S5_PS6_PS9_PS4_
                                        ; -- End function
	.set _ZN9rocsparseL32bsr2csr_block_per_row_2_7_kernelILj256ELj7E21rocsparse_complex_numIdEliEEv20rocsparse_direction_T3_S4_21rocsparse_index_base_PKT1_PKT2_PKS4_S4_S5_PS6_PS9_PS4_.num_vgpr, 55
	.set _ZN9rocsparseL32bsr2csr_block_per_row_2_7_kernelILj256ELj7E21rocsparse_complex_numIdEliEEv20rocsparse_direction_T3_S4_21rocsparse_index_base_PKT1_PKT2_PKS4_S4_S5_PS6_PS9_PS4_.num_agpr, 0
	.set _ZN9rocsparseL32bsr2csr_block_per_row_2_7_kernelILj256ELj7E21rocsparse_complex_numIdEliEEv20rocsparse_direction_T3_S4_21rocsparse_index_base_PKT1_PKT2_PKS4_S4_S5_PS6_PS9_PS4_.numbered_sgpr, 20
	.set _ZN9rocsparseL32bsr2csr_block_per_row_2_7_kernelILj256ELj7E21rocsparse_complex_numIdEliEEv20rocsparse_direction_T3_S4_21rocsparse_index_base_PKT1_PKT2_PKS4_S4_S5_PS6_PS9_PS4_.num_named_barrier, 0
	.set _ZN9rocsparseL32bsr2csr_block_per_row_2_7_kernelILj256ELj7E21rocsparse_complex_numIdEliEEv20rocsparse_direction_T3_S4_21rocsparse_index_base_PKT1_PKT2_PKS4_S4_S5_PS6_PS9_PS4_.private_seg_size, 0
	.set _ZN9rocsparseL32bsr2csr_block_per_row_2_7_kernelILj256ELj7E21rocsparse_complex_numIdEliEEv20rocsparse_direction_T3_S4_21rocsparse_index_base_PKT1_PKT2_PKS4_S4_S5_PS6_PS9_PS4_.uses_vcc, 1
	.set _ZN9rocsparseL32bsr2csr_block_per_row_2_7_kernelILj256ELj7E21rocsparse_complex_numIdEliEEv20rocsparse_direction_T3_S4_21rocsparse_index_base_PKT1_PKT2_PKS4_S4_S5_PS6_PS9_PS4_.uses_flat_scratch, 0
	.set _ZN9rocsparseL32bsr2csr_block_per_row_2_7_kernelILj256ELj7E21rocsparse_complex_numIdEliEEv20rocsparse_direction_T3_S4_21rocsparse_index_base_PKT1_PKT2_PKS4_S4_S5_PS6_PS9_PS4_.has_dyn_sized_stack, 0
	.set _ZN9rocsparseL32bsr2csr_block_per_row_2_7_kernelILj256ELj7E21rocsparse_complex_numIdEliEEv20rocsparse_direction_T3_S4_21rocsparse_index_base_PKT1_PKT2_PKS4_S4_S5_PS6_PS9_PS4_.has_recursion, 0
	.set _ZN9rocsparseL32bsr2csr_block_per_row_2_7_kernelILj256ELj7E21rocsparse_complex_numIdEliEEv20rocsparse_direction_T3_S4_21rocsparse_index_base_PKT1_PKT2_PKS4_S4_S5_PS6_PS9_PS4_.has_indirect_call, 0
	.section	.AMDGPU.csdata,"",@progbits
; Kernel info:
; codeLenInByte = 992
; TotalNumSgprs: 22
; NumVgprs: 55
; ScratchSize: 0
; MemoryBound: 0
; FloatMode: 240
; IeeeMode: 1
; LDSByteSize: 0 bytes/workgroup (compile time only)
; SGPRBlocks: 0
; VGPRBlocks: 3
; NumSGPRsForWavesPerEU: 22
; NumVGPRsForWavesPerEU: 55
; NamedBarCnt: 0
; Occupancy: 16
; WaveLimiterHint : 0
; COMPUTE_PGM_RSRC2:SCRATCH_EN: 0
; COMPUTE_PGM_RSRC2:USER_SGPR: 2
; COMPUTE_PGM_RSRC2:TRAP_HANDLER: 0
; COMPUTE_PGM_RSRC2:TGID_X_EN: 1
; COMPUTE_PGM_RSRC2:TGID_Y_EN: 0
; COMPUTE_PGM_RSRC2:TGID_Z_EN: 0
; COMPUTE_PGM_RSRC2:TIDIG_COMP_CNT: 0
	.section	.text._ZN9rocsparseL33bsr2csr_block_per_row_8_32_kernelILj1024ELj8E21rocsparse_complex_numIdEliEEv20rocsparse_direction_T3_S4_21rocsparse_index_base_PKT1_PKT2_PKS4_S4_S5_PS6_PS9_PS4_,"axG",@progbits,_ZN9rocsparseL33bsr2csr_block_per_row_8_32_kernelILj1024ELj8E21rocsparse_complex_numIdEliEEv20rocsparse_direction_T3_S4_21rocsparse_index_base_PKT1_PKT2_PKS4_S4_S5_PS6_PS9_PS4_,comdat
	.globl	_ZN9rocsparseL33bsr2csr_block_per_row_8_32_kernelILj1024ELj8E21rocsparse_complex_numIdEliEEv20rocsparse_direction_T3_S4_21rocsparse_index_base_PKT1_PKT2_PKS4_S4_S5_PS6_PS9_PS4_ ; -- Begin function _ZN9rocsparseL33bsr2csr_block_per_row_8_32_kernelILj1024ELj8E21rocsparse_complex_numIdEliEEv20rocsparse_direction_T3_S4_21rocsparse_index_base_PKT1_PKT2_PKS4_S4_S5_PS6_PS9_PS4_
	.p2align	8
	.type	_ZN9rocsparseL33bsr2csr_block_per_row_8_32_kernelILj1024ELj8E21rocsparse_complex_numIdEliEEv20rocsparse_direction_T3_S4_21rocsparse_index_base_PKT1_PKT2_PKS4_S4_S5_PS6_PS9_PS4_,@function
_ZN9rocsparseL33bsr2csr_block_per_row_8_32_kernelILj1024ELj8E21rocsparse_complex_numIdEliEEv20rocsparse_direction_T3_S4_21rocsparse_index_base_PKT1_PKT2_PKS4_S4_S5_PS6_PS9_PS4_: ; @_ZN9rocsparseL33bsr2csr_block_per_row_8_32_kernelILj1024ELj8E21rocsparse_complex_numIdEliEEv20rocsparse_direction_T3_S4_21rocsparse_index_base_PKT1_PKT2_PKS4_S4_S5_PS6_PS9_PS4_
; %bb.0:
	s_clause 0x1
	s_load_b64 s[2:3], s[0:1], 0x28
	s_load_b64 s[12:13], s[0:1], 0x38
	s_bfe_u32 s4, ttmp6, 0x4000c
	s_and_b32 s5, ttmp6, 15
	s_add_co_i32 s4, s4, 1
	s_getreg_b32 s6, hwreg(HW_REG_IB_STS2, 6, 4)
	s_mul_i32 s4, ttmp9, s4
	s_delay_alu instid0(SALU_CYCLE_1) | instskip(SKIP_3) | instid1(SALU_CYCLE_1)
	s_add_co_i32 s5, s5, s4
	s_cmp_eq_u32 s6, 0
	s_mov_b32 s4, exec_lo
	s_cselect_b32 s14, ttmp9, s5
	v_or_b32_e32 v1, s14, v0
	s_delay_alu instid0(VALU_DEP_1)
	v_cmpx_eq_u32_e32 0, v1
	s_cbranch_execz .LBB280_2
; %bb.1:
	s_wait_kmcnt 0x0
	v_dual_mov_b32 v2, s3 :: v_dual_mov_b32 v3, 0
	global_store_b64 v3, v[2:3], s[12:13]
.LBB280_2:
	s_wait_xcnt 0x0
	s_or_b32 exec_lo, exec_lo, s4
	v_and_b32_e32 v2, 7, v0
	v_bfe_u32 v3, v0, 3, 3
	s_mov_b32 s4, exec_lo
	s_delay_alu instid0(VALU_DEP_1) | instskip(SKIP_1) | instid1(VALU_DEP_1)
	v_max_i32_e32 v1, v3, v2
	s_wait_kmcnt 0x0
	v_cmpx_gt_i32_e64 s2, v1
	s_cbranch_execz .LBB280_6
; %bb.3:
	s_clause 0x1
	s_load_b64 s[6:7], s[0:1], 0x18
	s_load_b32 s4, s[0:1], 0xc
	s_ashr_i32 s15, s14, 31
	s_mov_b32 s10, s2
	s_lshl_b64 s[8:9], s[14:15], 3
	s_mov_b32 s20, s3
	v_dual_mov_b32 v5, 0 :: v_dual_lshrrev_b32 v4, 6, v0
	v_mad_u32 v8, s2, s14, v3
	s_wait_kmcnt 0x0
	s_add_nc_u64 s[6:7], s[6:7], s[8:9]
	s_load_b128 s[16:19], s[6:7], 0x0
	s_wait_xcnt 0x0
	s_mov_b32 s7, 0
	s_mul_i32 s6, s2, s2
	s_mov_b32 s5, s7
	s_mov_b32 s11, s7
	s_mov_b32 s21, s7
	s_wait_kmcnt 0x0
	s_sub_nc_u64 s[22:23], s[16:17], s[4:5]
	s_sub_nc_u64 s[8:9], s[18:19], s[4:5]
	s_mul_u64 s[18:19], s[22:23], s[6:7]
	s_sub_nc_u64 s[16:17], s[8:9], s[22:23]
	v_add_nc_u64_e32 v[0:1], s[22:23], v[4:5]
	s_mul_u64 s[24:25], s[16:17], s[10:11]
	s_delay_alu instid0(SALU_CYCLE_1) | instskip(NEXT) | instid1(SALU_CYCLE_1)
	s_add_nc_u64 s[20:21], s[24:25], s[20:21]
	s_add_nc_u64 s[20:21], s[20:21], s[18:19]
	s_delay_alu instid0(SALU_CYCLE_1) | instskip(NEXT) | instid1(VALU_DEP_2)
	v_mad_nc_u64_u32 v[6:7], s24, v3, s[20:21]
	v_cmp_gt_i64_e32 vcc_lo, s[8:9], v[0:1]
	s_delay_alu instid0(VALU_DEP_2)
	v_mad_u32 v7, s25, v3, v7
	global_store_b64 v8, v[6:7], s[12:13] offset:8 scale_offset
	s_wait_xcnt 0x0
	s_and_b32 exec_lo, exec_lo, vcc_lo
	s_cbranch_execz .LBB280_6
; %bb.4:
	v_mad_nc_u64_u32 v[6:7], s16, v3, v[4:5]
	s_clause 0x3
	s_load_b64 s[12:13], s[0:1], 0x10
	s_load_b64 s[14:15], s[0:1], 0x20
	;; [unrolled: 1-line block ×3, first 2 shown]
	s_load_b32 s5, s[0:1], 0x0
	v_mul_u64_e32 v[8:9], s[6:7], v[0:1]
	v_mul_lo_u32 v10, s2, v2
	v_mul_lo_u32 v12, s2, v3
	v_dual_mov_b32 v11, v5 :: v_dual_lshlrev_b32 v14, 4, v3
	v_dual_mov_b32 v13, v5 :: v_dual_mov_b32 v15, v5
	s_wait_xcnt 0x0
	s_load_b64 s[0:1], s[0:1], 0x40
	v_dual_mov_b32 v17, v5 :: v_dual_lshlrev_b32 v16, 4, v2
	v_mad_u32 v4, s17, v3, v7
	v_mad_nc_u64_u32 v[6:7], v6, s10, s[18:19]
	s_wait_kmcnt 0x0
	v_lshl_add_u64 v[10:11], v[10:11], 4, s[12:13]
	v_lshl_add_u64 v[12:13], v[12:13], 4, s[12:13]
	s_cmp_eq_u32 s5, 0
	s_delay_alu instid0(VALU_DEP_2) | instskip(NEXT) | instid1(VALU_DEP_4)
	v_add_nc_u64_e32 v[10:11], v[10:11], v[14:15]
	v_mad_u32 v7, v4, s10, v7
	s_delay_alu instid0(VALU_DEP_3) | instskip(SKIP_4) | instid1(VALU_DEP_2)
	v_add_nc_u64_e32 v[12:13], v[12:13], v[16:17]
	s_cselect_b32 vcc_lo, -1, 0
	v_mov_b32_e32 v3, v5
	s_lshl_b64 s[12:13], s[10:11], 6
	s_lshl_b64 s[10:11], s[10:11], 8
	v_dual_cndmask_b32 v5, v11, v13 :: v_dual_cndmask_b32 v4, v10, v12
	v_add_nc_u32_e32 v10, s3, v2
	v_add_nc_u64_e32 v[6:7], v[6:7], v[2:3]
	s_delay_alu instid0(VALU_DEP_3) | instskip(SKIP_1) | instid1(VALU_DEP_3)
	v_lshl_add_u64 v[2:3], v[8:9], 4, v[4:5]
	v_lshl_add_u64 v[8:9], v[0:1], 2, s[14:15]
	;; [unrolled: 1-line block ×4, first 2 shown]
	s_lshl_b64 s[0:1], s[6:7], 8
.LBB280_5:                              ; =>This Inner Loop Header: Depth=1
	global_load_b32 v11, v[8:9], off
	global_load_b128 v[12:15], v[2:3], off
	v_add_nc_u64_e32 v[0:1], 16, v[0:1]
	s_wait_xcnt 0x0
	v_add_nc_u64_e32 v[2:3], s[0:1], v[2:3]
	v_add_nc_u64_e32 v[8:9], 64, v[8:9]
	s_delay_alu instid0(VALU_DEP_3)
	v_cmp_le_i64_e32 vcc_lo, s[8:9], v[0:1]
	s_or_b32 s7, vcc_lo, s7
	s_wait_loadcnt 0x1
	v_subrev_nc_u32_e32 v11, s4, v11
	s_wait_loadcnt 0x0
	global_store_b128 v[6:7], v[12:15], off
	s_wait_xcnt 0x0
	v_add_nc_u64_e32 v[6:7], s[10:11], v[6:7]
	v_mad_u32 v11, v11, s2, v10
	global_store_b32 v[4:5], v11, off
	s_wait_xcnt 0x0
	v_add_nc_u64_e32 v[4:5], s[12:13], v[4:5]
	s_and_not1_b32 exec_lo, exec_lo, s7
	s_cbranch_execnz .LBB280_5
.LBB280_6:
	s_endpgm
	.section	.rodata,"a",@progbits
	.p2align	6, 0x0
	.amdhsa_kernel _ZN9rocsparseL33bsr2csr_block_per_row_8_32_kernelILj1024ELj8E21rocsparse_complex_numIdEliEEv20rocsparse_direction_T3_S4_21rocsparse_index_base_PKT1_PKT2_PKS4_S4_S5_PS6_PS9_PS4_
		.amdhsa_group_segment_fixed_size 0
		.amdhsa_private_segment_fixed_size 0
		.amdhsa_kernarg_size 72
		.amdhsa_user_sgpr_count 2
		.amdhsa_user_sgpr_dispatch_ptr 0
		.amdhsa_user_sgpr_queue_ptr 0
		.amdhsa_user_sgpr_kernarg_segment_ptr 1
		.amdhsa_user_sgpr_dispatch_id 0
		.amdhsa_user_sgpr_kernarg_preload_length 0
		.amdhsa_user_sgpr_kernarg_preload_offset 0
		.amdhsa_user_sgpr_private_segment_size 0
		.amdhsa_wavefront_size32 1
		.amdhsa_uses_dynamic_stack 0
		.amdhsa_enable_private_segment 0
		.amdhsa_system_sgpr_workgroup_id_x 1
		.amdhsa_system_sgpr_workgroup_id_y 0
		.amdhsa_system_sgpr_workgroup_id_z 0
		.amdhsa_system_sgpr_workgroup_info 0
		.amdhsa_system_vgpr_workitem_id 0
		.amdhsa_next_free_vgpr 18
		.amdhsa_next_free_sgpr 26
		.amdhsa_named_barrier_count 0
		.amdhsa_reserve_vcc 1
		.amdhsa_float_round_mode_32 0
		.amdhsa_float_round_mode_16_64 0
		.amdhsa_float_denorm_mode_32 3
		.amdhsa_float_denorm_mode_16_64 3
		.amdhsa_fp16_overflow 0
		.amdhsa_memory_ordered 1
		.amdhsa_forward_progress 1
		.amdhsa_inst_pref_size 6
		.amdhsa_round_robin_scheduling 0
		.amdhsa_exception_fp_ieee_invalid_op 0
		.amdhsa_exception_fp_denorm_src 0
		.amdhsa_exception_fp_ieee_div_zero 0
		.amdhsa_exception_fp_ieee_overflow 0
		.amdhsa_exception_fp_ieee_underflow 0
		.amdhsa_exception_fp_ieee_inexact 0
		.amdhsa_exception_int_div_zero 0
	.end_amdhsa_kernel
	.section	.text._ZN9rocsparseL33bsr2csr_block_per_row_8_32_kernelILj1024ELj8E21rocsparse_complex_numIdEliEEv20rocsparse_direction_T3_S4_21rocsparse_index_base_PKT1_PKT2_PKS4_S4_S5_PS6_PS9_PS4_,"axG",@progbits,_ZN9rocsparseL33bsr2csr_block_per_row_8_32_kernelILj1024ELj8E21rocsparse_complex_numIdEliEEv20rocsparse_direction_T3_S4_21rocsparse_index_base_PKT1_PKT2_PKS4_S4_S5_PS6_PS9_PS4_,comdat
.Lfunc_end280:
	.size	_ZN9rocsparseL33bsr2csr_block_per_row_8_32_kernelILj1024ELj8E21rocsparse_complex_numIdEliEEv20rocsparse_direction_T3_S4_21rocsparse_index_base_PKT1_PKT2_PKS4_S4_S5_PS6_PS9_PS4_, .Lfunc_end280-_ZN9rocsparseL33bsr2csr_block_per_row_8_32_kernelILj1024ELj8E21rocsparse_complex_numIdEliEEv20rocsparse_direction_T3_S4_21rocsparse_index_base_PKT1_PKT2_PKS4_S4_S5_PS6_PS9_PS4_
                                        ; -- End function
	.set _ZN9rocsparseL33bsr2csr_block_per_row_8_32_kernelILj1024ELj8E21rocsparse_complex_numIdEliEEv20rocsparse_direction_T3_S4_21rocsparse_index_base_PKT1_PKT2_PKS4_S4_S5_PS6_PS9_PS4_.num_vgpr, 18
	.set _ZN9rocsparseL33bsr2csr_block_per_row_8_32_kernelILj1024ELj8E21rocsparse_complex_numIdEliEEv20rocsparse_direction_T3_S4_21rocsparse_index_base_PKT1_PKT2_PKS4_S4_S5_PS6_PS9_PS4_.num_agpr, 0
	.set _ZN9rocsparseL33bsr2csr_block_per_row_8_32_kernelILj1024ELj8E21rocsparse_complex_numIdEliEEv20rocsparse_direction_T3_S4_21rocsparse_index_base_PKT1_PKT2_PKS4_S4_S5_PS6_PS9_PS4_.numbered_sgpr, 26
	.set _ZN9rocsparseL33bsr2csr_block_per_row_8_32_kernelILj1024ELj8E21rocsparse_complex_numIdEliEEv20rocsparse_direction_T3_S4_21rocsparse_index_base_PKT1_PKT2_PKS4_S4_S5_PS6_PS9_PS4_.num_named_barrier, 0
	.set _ZN9rocsparseL33bsr2csr_block_per_row_8_32_kernelILj1024ELj8E21rocsparse_complex_numIdEliEEv20rocsparse_direction_T3_S4_21rocsparse_index_base_PKT1_PKT2_PKS4_S4_S5_PS6_PS9_PS4_.private_seg_size, 0
	.set _ZN9rocsparseL33bsr2csr_block_per_row_8_32_kernelILj1024ELj8E21rocsparse_complex_numIdEliEEv20rocsparse_direction_T3_S4_21rocsparse_index_base_PKT1_PKT2_PKS4_S4_S5_PS6_PS9_PS4_.uses_vcc, 1
	.set _ZN9rocsparseL33bsr2csr_block_per_row_8_32_kernelILj1024ELj8E21rocsparse_complex_numIdEliEEv20rocsparse_direction_T3_S4_21rocsparse_index_base_PKT1_PKT2_PKS4_S4_S5_PS6_PS9_PS4_.uses_flat_scratch, 0
	.set _ZN9rocsparseL33bsr2csr_block_per_row_8_32_kernelILj1024ELj8E21rocsparse_complex_numIdEliEEv20rocsparse_direction_T3_S4_21rocsparse_index_base_PKT1_PKT2_PKS4_S4_S5_PS6_PS9_PS4_.has_dyn_sized_stack, 0
	.set _ZN9rocsparseL33bsr2csr_block_per_row_8_32_kernelILj1024ELj8E21rocsparse_complex_numIdEliEEv20rocsparse_direction_T3_S4_21rocsparse_index_base_PKT1_PKT2_PKS4_S4_S5_PS6_PS9_PS4_.has_recursion, 0
	.set _ZN9rocsparseL33bsr2csr_block_per_row_8_32_kernelILj1024ELj8E21rocsparse_complex_numIdEliEEv20rocsparse_direction_T3_S4_21rocsparse_index_base_PKT1_PKT2_PKS4_S4_S5_PS6_PS9_PS4_.has_indirect_call, 0
	.section	.AMDGPU.csdata,"",@progbits
; Kernel info:
; codeLenInByte = 700
; TotalNumSgprs: 28
; NumVgprs: 18
; ScratchSize: 0
; MemoryBound: 0
; FloatMode: 240
; IeeeMode: 1
; LDSByteSize: 0 bytes/workgroup (compile time only)
; SGPRBlocks: 0
; VGPRBlocks: 1
; NumSGPRsForWavesPerEU: 28
; NumVGPRsForWavesPerEU: 18
; NamedBarCnt: 0
; Occupancy: 16
; WaveLimiterHint : 0
; COMPUTE_PGM_RSRC2:SCRATCH_EN: 0
; COMPUTE_PGM_RSRC2:USER_SGPR: 2
; COMPUTE_PGM_RSRC2:TRAP_HANDLER: 0
; COMPUTE_PGM_RSRC2:TGID_X_EN: 1
; COMPUTE_PGM_RSRC2:TGID_Y_EN: 0
; COMPUTE_PGM_RSRC2:TGID_Z_EN: 0
; COMPUTE_PGM_RSRC2:TIDIG_COMP_CNT: 0
	.section	.text._ZN9rocsparseL33bsr2csr_block_per_row_8_32_kernelILj1024ELj16E21rocsparse_complex_numIdEliEEv20rocsparse_direction_T3_S4_21rocsparse_index_base_PKT1_PKT2_PKS4_S4_S5_PS6_PS9_PS4_,"axG",@progbits,_ZN9rocsparseL33bsr2csr_block_per_row_8_32_kernelILj1024ELj16E21rocsparse_complex_numIdEliEEv20rocsparse_direction_T3_S4_21rocsparse_index_base_PKT1_PKT2_PKS4_S4_S5_PS6_PS9_PS4_,comdat
	.globl	_ZN9rocsparseL33bsr2csr_block_per_row_8_32_kernelILj1024ELj16E21rocsparse_complex_numIdEliEEv20rocsparse_direction_T3_S4_21rocsparse_index_base_PKT1_PKT2_PKS4_S4_S5_PS6_PS9_PS4_ ; -- Begin function _ZN9rocsparseL33bsr2csr_block_per_row_8_32_kernelILj1024ELj16E21rocsparse_complex_numIdEliEEv20rocsparse_direction_T3_S4_21rocsparse_index_base_PKT1_PKT2_PKS4_S4_S5_PS6_PS9_PS4_
	.p2align	8
	.type	_ZN9rocsparseL33bsr2csr_block_per_row_8_32_kernelILj1024ELj16E21rocsparse_complex_numIdEliEEv20rocsparse_direction_T3_S4_21rocsparse_index_base_PKT1_PKT2_PKS4_S4_S5_PS6_PS9_PS4_,@function
_ZN9rocsparseL33bsr2csr_block_per_row_8_32_kernelILj1024ELj16E21rocsparse_complex_numIdEliEEv20rocsparse_direction_T3_S4_21rocsparse_index_base_PKT1_PKT2_PKS4_S4_S5_PS6_PS9_PS4_: ; @_ZN9rocsparseL33bsr2csr_block_per_row_8_32_kernelILj1024ELj16E21rocsparse_complex_numIdEliEEv20rocsparse_direction_T3_S4_21rocsparse_index_base_PKT1_PKT2_PKS4_S4_S5_PS6_PS9_PS4_
; %bb.0:
	s_clause 0x1
	s_load_b64 s[2:3], s[0:1], 0x28
	s_load_b64 s[12:13], s[0:1], 0x38
	s_bfe_u32 s4, ttmp6, 0x4000c
	s_and_b32 s5, ttmp6, 15
	s_add_co_i32 s4, s4, 1
	s_getreg_b32 s6, hwreg(HW_REG_IB_STS2, 6, 4)
	s_mul_i32 s4, ttmp9, s4
	s_delay_alu instid0(SALU_CYCLE_1) | instskip(SKIP_3) | instid1(SALU_CYCLE_1)
	s_add_co_i32 s5, s5, s4
	s_cmp_eq_u32 s6, 0
	s_mov_b32 s4, exec_lo
	s_cselect_b32 s14, ttmp9, s5
	v_or_b32_e32 v1, s14, v0
	s_delay_alu instid0(VALU_DEP_1)
	v_cmpx_eq_u32_e32 0, v1
	s_cbranch_execz .LBB281_2
; %bb.1:
	s_wait_kmcnt 0x0
	v_dual_mov_b32 v2, s3 :: v_dual_mov_b32 v3, 0
	global_store_b64 v3, v[2:3], s[12:13]
.LBB281_2:
	s_wait_xcnt 0x0
	s_or_b32 exec_lo, exec_lo, s4
	v_and_b32_e32 v2, 15, v0
	v_bfe_u32 v3, v0, 4, 4
	s_mov_b32 s4, exec_lo
	s_delay_alu instid0(VALU_DEP_1) | instskip(SKIP_1) | instid1(VALU_DEP_1)
	v_max_i32_e32 v1, v3, v2
	s_wait_kmcnt 0x0
	v_cmpx_gt_i32_e64 s2, v1
	s_cbranch_execz .LBB281_6
; %bb.3:
	s_clause 0x1
	s_load_b64 s[6:7], s[0:1], 0x18
	s_load_b32 s4, s[0:1], 0xc
	s_ashr_i32 s15, s14, 31
	s_mov_b32 s10, s2
	s_lshl_b64 s[8:9], s[14:15], 3
	s_mov_b32 s20, s3
	v_dual_mov_b32 v5, 0 :: v_dual_lshrrev_b32 v4, 8, v0
	v_mad_u32 v8, s2, s14, v3
	s_wait_kmcnt 0x0
	s_add_nc_u64 s[6:7], s[6:7], s[8:9]
	s_load_b128 s[16:19], s[6:7], 0x0
	s_wait_xcnt 0x0
	s_mov_b32 s7, 0
	s_mul_i32 s6, s2, s2
	s_mov_b32 s5, s7
	s_mov_b32 s11, s7
	;; [unrolled: 1-line block ×3, first 2 shown]
	s_wait_kmcnt 0x0
	s_sub_nc_u64 s[22:23], s[16:17], s[4:5]
	s_sub_nc_u64 s[8:9], s[18:19], s[4:5]
	s_mul_u64 s[18:19], s[22:23], s[6:7]
	s_sub_nc_u64 s[16:17], s[8:9], s[22:23]
	v_add_nc_u64_e32 v[0:1], s[22:23], v[4:5]
	s_mul_u64 s[24:25], s[16:17], s[10:11]
	s_delay_alu instid0(SALU_CYCLE_1) | instskip(NEXT) | instid1(SALU_CYCLE_1)
	s_add_nc_u64 s[20:21], s[24:25], s[20:21]
	s_add_nc_u64 s[20:21], s[20:21], s[18:19]
	s_delay_alu instid0(SALU_CYCLE_1) | instskip(NEXT) | instid1(VALU_DEP_2)
	v_mad_nc_u64_u32 v[6:7], s24, v3, s[20:21]
	v_cmp_gt_i64_e32 vcc_lo, s[8:9], v[0:1]
	s_delay_alu instid0(VALU_DEP_2)
	v_mad_u32 v7, s25, v3, v7
	global_store_b64 v8, v[6:7], s[12:13] offset:8 scale_offset
	s_wait_xcnt 0x0
	s_and_b32 exec_lo, exec_lo, vcc_lo
	s_cbranch_execz .LBB281_6
; %bb.4:
	v_mad_nc_u64_u32 v[6:7], s16, v3, v[4:5]
	s_clause 0x3
	s_load_b64 s[12:13], s[0:1], 0x10
	s_load_b64 s[14:15], s[0:1], 0x20
	;; [unrolled: 1-line block ×3, first 2 shown]
	s_load_b32 s5, s[0:1], 0x0
	v_mul_u64_e32 v[8:9], s[6:7], v[0:1]
	v_mul_lo_u32 v10, s2, v2
	v_mul_lo_u32 v12, s2, v3
	v_dual_mov_b32 v11, v5 :: v_dual_lshlrev_b32 v14, 4, v3
	v_dual_mov_b32 v13, v5 :: v_dual_mov_b32 v15, v5
	s_wait_xcnt 0x0
	s_load_b64 s[0:1], s[0:1], 0x40
	v_dual_mov_b32 v17, v5 :: v_dual_lshlrev_b32 v16, 4, v2
	v_mad_u32 v4, s17, v3, v7
	v_mad_nc_u64_u32 v[6:7], v6, s10, s[18:19]
	s_wait_kmcnt 0x0
	v_lshl_add_u64 v[10:11], v[10:11], 4, s[12:13]
	v_lshl_add_u64 v[12:13], v[12:13], 4, s[12:13]
	s_cmp_eq_u32 s5, 0
	s_delay_alu instid0(VALU_DEP_2) | instskip(NEXT) | instid1(VALU_DEP_4)
	v_add_nc_u64_e32 v[10:11], v[10:11], v[14:15]
	v_mad_u32 v7, v4, s10, v7
	s_delay_alu instid0(VALU_DEP_3) | instskip(SKIP_4) | instid1(VALU_DEP_2)
	v_add_nc_u64_e32 v[12:13], v[12:13], v[16:17]
	s_cselect_b32 vcc_lo, -1, 0
	v_mov_b32_e32 v3, v5
	s_lshl_b64 s[12:13], s[10:11], 4
	s_lshl_b64 s[10:11], s[10:11], 6
	v_dual_cndmask_b32 v5, v11, v13 :: v_dual_cndmask_b32 v4, v10, v12
	v_add_nc_u32_e32 v10, s3, v2
	v_add_nc_u64_e32 v[6:7], v[6:7], v[2:3]
	s_delay_alu instid0(VALU_DEP_3) | instskip(SKIP_1) | instid1(VALU_DEP_3)
	v_lshl_add_u64 v[2:3], v[8:9], 4, v[4:5]
	v_lshl_add_u64 v[8:9], v[0:1], 2, s[14:15]
	;; [unrolled: 1-line block ×4, first 2 shown]
	s_lshl_b64 s[0:1], s[6:7], 6
.LBB281_5:                              ; =>This Inner Loop Header: Depth=1
	global_load_b32 v11, v[8:9], off
	global_load_b128 v[12:15], v[2:3], off
	v_add_nc_u64_e32 v[0:1], 4, v[0:1]
	s_wait_xcnt 0x0
	v_add_nc_u64_e32 v[2:3], s[0:1], v[2:3]
	v_add_nc_u64_e32 v[8:9], 16, v[8:9]
	s_delay_alu instid0(VALU_DEP_3)
	v_cmp_le_i64_e32 vcc_lo, s[8:9], v[0:1]
	s_or_b32 s7, vcc_lo, s7
	s_wait_loadcnt 0x1
	v_subrev_nc_u32_e32 v11, s4, v11
	s_wait_loadcnt 0x0
	global_store_b128 v[6:7], v[12:15], off
	s_wait_xcnt 0x0
	v_add_nc_u64_e32 v[6:7], s[10:11], v[6:7]
	v_mad_u32 v11, v11, s2, v10
	global_store_b32 v[4:5], v11, off
	s_wait_xcnt 0x0
	v_add_nc_u64_e32 v[4:5], s[12:13], v[4:5]
	s_and_not1_b32 exec_lo, exec_lo, s7
	s_cbranch_execnz .LBB281_5
.LBB281_6:
	s_endpgm
	.section	.rodata,"a",@progbits
	.p2align	6, 0x0
	.amdhsa_kernel _ZN9rocsparseL33bsr2csr_block_per_row_8_32_kernelILj1024ELj16E21rocsparse_complex_numIdEliEEv20rocsparse_direction_T3_S4_21rocsparse_index_base_PKT1_PKT2_PKS4_S4_S5_PS6_PS9_PS4_
		.amdhsa_group_segment_fixed_size 0
		.amdhsa_private_segment_fixed_size 0
		.amdhsa_kernarg_size 72
		.amdhsa_user_sgpr_count 2
		.amdhsa_user_sgpr_dispatch_ptr 0
		.amdhsa_user_sgpr_queue_ptr 0
		.amdhsa_user_sgpr_kernarg_segment_ptr 1
		.amdhsa_user_sgpr_dispatch_id 0
		.amdhsa_user_sgpr_kernarg_preload_length 0
		.amdhsa_user_sgpr_kernarg_preload_offset 0
		.amdhsa_user_sgpr_private_segment_size 0
		.amdhsa_wavefront_size32 1
		.amdhsa_uses_dynamic_stack 0
		.amdhsa_enable_private_segment 0
		.amdhsa_system_sgpr_workgroup_id_x 1
		.amdhsa_system_sgpr_workgroup_id_y 0
		.amdhsa_system_sgpr_workgroup_id_z 0
		.amdhsa_system_sgpr_workgroup_info 0
		.amdhsa_system_vgpr_workitem_id 0
		.amdhsa_next_free_vgpr 18
		.amdhsa_next_free_sgpr 26
		.amdhsa_named_barrier_count 0
		.amdhsa_reserve_vcc 1
		.amdhsa_float_round_mode_32 0
		.amdhsa_float_round_mode_16_64 0
		.amdhsa_float_denorm_mode_32 3
		.amdhsa_float_denorm_mode_16_64 3
		.amdhsa_fp16_overflow 0
		.amdhsa_memory_ordered 1
		.amdhsa_forward_progress 1
		.amdhsa_inst_pref_size 6
		.amdhsa_round_robin_scheduling 0
		.amdhsa_exception_fp_ieee_invalid_op 0
		.amdhsa_exception_fp_denorm_src 0
		.amdhsa_exception_fp_ieee_div_zero 0
		.amdhsa_exception_fp_ieee_overflow 0
		.amdhsa_exception_fp_ieee_underflow 0
		.amdhsa_exception_fp_ieee_inexact 0
		.amdhsa_exception_int_div_zero 0
	.end_amdhsa_kernel
	.section	.text._ZN9rocsparseL33bsr2csr_block_per_row_8_32_kernelILj1024ELj16E21rocsparse_complex_numIdEliEEv20rocsparse_direction_T3_S4_21rocsparse_index_base_PKT1_PKT2_PKS4_S4_S5_PS6_PS9_PS4_,"axG",@progbits,_ZN9rocsparseL33bsr2csr_block_per_row_8_32_kernelILj1024ELj16E21rocsparse_complex_numIdEliEEv20rocsparse_direction_T3_S4_21rocsparse_index_base_PKT1_PKT2_PKS4_S4_S5_PS6_PS9_PS4_,comdat
.Lfunc_end281:
	.size	_ZN9rocsparseL33bsr2csr_block_per_row_8_32_kernelILj1024ELj16E21rocsparse_complex_numIdEliEEv20rocsparse_direction_T3_S4_21rocsparse_index_base_PKT1_PKT2_PKS4_S4_S5_PS6_PS9_PS4_, .Lfunc_end281-_ZN9rocsparseL33bsr2csr_block_per_row_8_32_kernelILj1024ELj16E21rocsparse_complex_numIdEliEEv20rocsparse_direction_T3_S4_21rocsparse_index_base_PKT1_PKT2_PKS4_S4_S5_PS6_PS9_PS4_
                                        ; -- End function
	.set _ZN9rocsparseL33bsr2csr_block_per_row_8_32_kernelILj1024ELj16E21rocsparse_complex_numIdEliEEv20rocsparse_direction_T3_S4_21rocsparse_index_base_PKT1_PKT2_PKS4_S4_S5_PS6_PS9_PS4_.num_vgpr, 18
	.set _ZN9rocsparseL33bsr2csr_block_per_row_8_32_kernelILj1024ELj16E21rocsparse_complex_numIdEliEEv20rocsparse_direction_T3_S4_21rocsparse_index_base_PKT1_PKT2_PKS4_S4_S5_PS6_PS9_PS4_.num_agpr, 0
	.set _ZN9rocsparseL33bsr2csr_block_per_row_8_32_kernelILj1024ELj16E21rocsparse_complex_numIdEliEEv20rocsparse_direction_T3_S4_21rocsparse_index_base_PKT1_PKT2_PKS4_S4_S5_PS6_PS9_PS4_.numbered_sgpr, 26
	.set _ZN9rocsparseL33bsr2csr_block_per_row_8_32_kernelILj1024ELj16E21rocsparse_complex_numIdEliEEv20rocsparse_direction_T3_S4_21rocsparse_index_base_PKT1_PKT2_PKS4_S4_S5_PS6_PS9_PS4_.num_named_barrier, 0
	.set _ZN9rocsparseL33bsr2csr_block_per_row_8_32_kernelILj1024ELj16E21rocsparse_complex_numIdEliEEv20rocsparse_direction_T3_S4_21rocsparse_index_base_PKT1_PKT2_PKS4_S4_S5_PS6_PS9_PS4_.private_seg_size, 0
	.set _ZN9rocsparseL33bsr2csr_block_per_row_8_32_kernelILj1024ELj16E21rocsparse_complex_numIdEliEEv20rocsparse_direction_T3_S4_21rocsparse_index_base_PKT1_PKT2_PKS4_S4_S5_PS6_PS9_PS4_.uses_vcc, 1
	.set _ZN9rocsparseL33bsr2csr_block_per_row_8_32_kernelILj1024ELj16E21rocsparse_complex_numIdEliEEv20rocsparse_direction_T3_S4_21rocsparse_index_base_PKT1_PKT2_PKS4_S4_S5_PS6_PS9_PS4_.uses_flat_scratch, 0
	.set _ZN9rocsparseL33bsr2csr_block_per_row_8_32_kernelILj1024ELj16E21rocsparse_complex_numIdEliEEv20rocsparse_direction_T3_S4_21rocsparse_index_base_PKT1_PKT2_PKS4_S4_S5_PS6_PS9_PS4_.has_dyn_sized_stack, 0
	.set _ZN9rocsparseL33bsr2csr_block_per_row_8_32_kernelILj1024ELj16E21rocsparse_complex_numIdEliEEv20rocsparse_direction_T3_S4_21rocsparse_index_base_PKT1_PKT2_PKS4_S4_S5_PS6_PS9_PS4_.has_recursion, 0
	.set _ZN9rocsparseL33bsr2csr_block_per_row_8_32_kernelILj1024ELj16E21rocsparse_complex_numIdEliEEv20rocsparse_direction_T3_S4_21rocsparse_index_base_PKT1_PKT2_PKS4_S4_S5_PS6_PS9_PS4_.has_indirect_call, 0
	.section	.AMDGPU.csdata,"",@progbits
; Kernel info:
; codeLenInByte = 700
; TotalNumSgprs: 28
; NumVgprs: 18
; ScratchSize: 0
; MemoryBound: 0
; FloatMode: 240
; IeeeMode: 1
; LDSByteSize: 0 bytes/workgroup (compile time only)
; SGPRBlocks: 0
; VGPRBlocks: 1
; NumSGPRsForWavesPerEU: 28
; NumVGPRsForWavesPerEU: 18
; NamedBarCnt: 0
; Occupancy: 16
; WaveLimiterHint : 0
; COMPUTE_PGM_RSRC2:SCRATCH_EN: 0
; COMPUTE_PGM_RSRC2:USER_SGPR: 2
; COMPUTE_PGM_RSRC2:TRAP_HANDLER: 0
; COMPUTE_PGM_RSRC2:TGID_X_EN: 1
; COMPUTE_PGM_RSRC2:TGID_Y_EN: 0
; COMPUTE_PGM_RSRC2:TGID_Z_EN: 0
; COMPUTE_PGM_RSRC2:TIDIG_COMP_CNT: 0
	.section	.text._ZN9rocsparseL33bsr2csr_block_per_row_8_32_kernelILj1024ELj32E21rocsparse_complex_numIdEliEEv20rocsparse_direction_T3_S4_21rocsparse_index_base_PKT1_PKT2_PKS4_S4_S5_PS6_PS9_PS4_,"axG",@progbits,_ZN9rocsparseL33bsr2csr_block_per_row_8_32_kernelILj1024ELj32E21rocsparse_complex_numIdEliEEv20rocsparse_direction_T3_S4_21rocsparse_index_base_PKT1_PKT2_PKS4_S4_S5_PS6_PS9_PS4_,comdat
	.globl	_ZN9rocsparseL33bsr2csr_block_per_row_8_32_kernelILj1024ELj32E21rocsparse_complex_numIdEliEEv20rocsparse_direction_T3_S4_21rocsparse_index_base_PKT1_PKT2_PKS4_S4_S5_PS6_PS9_PS4_ ; -- Begin function _ZN9rocsparseL33bsr2csr_block_per_row_8_32_kernelILj1024ELj32E21rocsparse_complex_numIdEliEEv20rocsparse_direction_T3_S4_21rocsparse_index_base_PKT1_PKT2_PKS4_S4_S5_PS6_PS9_PS4_
	.p2align	8
	.type	_ZN9rocsparseL33bsr2csr_block_per_row_8_32_kernelILj1024ELj32E21rocsparse_complex_numIdEliEEv20rocsparse_direction_T3_S4_21rocsparse_index_base_PKT1_PKT2_PKS4_S4_S5_PS6_PS9_PS4_,@function
_ZN9rocsparseL33bsr2csr_block_per_row_8_32_kernelILj1024ELj32E21rocsparse_complex_numIdEliEEv20rocsparse_direction_T3_S4_21rocsparse_index_base_PKT1_PKT2_PKS4_S4_S5_PS6_PS9_PS4_: ; @_ZN9rocsparseL33bsr2csr_block_per_row_8_32_kernelILj1024ELj32E21rocsparse_complex_numIdEliEEv20rocsparse_direction_T3_S4_21rocsparse_index_base_PKT1_PKT2_PKS4_S4_S5_PS6_PS9_PS4_
; %bb.0:
	s_clause 0x1
	s_load_b64 s[2:3], s[0:1], 0x28
	s_load_b64 s[16:17], s[0:1], 0x38
	s_bfe_u32 s4, ttmp6, 0x4000c
	s_and_b32 s5, ttmp6, 15
	s_add_co_i32 s4, s4, 1
	s_getreg_b32 s6, hwreg(HW_REG_IB_STS2, 6, 4)
	s_mul_i32 s4, ttmp9, s4
	s_delay_alu instid0(SALU_CYCLE_1) | instskip(SKIP_3) | instid1(SALU_CYCLE_1)
	s_add_co_i32 s5, s5, s4
	s_cmp_eq_u32 s6, 0
	s_mov_b32 s4, exec_lo
	s_cselect_b32 s22, ttmp9, s5
	v_or_b32_e32 v1, s22, v0
	s_delay_alu instid0(VALU_DEP_1)
	v_cmpx_eq_u32_e32 0, v1
	s_cbranch_execz .LBB282_2
; %bb.1:
	s_wait_kmcnt 0x0
	v_dual_mov_b32 v2, s3 :: v_dual_mov_b32 v3, 0
	global_store_b64 v3, v[2:3], s[16:17]
.LBB282_2:
	s_wait_xcnt 0x0
	s_or_b32 exec_lo, exec_lo, s4
	v_dual_lshrrev_b32 v4, 5, v0 :: v_dual_bitop2_b32 v2, 31, v0 bitop3:0x40
	s_mov_b32 s4, exec_lo
	s_delay_alu instid0(VALU_DEP_1) | instskip(SKIP_1) | instid1(VALU_DEP_1)
	v_max_i32_e32 v0, v4, v2
	s_wait_kmcnt 0x0
	v_cmpx_gt_i32_e64 s2, v0
	s_cbranch_execz .LBB282_6
; %bb.3:
	s_clause 0x1
	s_load_b64 s[4:5], s[0:1], 0x18
	s_load_b32 s8, s[0:1], 0xc
	s_ashr_i32 s23, s22, 31
	s_mov_b32 s9, 0
	s_lshl_b64 s[6:7], s[22:23], 3
	s_mul_i32 s18, s2, s2
	s_mov_b32 s14, s2
	s_mov_b32 s19, s9
	;; [unrolled: 1-line block ×4, first 2 shown]
	v_mad_u32 v3, s2, s22, v4
	s_mov_b32 s27, s9
	s_wait_kmcnt 0x0
	s_add_nc_u64 s[10:11], s[4:5], s[6:7]
	s_load_b128 s[4:7], s[10:11], 0x0
	s_wait_kmcnt 0x0
	s_sub_nc_u64 s[10:11], s[4:5], s[8:9]
	s_sub_nc_u64 s[12:13], s[6:7], s[8:9]
	s_mul_u64 s[20:21], s[10:11], s[18:19]
	s_sub_nc_u64 s[24:25], s[12:13], s[10:11]
	v_cmp_ge_i64_e64 s6, s[4:5], s[6:7]
	s_mul_u64 s[24:25], s[24:25], s[14:15]
	s_delay_alu instid0(SALU_CYCLE_1) | instskip(SKIP_2) | instid1(VALU_DEP_1)
	v_mad_nc_u64_u32 v[0:1], s24, v4, s[20:21]
	s_add_nc_u64 s[22:23], s[24:25], s[26:27]
	s_and_b32 vcc_lo, exec_lo, s6
	v_mad_u32 v1, s25, v4, v1
	s_delay_alu instid0(VALU_DEP_1)
	v_add_nc_u64_e32 v[6:7], s[22:23], v[0:1]
	global_store_b64 v3, v[6:7], s[16:17] offset:8 scale_offset
	s_cbranch_vccnz .LBB282_6
; %bb.4:
	s_clause 0x3
	s_load_b64 s[6:7], s[0:1], 0x10
	s_load_b64 s[16:17], s[0:1], 0x20
	;; [unrolled: 1-line block ×3, first 2 shown]
	s_load_b32 s24, s[0:1], 0x0
	v_mul_lo_u32 v6, s2, v2
	v_mul_lo_u32 v8, s2, v4
	v_dual_mov_b32 v3, 0 :: v_dual_lshlrev_b32 v4, 4, v4
	s_wait_xcnt 0x0
	s_load_b64 s[0:1], s[0:1], 0x40
	s_delay_alu instid0(VALU_DEP_1) | instskip(SKIP_4) | instid1(VALU_DEP_3)
	v_dual_mov_b32 v5, v3 :: v_dual_lshlrev_b32 v10, 4, v2
	v_dual_mov_b32 v7, v3 :: v_dual_mov_b32 v9, v3
	v_mov_b32_e32 v11, v3
	v_add_nc_u64_e32 v[12:13], v[0:1], v[2:3]
	s_wait_kmcnt 0x0
	v_lshl_add_u64 v[6:7], v[6:7], 4, s[6:7]
	v_lshl_add_u64 v[8:9], v[8:9], 4, s[6:7]
	s_cmp_eq_u32 s24, 0
	s_cselect_b32 vcc_lo, -1, 0
	s_delay_alu instid0(VALU_DEP_2)
	v_add_nc_u64_e32 v[4:5], v[6:7], v[4:5]
	v_add_nc_u32_e32 v6, s3, v2
	v_add_nc_u64_e32 v[8:9], v[8:9], v[10:11]
	v_lshl_add_u64 v[0:1], v[12:13], 2, s[0:1]
	s_lshl_b64 s[0:1], s[18:19], 4
	s_lshl_b64 s[4:5], s[4:5], 2
	;; [unrolled: 1-line block ×4, first 2 shown]
	s_sub_nc_u64 s[18:19], s[4:5], s[18:19]
	v_dual_cndmask_b32 v3, v5, v9 :: v_dual_cndmask_b32 v2, v4, v8
	v_lshl_add_u64 v[4:5], v[12:13], 4, s[22:23]
	s_lshl_b64 s[4:5], s[14:15], 4
	s_add_nc_u64 s[14:15], s[16:17], s[18:19]
	s_delay_alu instid0(VALU_DEP_2)
	v_lshl_add_u64 v[2:3], s[20:21], 4, v[2:3]
.LBB282_5:                              ; =>This Inner Loop Header: Depth=1
	global_load_b128 v[8:11], v[2:3], off
	s_load_b32 s3, s[14:15], 0x0
	s_add_nc_u64 s[10:11], s[10:11], 1
	v_add_nc_u64_e32 v[2:3], s[0:1], v[2:3]
	s_wait_xcnt 0x0
	s_add_nc_u64 s[14:15], s[14:15], 4
	s_wait_kmcnt 0x0
	s_sub_co_i32 s3, s3, s8
	s_delay_alu instid0(SALU_CYCLE_1)
	v_mad_u32 v7, s3, s2, v6
	v_cmp_lt_i64_e64 s3, s[10:11], s[12:13]
	s_and_b32 vcc_lo, exec_lo, s3
	global_store_b32 v[0:1], v7, off
	s_wait_xcnt 0x0
	v_add_nc_u64_e32 v[0:1], s[6:7], v[0:1]
	s_wait_loadcnt 0x0
	global_store_b128 v[4:5], v[8:11], off
	s_wait_xcnt 0x0
	v_add_nc_u64_e32 v[4:5], s[4:5], v[4:5]
	s_cbranch_vccnz .LBB282_5
.LBB282_6:
	s_endpgm
	.section	.rodata,"a",@progbits
	.p2align	6, 0x0
	.amdhsa_kernel _ZN9rocsparseL33bsr2csr_block_per_row_8_32_kernelILj1024ELj32E21rocsparse_complex_numIdEliEEv20rocsparse_direction_T3_S4_21rocsparse_index_base_PKT1_PKT2_PKS4_S4_S5_PS6_PS9_PS4_
		.amdhsa_group_segment_fixed_size 0
		.amdhsa_private_segment_fixed_size 0
		.amdhsa_kernarg_size 72
		.amdhsa_user_sgpr_count 2
		.amdhsa_user_sgpr_dispatch_ptr 0
		.amdhsa_user_sgpr_queue_ptr 0
		.amdhsa_user_sgpr_kernarg_segment_ptr 1
		.amdhsa_user_sgpr_dispatch_id 0
		.amdhsa_user_sgpr_kernarg_preload_length 0
		.amdhsa_user_sgpr_kernarg_preload_offset 0
		.amdhsa_user_sgpr_private_segment_size 0
		.amdhsa_wavefront_size32 1
		.amdhsa_uses_dynamic_stack 0
		.amdhsa_enable_private_segment 0
		.amdhsa_system_sgpr_workgroup_id_x 1
		.amdhsa_system_sgpr_workgroup_id_y 0
		.amdhsa_system_sgpr_workgroup_id_z 0
		.amdhsa_system_sgpr_workgroup_info 0
		.amdhsa_system_vgpr_workitem_id 0
		.amdhsa_next_free_vgpr 14
		.amdhsa_next_free_sgpr 28
		.amdhsa_named_barrier_count 0
		.amdhsa_reserve_vcc 1
		.amdhsa_float_round_mode_32 0
		.amdhsa_float_round_mode_16_64 0
		.amdhsa_float_denorm_mode_32 3
		.amdhsa_float_denorm_mode_16_64 3
		.amdhsa_fp16_overflow 0
		.amdhsa_memory_ordered 1
		.amdhsa_forward_progress 1
		.amdhsa_inst_pref_size 6
		.amdhsa_round_robin_scheduling 0
		.amdhsa_exception_fp_ieee_invalid_op 0
		.amdhsa_exception_fp_denorm_src 0
		.amdhsa_exception_fp_ieee_div_zero 0
		.amdhsa_exception_fp_ieee_overflow 0
		.amdhsa_exception_fp_ieee_underflow 0
		.amdhsa_exception_fp_ieee_inexact 0
		.amdhsa_exception_int_div_zero 0
	.end_amdhsa_kernel
	.section	.text._ZN9rocsparseL33bsr2csr_block_per_row_8_32_kernelILj1024ELj32E21rocsparse_complex_numIdEliEEv20rocsparse_direction_T3_S4_21rocsparse_index_base_PKT1_PKT2_PKS4_S4_S5_PS6_PS9_PS4_,"axG",@progbits,_ZN9rocsparseL33bsr2csr_block_per_row_8_32_kernelILj1024ELj32E21rocsparse_complex_numIdEliEEv20rocsparse_direction_T3_S4_21rocsparse_index_base_PKT1_PKT2_PKS4_S4_S5_PS6_PS9_PS4_,comdat
.Lfunc_end282:
	.size	_ZN9rocsparseL33bsr2csr_block_per_row_8_32_kernelILj1024ELj32E21rocsparse_complex_numIdEliEEv20rocsparse_direction_T3_S4_21rocsparse_index_base_PKT1_PKT2_PKS4_S4_S5_PS6_PS9_PS4_, .Lfunc_end282-_ZN9rocsparseL33bsr2csr_block_per_row_8_32_kernelILj1024ELj32E21rocsparse_complex_numIdEliEEv20rocsparse_direction_T3_S4_21rocsparse_index_base_PKT1_PKT2_PKS4_S4_S5_PS6_PS9_PS4_
                                        ; -- End function
	.set _ZN9rocsparseL33bsr2csr_block_per_row_8_32_kernelILj1024ELj32E21rocsparse_complex_numIdEliEEv20rocsparse_direction_T3_S4_21rocsparse_index_base_PKT1_PKT2_PKS4_S4_S5_PS6_PS9_PS4_.num_vgpr, 14
	.set _ZN9rocsparseL33bsr2csr_block_per_row_8_32_kernelILj1024ELj32E21rocsparse_complex_numIdEliEEv20rocsparse_direction_T3_S4_21rocsparse_index_base_PKT1_PKT2_PKS4_S4_S5_PS6_PS9_PS4_.num_agpr, 0
	.set _ZN9rocsparseL33bsr2csr_block_per_row_8_32_kernelILj1024ELj32E21rocsparse_complex_numIdEliEEv20rocsparse_direction_T3_S4_21rocsparse_index_base_PKT1_PKT2_PKS4_S4_S5_PS6_PS9_PS4_.numbered_sgpr, 28
	.set _ZN9rocsparseL33bsr2csr_block_per_row_8_32_kernelILj1024ELj32E21rocsparse_complex_numIdEliEEv20rocsparse_direction_T3_S4_21rocsparse_index_base_PKT1_PKT2_PKS4_S4_S5_PS6_PS9_PS4_.num_named_barrier, 0
	.set _ZN9rocsparseL33bsr2csr_block_per_row_8_32_kernelILj1024ELj32E21rocsparse_complex_numIdEliEEv20rocsparse_direction_T3_S4_21rocsparse_index_base_PKT1_PKT2_PKS4_S4_S5_PS6_PS9_PS4_.private_seg_size, 0
	.set _ZN9rocsparseL33bsr2csr_block_per_row_8_32_kernelILj1024ELj32E21rocsparse_complex_numIdEliEEv20rocsparse_direction_T3_S4_21rocsparse_index_base_PKT1_PKT2_PKS4_S4_S5_PS6_PS9_PS4_.uses_vcc, 1
	.set _ZN9rocsparseL33bsr2csr_block_per_row_8_32_kernelILj1024ELj32E21rocsparse_complex_numIdEliEEv20rocsparse_direction_T3_S4_21rocsparse_index_base_PKT1_PKT2_PKS4_S4_S5_PS6_PS9_PS4_.uses_flat_scratch, 0
	.set _ZN9rocsparseL33bsr2csr_block_per_row_8_32_kernelILj1024ELj32E21rocsparse_complex_numIdEliEEv20rocsparse_direction_T3_S4_21rocsparse_index_base_PKT1_PKT2_PKS4_S4_S5_PS6_PS9_PS4_.has_dyn_sized_stack, 0
	.set _ZN9rocsparseL33bsr2csr_block_per_row_8_32_kernelILj1024ELj32E21rocsparse_complex_numIdEliEEv20rocsparse_direction_T3_S4_21rocsparse_index_base_PKT1_PKT2_PKS4_S4_S5_PS6_PS9_PS4_.has_recursion, 0
	.set _ZN9rocsparseL33bsr2csr_block_per_row_8_32_kernelILj1024ELj32E21rocsparse_complex_numIdEliEEv20rocsparse_direction_T3_S4_21rocsparse_index_base_PKT1_PKT2_PKS4_S4_S5_PS6_PS9_PS4_.has_indirect_call, 0
	.section	.AMDGPU.csdata,"",@progbits
; Kernel info:
; codeLenInByte = 648
; TotalNumSgprs: 30
; NumVgprs: 14
; ScratchSize: 0
; MemoryBound: 0
; FloatMode: 240
; IeeeMode: 1
; LDSByteSize: 0 bytes/workgroup (compile time only)
; SGPRBlocks: 0
; VGPRBlocks: 0
; NumSGPRsForWavesPerEU: 30
; NumVGPRsForWavesPerEU: 14
; NamedBarCnt: 0
; Occupancy: 16
; WaveLimiterHint : 0
; COMPUTE_PGM_RSRC2:SCRATCH_EN: 0
; COMPUTE_PGM_RSRC2:USER_SGPR: 2
; COMPUTE_PGM_RSRC2:TRAP_HANDLER: 0
; COMPUTE_PGM_RSRC2:TGID_X_EN: 1
; COMPUTE_PGM_RSRC2:TGID_Y_EN: 0
; COMPUTE_PGM_RSRC2:TGID_Z_EN: 0
; COMPUTE_PGM_RSRC2:TIDIG_COMP_CNT: 0
	.section	.text._ZN9rocsparseL35bsr2csr_block_per_row_33_256_kernelILj1024ELj64ELj32E21rocsparse_complex_numIdEliEEv20rocsparse_direction_T4_S4_21rocsparse_index_base_PKT2_PKT3_PKS4_S4_S5_PS6_PS9_PS4_,"axG",@progbits,_ZN9rocsparseL35bsr2csr_block_per_row_33_256_kernelILj1024ELj64ELj32E21rocsparse_complex_numIdEliEEv20rocsparse_direction_T4_S4_21rocsparse_index_base_PKT2_PKT3_PKS4_S4_S5_PS6_PS9_PS4_,comdat
	.globl	_ZN9rocsparseL35bsr2csr_block_per_row_33_256_kernelILj1024ELj64ELj32E21rocsparse_complex_numIdEliEEv20rocsparse_direction_T4_S4_21rocsparse_index_base_PKT2_PKT3_PKS4_S4_S5_PS6_PS9_PS4_ ; -- Begin function _ZN9rocsparseL35bsr2csr_block_per_row_33_256_kernelILj1024ELj64ELj32E21rocsparse_complex_numIdEliEEv20rocsparse_direction_T4_S4_21rocsparse_index_base_PKT2_PKT3_PKS4_S4_S5_PS6_PS9_PS4_
	.p2align	8
	.type	_ZN9rocsparseL35bsr2csr_block_per_row_33_256_kernelILj1024ELj64ELj32E21rocsparse_complex_numIdEliEEv20rocsparse_direction_T4_S4_21rocsparse_index_base_PKT2_PKT3_PKS4_S4_S5_PS6_PS9_PS4_,@function
_ZN9rocsparseL35bsr2csr_block_per_row_33_256_kernelILj1024ELj64ELj32E21rocsparse_complex_numIdEliEEv20rocsparse_direction_T4_S4_21rocsparse_index_base_PKT2_PKT3_PKS4_S4_S5_PS6_PS9_PS4_: ; @_ZN9rocsparseL35bsr2csr_block_per_row_33_256_kernelILj1024ELj64ELj32E21rocsparse_complex_numIdEliEEv20rocsparse_direction_T4_S4_21rocsparse_index_base_PKT2_PKT3_PKS4_S4_S5_PS6_PS9_PS4_
; %bb.0:
	s_load_b64 s[2:3], s[0:1], 0x18
	s_bfe_u32 s4, ttmp6, 0x4000c
	s_and_b32 s5, ttmp6, 15
	s_add_co_i32 s4, s4, 1
	s_getreg_b32 s6, hwreg(HW_REG_IB_STS2, 6, 4)
	s_mul_i32 s4, ttmp9, s4
	s_clause 0x1
	s_load_b64 s[8:9], s[0:1], 0x28
	s_load_b64 s[24:25], s[0:1], 0x38
	s_add_co_i32 s5, s5, s4
	s_cmp_eq_u32 s6, 0
	s_mov_b32 s11, 0
	s_cselect_b32 s26, ttmp9, s5
	s_mov_b32 s13, s11
	s_ashr_i32 s27, s26, 31
	v_or_b32_e32 v1, s26, v0
	s_lshl_b64 s[4:5], s[26:27], 3
	s_wait_kmcnt 0x0
	s_add_nc_u64 s[2:3], s[2:3], s[4:5]
	s_load_b128 s[4:7], s[2:3], 0x0
	s_wait_xcnt 0x0
	s_mov_b32 s2, exec_lo
	s_mov_b32 s12, s9
	v_cmpx_eq_u32_e32 0, v1
	s_cbranch_execz .LBB283_2
; %bb.1:
	v_mov_b64_e32 v[2:3], s[12:13]
	v_mov_b32_e32 v1, 0
	global_store_b64 v1, v[2:3], s[24:25]
.LBB283_2:
	s_wait_xcnt 0x0
	s_or_b32 exec_lo, exec_lo, s2
	s_load_b32 s10, s[0:1], 0xc
	v_lshrrev_b32_e32 v2, 5, v0
	s_mul_i32 s20, s8, s8
	s_mov_b32 s21, s11
	s_mov_b32 s9, s11
	s_mul_i32 s26, s8, s26
	v_cmp_gt_i32_e64 s2, s8, v2
	s_wait_kmcnt 0x0
	s_sub_nc_u64 s[14:15], s[4:5], s[10:11]
	s_sub_nc_u64 s[16:17], s[6:7], s[10:11]
	s_mul_u64 s[18:19], s[14:15], s[20:21]
	s_sub_nc_u64 s[22:23], s[16:17], s[14:15]
	s_add_nc_u64 s[30:31], s[18:19], s[12:13]
	s_mul_u64 s[28:29], s[22:23], s[8:9]
	s_delay_alu instid0(SALU_CYCLE_1)
	s_add_nc_u64 s[30:31], s[30:31], s[28:29]
	s_and_saveexec_b32 s3, s2
	s_cbranch_execz .LBB283_4
; %bb.3:
	v_mad_nc_u64_u32 v[4:5], s28, v2, s[30:31]
	v_add_nc_u32_e32 v1, s26, v2
	s_delay_alu instid0(VALU_DEP_2)
	v_mad_u32 v5, s29, v2, v5
	global_store_b64 v1, v[4:5], s[24:25] offset:8 scale_offset
.LBB283_4:
	s_wait_xcnt 0x0
	s_or_b32 exec_lo, exec_lo, s3
	v_or_b32_e32 v4, 32, v2
	s_delay_alu instid0(VALU_DEP_1)
	v_cmp_gt_i32_e64 s3, s8, v4
	s_and_saveexec_b32 s13, s3
	s_cbranch_execz .LBB283_6
; %bb.5:
	v_mad_nc_u64_u32 v[6:7], s28, v4, s[30:31]
	v_mov_b32_e32 v3, 0
	s_ashr_i32 s27, s26, 31
	s_delay_alu instid0(VALU_DEP_1) | instid1(SALU_CYCLE_1)
	v_add_nc_u64_e32 v[8:9], s[26:27], v[2:3]
	s_delay_alu instid0(VALU_DEP_3) | instskip(NEXT) | instid1(VALU_DEP_2)
	v_mad_u32 v7, s29, v4, v7
	v_lshl_add_u64 v[8:9], v[8:9], 3, s[24:25]
	global_store_b64 v[8:9], v[6:7], off offset:264
.LBB283_6:
	s_wait_xcnt 0x0
	s_or_b32 exec_lo, exec_lo, s13
	v_cmp_lt_i64_e64 s6, s[4:5], s[6:7]
	s_and_b32 vcc_lo, exec_lo, s6
	s_cbranch_vccz .LBB283_17
; %bb.7:
	v_dual_mov_b32 v3, 0 :: v_dual_bitop2_b32 v0, 31, v0 bitop3:0x40
	s_load_b64 s[28:29], s[0:1], 0x40
	v_mul_lo_u32 v8, v2, s8
	s_delay_alu instid0(VALU_DEP_2) | instskip(SKIP_3) | instid1(VALU_DEP_4)
	v_dual_mov_b32 v5, v3 :: v_dual_lshlrev_b32 v10, 4, v2
	v_mul_u64_e32 v[6:7], s[22:23], v[2:3]
	v_mul_lo_u32 v12, v0, s8
	v_dual_mov_b32 v9, v3 :: v_dual_mov_b32 v1, v3
	v_mul_u64_e32 v[4:5], s[22:23], v[4:5]
	s_clause 0x3
	s_load_b64 s[22:23], s[0:1], 0x10
	s_load_b64 s[6:7], s[0:1], 0x20
	;; [unrolled: 1-line block ×3, first 2 shown]
	s_load_b32 s13, s[0:1], 0x0
	v_dual_mov_b32 v13, v3 :: v_dual_lshlrev_b32 v16, 4, v0
	v_dual_mov_b32 v17, v3 :: v_dual_mov_b32 v11, v3
	v_dual_mov_b32 v21, v3 :: v_dual_bitop2_b32 v30, 32, v0 bitop3:0x54
	v_dual_mov_b32 v23, v3 :: v_dual_lshlrev_b32 v2, 2, v0
	v_cmp_gt_i32_e32 vcc_lo, s8, v0
	s_wait_xcnt 0x0
	s_delay_alu instid0(VALU_DEP_3) | instskip(NEXT) | instid1(VALU_DEP_3)
	v_cmp_gt_i32_e64 s1, s8, v30
	v_lshl_add_u64 v[2:3], s[18:19], 2, v[2:3]
	s_wait_kmcnt 0x0
	s_cmp_eq_u32 s13, 0
	s_cselect_b32 s0, -1, 0
	s_lshl_b32 s33, s8, 5
	s_and_b32 s13, s2, vcc_lo
	v_add_nc_u32_e32 v22, s33, v8
	v_add_nc_u32_e32 v20, s33, v12
	v_mul_u64_e32 v[14:15], s[8:9], v[6:7]
	v_lshl_add_u64 v[6:7], v[12:13], 4, v[10:11]
	s_and_b32 s24, s2, s1
	v_lshl_add_u64 v[12:13], v[22:23], 4, v[16:17]
	v_mul_u64_e32 v[18:19], s[8:9], v[4:5]
	v_lshl_add_u64 v[4:5], v[8:9], 4, v[16:17]
	v_lshl_add_u64 v[10:11], v[20:21], 4, v[10:11]
	s_and_b32 s25, s3, vcc_lo
	s_and_b32 s1, s3, s1
	s_lshl_b64 s[2:3], s[18:19], 4
	v_add_nc_u64_e32 v[4:5], s[22:23], v[4:5]
	v_add_nc_u64_e32 v[6:7], s[22:23], v[6:7]
	;; [unrolled: 1-line block ×3, first 2 shown]
	s_lshl_b64 s[4:5], s[4:5], 2
	s_lshl_b64 s[30:31], s[10:11], 2
	s_delay_alu instid0(SALU_CYCLE_1)
	s_sub_nc_u64 s[30:31], s[4:5], s[30:31]
	s_lshl_b64 s[4:5], s[20:21], 4
	s_add_nc_u64 s[6:7], s[6:7], s[30:31]
	s_lshl_b64 s[20:21], s[8:9], 4
	v_lshl_add_u64 v[20:21], v[14:15], 2, s[28:29]
	v_lshl_add_u64 v[16:17], v[14:15], 4, v[16:17]
	v_add_nc_u64_e32 v[24:25], s[18:19], v[18:19]
	v_lshl_add_u64 v[18:19], v[18:19], 2, s[28:29]
	s_delay_alu instid0(VALU_DEP_3) | instskip(SKIP_1) | instid1(VALU_DEP_3)
	v_add_nc_u64_e32 v[16:17], s[2:3], v[16:17]
	s_lshl_b64 s[18:19], s[8:9], 2
	v_add_nc_u64_e32 v[8:9], v[24:25], v[0:1]
	s_delay_alu instid0(VALU_DEP_1) | instskip(SKIP_3) | instid1(VALU_DEP_3)
	v_lshl_add_u64 v[22:23], v[8:9], 4, s[26:27]
	v_add_nc_u64_e32 v[8:9], s[22:23], v[12:13]
	v_add_nc_u64_e32 v[12:13], 0x80, v[20:21]
	s_add_nc_u64 s[22:23], s[26:27], 0x200
	v_add_nc_u64_e32 v[14:15], 0x200, v[22:23]
	s_branch .LBB283_9
.LBB283_8:                              ;   in Loop: Header=BB283_9 Depth=1
	s_wait_xcnt 0x0
	s_or_b32 exec_lo, exec_lo, s9
	s_add_nc_u64 s[14:15], s[14:15], 1
	v_add_nc_u64_e32 v[4:5], s[4:5], v[4:5]
	v_cmp_ge_i64_e64 s9, s[14:15], s[16:17]
	v_add_nc_u64_e32 v[8:9], s[4:5], v[8:9]
	v_add_nc_u64_e32 v[6:7], s[4:5], v[6:7]
	;; [unrolled: 1-line block ×5, first 2 shown]
	s_add_nc_u64 s[6:7], s[6:7], 4
	s_and_b32 vcc_lo, exec_lo, s9
	s_add_nc_u64 s[22:23], s[22:23], s[20:21]
	s_cbranch_vccnz .LBB283_17
.LBB283_9:                              ; =>This Inner Loop Header: Depth=1
	s_load_b32 s9, s[6:7], 0x0
	s_delay_alu instid0(VALU_DEP_2)
	v_add_nc_u64_e32 v[24:25], v[12:13], v[2:3]
	v_add_nc_u64_e32 v[26:27], s[22:23], v[16:17]
	;; [unrolled: 1-line block ×4, first 2 shown]
	s_wait_kmcnt 0x0
	s_sub_co_i32 s9, s9, s10
	s_delay_alu instid0(SALU_CYCLE_1) | instskip(NEXT) | instid1(SALU_CYCLE_1)
	s_mul_i32 s9, s9, s8
	s_add_co_i32 s9, s9, s12
	s_delay_alu instid0(SALU_CYCLE_1)
	v_add_nc_u32_e32 v1, s9, v0
	s_and_saveexec_b32 s11, s13
	s_cbranch_execz .LBB283_11
; %bb.10:                               ;   in Loop: Header=BB283_9 Depth=1
	v_dual_cndmask_b32 v23, v21, v29, s0 :: v_dual_cndmask_b32 v22, v20, v28, s0
	global_load_b128 v[32:35], v[22:23], off
	global_store_b32 v[24:25], v1, off offset:-128
	s_wait_loadcnt 0x0
	global_store_b128 v[26:27], v[32:35], off offset:-512
.LBB283_11:                             ;   in Loop: Header=BB283_9 Depth=1
	s_wait_xcnt 0x0
	s_or_b32 exec_lo, exec_lo, s11
	v_add_nc_u64_e32 v[22:23], s[2:3], v[10:11]
	v_add_nc_u32_e32 v31, s9, v30
	s_and_saveexec_b32 s9, s24
	s_cbranch_execz .LBB283_13
; %bb.12:                               ;   in Loop: Header=BB283_9 Depth=1
	v_add_nc_u64_e32 v[28:29], 0x200, v[28:29]
	s_delay_alu instid0(VALU_DEP_1)
	v_dual_cndmask_b32 v29, v23, v29, s0 :: v_dual_cndmask_b32 v28, v22, v28, s0
	global_load_b128 v[32:35], v[28:29], off
	global_store_b32 v[24:25], v31, off
	s_wait_loadcnt 0x0
	global_store_b128 v[26:27], v[32:35], off
.LBB283_13:                             ;   in Loop: Header=BB283_9 Depth=1
	s_wait_xcnt 0x0
	s_or_b32 exec_lo, exec_lo, s9
	v_add_nc_u64_e32 v[24:25], v[18:19], v[2:3]
	v_add_nc_u64_e32 v[26:27], s[2:3], v[8:9]
	s_and_saveexec_b32 s9, s25
	s_cbranch_execz .LBB283_15
; %bb.14:                               ;   in Loop: Header=BB283_9 Depth=1
	v_add_nc_u64_e32 v[20:21], 0x200, v[20:21]
	s_delay_alu instid0(VALU_DEP_1)
	v_dual_cndmask_b32 v21, v21, v27, s0 :: v_dual_cndmask_b32 v20, v20, v26, s0
	global_load_b128 v[32:35], v[20:21], off
	global_store_b32 v[24:25], v1, off
	s_wait_loadcnt 0x0
	global_store_b128 v[14:15], v[32:35], off offset:-512
.LBB283_15:                             ;   in Loop: Header=BB283_9 Depth=1
	s_wait_xcnt 0x0
	s_or_b32 exec_lo, exec_lo, s9
	s_and_saveexec_b32 s9, s1
	s_cbranch_execz .LBB283_8
; %bb.16:                               ;   in Loop: Header=BB283_9 Depth=1
	v_add_nc_u64_e32 v[20:21], 0x200, v[26:27]
	v_add_nc_u64_e32 v[22:23], 0x200, v[22:23]
	s_delay_alu instid0(VALU_DEP_1)
	v_dual_cndmask_b32 v21, v23, v21, s0 :: v_dual_cndmask_b32 v20, v22, v20, s0
	global_load_b128 v[20:23], v[20:21], off
	global_store_b32 v[24:25], v31, off offset:128
	s_wait_loadcnt 0x0
	global_store_b128 v[14:15], v[20:23], off
	s_branch .LBB283_8
.LBB283_17:
	s_endpgm
	.section	.rodata,"a",@progbits
	.p2align	6, 0x0
	.amdhsa_kernel _ZN9rocsparseL35bsr2csr_block_per_row_33_256_kernelILj1024ELj64ELj32E21rocsparse_complex_numIdEliEEv20rocsparse_direction_T4_S4_21rocsparse_index_base_PKT2_PKT3_PKS4_S4_S5_PS6_PS9_PS4_
		.amdhsa_group_segment_fixed_size 0
		.amdhsa_private_segment_fixed_size 0
		.amdhsa_kernarg_size 72
		.amdhsa_user_sgpr_count 2
		.amdhsa_user_sgpr_dispatch_ptr 0
		.amdhsa_user_sgpr_queue_ptr 0
		.amdhsa_user_sgpr_kernarg_segment_ptr 1
		.amdhsa_user_sgpr_dispatch_id 0
		.amdhsa_user_sgpr_kernarg_preload_length 0
		.amdhsa_user_sgpr_kernarg_preload_offset 0
		.amdhsa_user_sgpr_private_segment_size 0
		.amdhsa_wavefront_size32 1
		.amdhsa_uses_dynamic_stack 0
		.amdhsa_enable_private_segment 0
		.amdhsa_system_sgpr_workgroup_id_x 1
		.amdhsa_system_sgpr_workgroup_id_y 0
		.amdhsa_system_sgpr_workgroup_id_z 0
		.amdhsa_system_sgpr_workgroup_info 0
		.amdhsa_system_vgpr_workitem_id 0
		.amdhsa_next_free_vgpr 36
		.amdhsa_next_free_sgpr 34
		.amdhsa_named_barrier_count 0
		.amdhsa_reserve_vcc 1
		.amdhsa_float_round_mode_32 0
		.amdhsa_float_round_mode_16_64 0
		.amdhsa_float_denorm_mode_32 3
		.amdhsa_float_denorm_mode_16_64 3
		.amdhsa_fp16_overflow 0
		.amdhsa_memory_ordered 1
		.amdhsa_forward_progress 1
		.amdhsa_inst_pref_size 10
		.amdhsa_round_robin_scheduling 0
		.amdhsa_exception_fp_ieee_invalid_op 0
		.amdhsa_exception_fp_denorm_src 0
		.amdhsa_exception_fp_ieee_div_zero 0
		.amdhsa_exception_fp_ieee_overflow 0
		.amdhsa_exception_fp_ieee_underflow 0
		.amdhsa_exception_fp_ieee_inexact 0
		.amdhsa_exception_int_div_zero 0
	.end_amdhsa_kernel
	.section	.text._ZN9rocsparseL35bsr2csr_block_per_row_33_256_kernelILj1024ELj64ELj32E21rocsparse_complex_numIdEliEEv20rocsparse_direction_T4_S4_21rocsparse_index_base_PKT2_PKT3_PKS4_S4_S5_PS6_PS9_PS4_,"axG",@progbits,_ZN9rocsparseL35bsr2csr_block_per_row_33_256_kernelILj1024ELj64ELj32E21rocsparse_complex_numIdEliEEv20rocsparse_direction_T4_S4_21rocsparse_index_base_PKT2_PKT3_PKS4_S4_S5_PS6_PS9_PS4_,comdat
.Lfunc_end283:
	.size	_ZN9rocsparseL35bsr2csr_block_per_row_33_256_kernelILj1024ELj64ELj32E21rocsparse_complex_numIdEliEEv20rocsparse_direction_T4_S4_21rocsparse_index_base_PKT2_PKT3_PKS4_S4_S5_PS6_PS9_PS4_, .Lfunc_end283-_ZN9rocsparseL35bsr2csr_block_per_row_33_256_kernelILj1024ELj64ELj32E21rocsparse_complex_numIdEliEEv20rocsparse_direction_T4_S4_21rocsparse_index_base_PKT2_PKT3_PKS4_S4_S5_PS6_PS9_PS4_
                                        ; -- End function
	.set _ZN9rocsparseL35bsr2csr_block_per_row_33_256_kernelILj1024ELj64ELj32E21rocsparse_complex_numIdEliEEv20rocsparse_direction_T4_S4_21rocsparse_index_base_PKT2_PKT3_PKS4_S4_S5_PS6_PS9_PS4_.num_vgpr, 36
	.set _ZN9rocsparseL35bsr2csr_block_per_row_33_256_kernelILj1024ELj64ELj32E21rocsparse_complex_numIdEliEEv20rocsparse_direction_T4_S4_21rocsparse_index_base_PKT2_PKT3_PKS4_S4_S5_PS6_PS9_PS4_.num_agpr, 0
	.set _ZN9rocsparseL35bsr2csr_block_per_row_33_256_kernelILj1024ELj64ELj32E21rocsparse_complex_numIdEliEEv20rocsparse_direction_T4_S4_21rocsparse_index_base_PKT2_PKT3_PKS4_S4_S5_PS6_PS9_PS4_.numbered_sgpr, 34
	.set _ZN9rocsparseL35bsr2csr_block_per_row_33_256_kernelILj1024ELj64ELj32E21rocsparse_complex_numIdEliEEv20rocsparse_direction_T4_S4_21rocsparse_index_base_PKT2_PKT3_PKS4_S4_S5_PS6_PS9_PS4_.num_named_barrier, 0
	.set _ZN9rocsparseL35bsr2csr_block_per_row_33_256_kernelILj1024ELj64ELj32E21rocsparse_complex_numIdEliEEv20rocsparse_direction_T4_S4_21rocsparse_index_base_PKT2_PKT3_PKS4_S4_S5_PS6_PS9_PS4_.private_seg_size, 0
	.set _ZN9rocsparseL35bsr2csr_block_per_row_33_256_kernelILj1024ELj64ELj32E21rocsparse_complex_numIdEliEEv20rocsparse_direction_T4_S4_21rocsparse_index_base_PKT2_PKT3_PKS4_S4_S5_PS6_PS9_PS4_.uses_vcc, 1
	.set _ZN9rocsparseL35bsr2csr_block_per_row_33_256_kernelILj1024ELj64ELj32E21rocsparse_complex_numIdEliEEv20rocsparse_direction_T4_S4_21rocsparse_index_base_PKT2_PKT3_PKS4_S4_S5_PS6_PS9_PS4_.uses_flat_scratch, 0
	.set _ZN9rocsparseL35bsr2csr_block_per_row_33_256_kernelILj1024ELj64ELj32E21rocsparse_complex_numIdEliEEv20rocsparse_direction_T4_S4_21rocsparse_index_base_PKT2_PKT3_PKS4_S4_S5_PS6_PS9_PS4_.has_dyn_sized_stack, 0
	.set _ZN9rocsparseL35bsr2csr_block_per_row_33_256_kernelILj1024ELj64ELj32E21rocsparse_complex_numIdEliEEv20rocsparse_direction_T4_S4_21rocsparse_index_base_PKT2_PKT3_PKS4_S4_S5_PS6_PS9_PS4_.has_recursion, 0
	.set _ZN9rocsparseL35bsr2csr_block_per_row_33_256_kernelILj1024ELj64ELj32E21rocsparse_complex_numIdEliEEv20rocsparse_direction_T4_S4_21rocsparse_index_base_PKT2_PKT3_PKS4_S4_S5_PS6_PS9_PS4_.has_indirect_call, 0
	.section	.AMDGPU.csdata,"",@progbits
; Kernel info:
; codeLenInByte = 1208
; TotalNumSgprs: 36
; NumVgprs: 36
; ScratchSize: 0
; MemoryBound: 0
; FloatMode: 240
; IeeeMode: 1
; LDSByteSize: 0 bytes/workgroup (compile time only)
; SGPRBlocks: 0
; VGPRBlocks: 2
; NumSGPRsForWavesPerEU: 36
; NumVGPRsForWavesPerEU: 36
; NamedBarCnt: 0
; Occupancy: 16
; WaveLimiterHint : 1
; COMPUTE_PGM_RSRC2:SCRATCH_EN: 0
; COMPUTE_PGM_RSRC2:USER_SGPR: 2
; COMPUTE_PGM_RSRC2:TRAP_HANDLER: 0
; COMPUTE_PGM_RSRC2:TGID_X_EN: 1
; COMPUTE_PGM_RSRC2:TGID_Y_EN: 0
; COMPUTE_PGM_RSRC2:TGID_Z_EN: 0
; COMPUTE_PGM_RSRC2:TIDIG_COMP_CNT: 0
	.section	.text._ZN9rocsparseL35bsr2csr_block_per_row_33_256_kernelILj1024ELj128ELj32E21rocsparse_complex_numIdEliEEv20rocsparse_direction_T4_S4_21rocsparse_index_base_PKT2_PKT3_PKS4_S4_S5_PS6_PS9_PS4_,"axG",@progbits,_ZN9rocsparseL35bsr2csr_block_per_row_33_256_kernelILj1024ELj128ELj32E21rocsparse_complex_numIdEliEEv20rocsparse_direction_T4_S4_21rocsparse_index_base_PKT2_PKT3_PKS4_S4_S5_PS6_PS9_PS4_,comdat
	.globl	_ZN9rocsparseL35bsr2csr_block_per_row_33_256_kernelILj1024ELj128ELj32E21rocsparse_complex_numIdEliEEv20rocsparse_direction_T4_S4_21rocsparse_index_base_PKT2_PKT3_PKS4_S4_S5_PS6_PS9_PS4_ ; -- Begin function _ZN9rocsparseL35bsr2csr_block_per_row_33_256_kernelILj1024ELj128ELj32E21rocsparse_complex_numIdEliEEv20rocsparse_direction_T4_S4_21rocsparse_index_base_PKT2_PKT3_PKS4_S4_S5_PS6_PS9_PS4_
	.p2align	8
	.type	_ZN9rocsparseL35bsr2csr_block_per_row_33_256_kernelILj1024ELj128ELj32E21rocsparse_complex_numIdEliEEv20rocsparse_direction_T4_S4_21rocsparse_index_base_PKT2_PKT3_PKS4_S4_S5_PS6_PS9_PS4_,@function
_ZN9rocsparseL35bsr2csr_block_per_row_33_256_kernelILj1024ELj128ELj32E21rocsparse_complex_numIdEliEEv20rocsparse_direction_T4_S4_21rocsparse_index_base_PKT2_PKT3_PKS4_S4_S5_PS6_PS9_PS4_: ; @_ZN9rocsparseL35bsr2csr_block_per_row_33_256_kernelILj1024ELj128ELj32E21rocsparse_complex_numIdEliEEv20rocsparse_direction_T4_S4_21rocsparse_index_base_PKT2_PKT3_PKS4_S4_S5_PS6_PS9_PS4_
; %bb.0:
	s_load_b64 s[2:3], s[0:1], 0x18
	s_bfe_u32 s4, ttmp6, 0x4000c
	s_and_b32 s5, ttmp6, 15
	s_add_co_i32 s4, s4, 1
	s_getreg_b32 s6, hwreg(HW_REG_IB_STS2, 6, 4)
	s_mul_i32 s4, ttmp9, s4
	s_mov_b32 s15, 0
	s_add_co_i32 s5, s5, s4
	s_cmp_eq_u32 s6, 0
	s_clause 0x1
	s_load_b64 s[12:13], s[0:1], 0x28
	s_load_b64 s[6:7], s[0:1], 0x38
	s_cselect_b32 s4, ttmp9, s5
	s_mov_b32 s17, s15
	s_ashr_i32 s5, s4, 31
	v_or_b32_e32 v1, s4, v0
	s_lshl_b64 s[8:9], s[4:5], 3
	s_wait_kmcnt 0x0
	s_add_nc_u64 s[2:3], s[2:3], s[8:9]
	s_load_b128 s[8:11], s[2:3], 0x0
	s_wait_xcnt 0x0
	s_mov_b32 s2, exec_lo
	s_mov_b32 s16, s13
	v_cmpx_eq_u32_e32 0, v1
	s_cbranch_execz .LBB284_2
; %bb.1:
	v_mov_b64_e32 v[2:3], s[16:17]
	v_mov_b32_e32 v1, 0
	global_store_b64 v1, v[2:3], s[6:7]
.LBB284_2:
	s_wait_xcnt 0x0
	s_or_b32 exec_lo, exec_lo, s2
	s_load_b32 s14, s[0:1], 0xc
	v_lshrrev_b32_e32 v4, 5, v0
	s_mul_i32 s24, s12, s12
	s_mov_b32 s25, s15
	s_mov_b32 s13, s15
	s_delay_alu instid0(VALU_DEP_1)
	v_cmp_gt_i32_e64 s2, s12, v4
	s_wait_kmcnt 0x0
	s_sub_nc_u64 s[18:19], s[8:9], s[14:15]
	s_sub_nc_u64 s[20:21], s[10:11], s[14:15]
	s_mul_u64 s[26:27], s[18:19], s[24:25]
	s_sub_nc_u64 s[28:29], s[20:21], s[18:19]
	s_add_nc_u64 s[30:31], s[26:27], s[16:17]
	s_mul_u64 s[22:23], s[28:29], s[12:13]
	s_delay_alu instid0(SALU_CYCLE_1)
	s_add_nc_u64 s[34:35], s[30:31], s[22:23]
	s_mul_i32 s30, s12, s4
	s_and_saveexec_b32 s3, s2
	s_cbranch_execz .LBB284_4
; %bb.3:
	v_mad_nc_u64_u32 v[2:3], s22, v4, s[34:35]
	v_add_nc_u32_e32 v1, s30, v4
	s_delay_alu instid0(VALU_DEP_2)
	v_mad_u32 v3, s23, v4, v3
	global_store_b64 v1, v[2:3], s[6:7] offset:8 scale_offset
.LBB284_4:
	s_wait_xcnt 0x0
	s_or_b32 exec_lo, exec_lo, s3
	v_or_b32_e32 v2, 32, v4
	s_delay_alu instid0(VALU_DEP_1)
	v_cmp_gt_i32_e64 s3, s12, v2
	s_and_saveexec_b32 s4, s3
	s_cbranch_execz .LBB284_6
; %bb.5:
	v_mad_nc_u64_u32 v[6:7], s22, v2, s[34:35]
	v_mov_b32_e32 v5, 0
	s_ashr_i32 s31, s30, 31
	s_delay_alu instid0(VALU_DEP_1) | instid1(SALU_CYCLE_1)
	v_add_nc_u64_e32 v[8:9], s[30:31], v[4:5]
	s_delay_alu instid0(VALU_DEP_3) | instskip(NEXT) | instid1(VALU_DEP_2)
	v_mad_u32 v7, s23, v2, v7
	v_lshl_add_u64 v[8:9], v[8:9], 3, s[6:7]
	global_store_b64 v[8:9], v[6:7], off offset:264
.LBB284_6:
	s_wait_xcnt 0x0
	s_or_b32 exec_lo, exec_lo, s4
	v_or_b32_e32 v6, 64, v4
	s_delay_alu instid0(VALU_DEP_1)
	v_cmp_gt_i32_e64 s4, s12, v6
	s_and_saveexec_b32 s5, s4
	s_cbranch_execz .LBB284_8
; %bb.7:
	v_mad_nc_u64_u32 v[8:9], s22, v6, s[34:35]
	v_mov_b32_e32 v5, 0
	s_ashr_i32 s31, s30, 31
	s_delay_alu instid0(VALU_DEP_1) | instid1(SALU_CYCLE_1)
	v_add_nc_u64_e32 v[10:11], s[30:31], v[4:5]
	s_delay_alu instid0(VALU_DEP_3) | instskip(NEXT) | instid1(VALU_DEP_2)
	v_mad_u32 v9, s23, v6, v9
	v_lshl_add_u64 v[10:11], v[10:11], 3, s[6:7]
	global_store_b64 v[10:11], v[8:9], off offset:520
.LBB284_8:
	;; [unrolled: 18-line block ×3, first 2 shown]
	s_wait_xcnt 0x0
	s_or_b32 exec_lo, exec_lo, s17
	v_cmp_lt_i64_e64 s6, s[8:9], s[10:11]
	s_and_b32 vcc_lo, exec_lo, s6
	s_cbranch_vccz .LBB284_45
; %bb.11:
	v_dual_mov_b32 v5, 0 :: v_dual_bitop2_b32 v0, 31, v0 bitop3:0x40
	s_clause 0x1
	s_load_b64 s[30:31], s[0:1], 0x20
	s_load_b32 s6, s[0:1], 0x0
	v_mul_lo_u32 v8, v4, s12
	s_clause 0x2
	s_load_b64 s[34:35], s[0:1], 0x10
	s_load_b64 s[10:11], s[0:1], 0x30
	;; [unrolled: 1-line block ×3, first 2 shown]
	v_dual_mov_b32 v13, v5 :: v_dual_bitop2_b32 v49, 64, v0 bitop3:0x54
	v_dual_mov_b32 v3, v5 :: v_dual_mov_b32 v7, v5
	v_mul_u64_e32 v[14:15], s[28:29], v[4:5]
	v_mul_lo_u32 v10, v0, s12
	s_delay_alu instid0(VALU_DEP_4) | instskip(NEXT) | instid1(VALU_DEP_4)
	v_mul_u64_e32 v[12:13], s[28:29], v[12:13]
	v_mul_u64_e32 v[18:19], s[28:29], v[2:3]
	;; [unrolled: 1-line block ×3, first 2 shown]
	v_dual_mov_b32 v9, v5 :: v_dual_mov_b32 v1, v5
	v_dual_mov_b32 v31, v5 :: v_dual_lshlrev_b32 v30, 4, v0
	v_or_b32_e32 v50, 0x60, v0
	v_dual_mov_b32 v11, v5 :: v_dual_bitop2_b32 v48, 32, v0 bitop3:0x54
	v_dual_mov_b32 v41, v5 :: v_dual_lshlrev_b32 v40, 4, v4
	s_wait_kmcnt 0x0
	s_cmp_eq_u32 s6, 0
	v_mov_b32_e32 v23, v5
	s_cselect_b32 s0, -1, 0
	s_lshl_b32 s44, s12, 5
	s_delay_alu instid0(SALU_CYCLE_1) | instskip(SKIP_3) | instid1(VALU_DEP_3)
	v_dual_mov_b32 v17, v5 :: v_dual_add_nc_u32 v16, s44, v10
	v_dual_mov_b32 v25, v5 :: v_dual_add_nc_u32 v22, s44, v8
	v_mov_b32_e32 v21, v5
	v_lshl_add_u64 v[2:3], v[8:9], 4, v[30:31]
	v_dual_add_nc_u32 v20, s44, v16 :: v_dual_add_nc_u32 v24, s44, v22
	v_dual_mov_b32 v27, v5 :: v_dual_mov_b32 v33, v5
	v_lshl_add_u64 v[4:5], v[22:23], 4, v[30:31]
	s_delay_alu instid0(VALU_DEP_3) | instskip(NEXT) | instid1(VALU_DEP_4)
	v_add_nc_u32_e32 v32, s44, v20
	v_add_nc_u32_e32 v26, s44, v24
	v_cmp_gt_i32_e64 s6, s12, v49
	v_mad_nc_u64_u32 v[28:29], v14, s12, s[26:27]
	v_cmp_gt_i32_e64 s7, s12, v50
	v_mad_nc_u64_u32 v[34:35], v12, s12, s[26:27]
	v_mad_nc_u64_u32 v[36:37], v18, s12, s[26:27]
	;; [unrolled: 1-line block ×3, first 2 shown]
	v_lshl_add_u64 v[8:9], v[26:27], 4, v[30:31]
	v_cmp_gt_i32_e32 vcc_lo, s12, v0
	v_cmp_gt_i32_e64 s1, s12, v48
	s_and_b32 s28, s2, s6
	s_and_b32 s29, s2, s7
	;; [unrolled: 1-line block ×3, first 2 shown]
	v_mad_u32 v29, v15, s12, v29
	v_lshl_add_u64 v[14:15], v[20:21], 4, v[40:41]
	v_mad_u32 v35, v13, s12, v35
	v_mad_u32 v37, v19, s12, v37
	v_mad_u32 v39, v7, s12, v39
	v_lshl_add_u64 v[6:7], v[24:25], 4, v[30:31]
	v_lshl_add_u64 v[12:13], v[16:17], 4, v[40:41]
	s_and_b32 s39, s3, s7
	s_and_b32 s42, s4, s6
	;; [unrolled: 1-line block ×4, first 2 shown]
	v_add_nc_u64_e32 v[18:19], v[28:29], v[0:1]
	s_and_b32 s46, s5, s7
	v_add_nc_u64_e32 v[22:23], v[34:35], v[0:1]
	v_add_nc_u64_e32 v[26:27], v[36:37], v[0:1]
	;; [unrolled: 1-line block ×3, first 2 shown]
	s_lshl_b64 s[6:7], s[8:9], 2
	s_lshl_b64 s[8:9], s[14:15], 2
	v_lshlrev_b64_e32 v[16:17], 2, v[18:19]
	v_lshlrev_b64_e32 v[18:19], 4, v[18:19]
	;; [unrolled: 1-line block ×8, first 2 shown]
	v_lshl_add_u64 v[10:11], v[10:11], 4, v[40:41]
	v_lshl_add_u64 v[32:33], v[32:33], 4, v[40:41]
	s_and_b32 s17, s2, vcc_lo
	s_and_b32 s33, s2, s1
	s_and_b32 s36, s3, vcc_lo
	s_and_b32 s37, s3, s1
	s_lshl_b64 s[2:3], s[26:27], 4
	s_sub_nc_u64 s[6:7], s[6:7], s[8:9]
	s_and_b32 s40, s4, vcc_lo
	s_and_b32 s41, s4, s1
	s_and_b32 s44, s5, vcc_lo
	s_and_b32 s1, s5, s1
	s_add_nc_u64 s[2:3], s[34:35], s[2:3]
	s_lshl_b64 s[4:5], s[24:25], 4
	s_add_nc_u64 s[6:7], s[30:31], s[6:7]
	s_lshl_b64 s[8:9], s[12:13], 2
	s_lshl_b64 s[24:25], s[12:13], 4
	s_branch .LBB284_13
.LBB284_12:                             ;   in Loop: Header=BB284_13 Depth=1
	s_wait_xcnt 0x0
	s_or_b32 exec_lo, exec_lo, s13
	s_add_nc_u64 s[18:19], s[18:19], 1
	s_add_nc_u64 s[2:3], s[2:3], s[4:5]
	v_cmp_ge_i64_e64 s13, s[18:19], s[20:21]
	s_add_nc_u64 s[6:7], s[6:7], 4
	s_add_nc_u64 s[22:23], s[22:23], s[8:9]
	;; [unrolled: 1-line block ×3, first 2 shown]
	s_and_b32 vcc_lo, exec_lo, s13
	s_cbranch_vccnz .LBB284_45
.LBB284_13:                             ; =>This Inner Loop Header: Depth=1
	s_load_b32 s13, s[6:7], 0x0
	v_add_nc_u64_e32 v[42:43], s[22:23], v[16:17]
	v_add_nc_u64_e32 v[44:45], s[10:11], v[18:19]
	;; [unrolled: 1-line block ×4, first 2 shown]
	s_wait_kmcnt 0x0
	s_sub_co_i32 s13, s13, s14
	s_delay_alu instid0(SALU_CYCLE_1) | instskip(NEXT) | instid1(SALU_CYCLE_1)
	s_mul_i32 s13, s13, s12
	s_add_co_i32 s13, s13, s16
	s_delay_alu instid0(SALU_CYCLE_1)
	v_add_nc_u32_e32 v1, s13, v0
	s_and_saveexec_b32 s15, s17
	s_cbranch_execz .LBB284_15
; %bb.14:                               ;   in Loop: Header=BB284_13 Depth=1
	v_dual_cndmask_b32 v37, v35, v47, s0 :: v_dual_cndmask_b32 v36, v34, v46, s0
	global_load_b128 v[36:39], v[36:37], off
	global_store_b32 v[42:43], v1, off
	s_wait_loadcnt 0x0
	global_store_b128 v[44:45], v[36:39], off
.LBB284_15:                             ;   in Loop: Header=BB284_13 Depth=1
	s_wait_xcnt 0x0
	s_or_b32 exec_lo, exec_lo, s15
	v_add_nc_u64_e32 v[36:37], s[2:3], v[12:13]
	v_add_nc_u32_e32 v51, s13, v48
	s_and_saveexec_b32 s15, s33
	s_cbranch_execz .LBB284_17
; %bb.16:                               ;   in Loop: Header=BB284_13 Depth=1
	v_add_nc_u64_e32 v[38:39], 0x200, v[46:47]
	s_delay_alu instid0(VALU_DEP_1)
	v_dual_cndmask_b32 v39, v37, v39, s0 :: v_dual_cndmask_b32 v38, v36, v38, s0
	global_load_b128 v[38:41], v[38:39], off
	global_store_b32 v[42:43], v51, off offset:128
	s_wait_loadcnt 0x0
	global_store_b128 v[44:45], v[38:41], off offset:512
.LBB284_17:                             ;   in Loop: Header=BB284_13 Depth=1
	s_wait_xcnt 0x0
	s_or_b32 exec_lo, exec_lo, s15
	v_add_nc_u64_e32 v[38:39], s[2:3], v[14:15]
	v_add_nc_u32_e32 v52, s13, v49
	s_and_saveexec_b32 s15, s28
	s_cbranch_execz .LBB284_19
; %bb.18:                               ;   in Loop: Header=BB284_13 Depth=1
	v_add_nc_u64_e32 v[40:41], 0x400, v[46:47]
	s_delay_alu instid0(VALU_DEP_1)
	v_dual_cndmask_b32 v41, v39, v41, s0 :: v_dual_cndmask_b32 v40, v38, v40, s0
	global_load_b128 v[54:57], v[40:41], off
	global_store_b32 v[42:43], v52, off offset:256
	s_wait_loadcnt 0x0
	global_store_b128 v[44:45], v[54:57], off offset:1024
.LBB284_19:                             ;   in Loop: Header=BB284_13 Depth=1
	;; [unrolled: 15-line block ×3, first 2 shown]
	s_wait_xcnt 0x0
	s_or_b32 exec_lo, exec_lo, s13
	v_add_nc_u64_e32 v[42:43], s[22:23], v[24:25]
	v_add_nc_u64_e32 v[44:45], s[10:11], v[26:27]
	;; [unrolled: 1-line block ×3, first 2 shown]
	s_and_saveexec_b32 s13, s36
	s_cbranch_execnz .LBB284_35
; %bb.22:                               ;   in Loop: Header=BB284_13 Depth=1
	s_or_b32 exec_lo, exec_lo, s13
	s_and_saveexec_b32 s13, s37
	s_cbranch_execnz .LBB284_36
.LBB284_23:                             ;   in Loop: Header=BB284_13 Depth=1
	s_or_b32 exec_lo, exec_lo, s13
	s_and_saveexec_b32 s13, s38
	s_cbranch_execnz .LBB284_37
.LBB284_24:                             ;   in Loop: Header=BB284_13 Depth=1
	s_or_b32 exec_lo, exec_lo, s13
	s_and_saveexec_b32 s13, s39
	s_cbranch_execz .LBB284_26
.LBB284_25:                             ;   in Loop: Header=BB284_13 Depth=1
	v_add_nc_u64_e32 v[46:47], 0x600, v[46:47]
	v_add_nc_u64_e32 v[54:55], 0x200, v[40:41]
	s_delay_alu instid0(VALU_DEP_1)
	v_dual_cndmask_b32 v47, v55, v47, s0 :: v_dual_cndmask_b32 v46, v54, v46, s0
	global_load_b128 v[54:57], v[46:47], off
	global_store_b32 v[42:43], v53, off offset:384
	s_wait_loadcnt 0x0
	global_store_b128 v[44:45], v[54:57], off offset:1536
.LBB284_26:                             ;   in Loop: Header=BB284_13 Depth=1
	s_wait_xcnt 0x0
	s_or_b32 exec_lo, exec_lo, s13
	v_add_nc_u64_e32 v[42:43], s[22:23], v[30:31]
	v_add_nc_u64_e32 v[44:45], s[10:11], v[28:29]
	;; [unrolled: 1-line block ×3, first 2 shown]
	s_and_saveexec_b32 s13, s40
	s_cbranch_execnz .LBB284_38
; %bb.27:                               ;   in Loop: Header=BB284_13 Depth=1
	s_or_b32 exec_lo, exec_lo, s13
	s_and_saveexec_b32 s13, s41
	s_cbranch_execnz .LBB284_39
.LBB284_28:                             ;   in Loop: Header=BB284_13 Depth=1
	s_or_b32 exec_lo, exec_lo, s13
	s_and_saveexec_b32 s13, s42
	s_cbranch_execnz .LBB284_40
.LBB284_29:                             ;   in Loop: Header=BB284_13 Depth=1
	s_or_b32 exec_lo, exec_lo, s13
	s_and_saveexec_b32 s13, s43
	s_cbranch_execz .LBB284_31
.LBB284_30:                             ;   in Loop: Header=BB284_13 Depth=1
	v_add_nc_u64_e32 v[46:47], 0x600, v[46:47]
	v_add_nc_u64_e32 v[54:55], 0x400, v[40:41]
	s_delay_alu instid0(VALU_DEP_1)
	v_dual_cndmask_b32 v47, v55, v47, s0 :: v_dual_cndmask_b32 v46, v54, v46, s0
	global_load_b128 v[54:57], v[46:47], off
	global_store_b32 v[42:43], v53, off offset:384
	s_wait_loadcnt 0x0
	global_store_b128 v[44:45], v[54:57], off offset:1536
.LBB284_31:                             ;   in Loop: Header=BB284_13 Depth=1
	s_wait_xcnt 0x0
	s_or_b32 exec_lo, exec_lo, s13
	v_add_nc_u64_e32 v[42:43], s[22:23], v[22:23]
	v_add_nc_u64_e32 v[44:45], s[10:11], v[20:21]
	;; [unrolled: 1-line block ×3, first 2 shown]
	s_and_saveexec_b32 s13, s44
	s_cbranch_execnz .LBB284_41
; %bb.32:                               ;   in Loop: Header=BB284_13 Depth=1
	s_or_b32 exec_lo, exec_lo, s13
	s_and_saveexec_b32 s13, s1
	s_cbranch_execnz .LBB284_42
.LBB284_33:                             ;   in Loop: Header=BB284_13 Depth=1
	s_or_b32 exec_lo, exec_lo, s13
	s_and_saveexec_b32 s13, s45
	s_cbranch_execnz .LBB284_43
.LBB284_34:                             ;   in Loop: Header=BB284_13 Depth=1
	s_or_b32 exec_lo, exec_lo, s13
	s_and_saveexec_b32 s13, s46
	s_cbranch_execz .LBB284_12
	s_branch .LBB284_44
.LBB284_35:                             ;   in Loop: Header=BB284_13 Depth=1
	v_add_nc_u64_e32 v[54:55], 0x200, v[34:35]
	s_delay_alu instid0(VALU_DEP_1)
	v_dual_cndmask_b32 v55, v55, v47, s0 :: v_dual_cndmask_b32 v54, v54, v46, s0
	global_load_b128 v[54:57], v[54:55], off
	global_store_b32 v[42:43], v1, off
	s_wait_loadcnt 0x0
	global_store_b128 v[44:45], v[54:57], off
	s_wait_xcnt 0x0
	s_or_b32 exec_lo, exec_lo, s13
	s_and_saveexec_b32 s13, s37
	s_cbranch_execz .LBB284_23
.LBB284_36:                             ;   in Loop: Header=BB284_13 Depth=1
	s_delay_alu instid0(VALU_DEP_1) | instskip(SKIP_1) | instid1(VALU_DEP_1)
	v_add_nc_u64_e32 v[54:55], 0x200, v[46:47]
	v_add_nc_u64_e32 v[56:57], 0x200, v[36:37]
	v_dual_cndmask_b32 v55, v57, v55, s0 :: v_dual_cndmask_b32 v54, v56, v54, s0
	global_load_b128 v[54:57], v[54:55], off
	global_store_b32 v[42:43], v51, off offset:128
	s_wait_loadcnt 0x0
	global_store_b128 v[44:45], v[54:57], off offset:512
	s_wait_xcnt 0x0
	s_or_b32 exec_lo, exec_lo, s13
	s_and_saveexec_b32 s13, s38
	s_cbranch_execz .LBB284_24
.LBB284_37:                             ;   in Loop: Header=BB284_13 Depth=1
	v_add_nc_u64_e32 v[54:55], 0x400, v[46:47]
	v_add_nc_u64_e32 v[56:57], 0x200, v[38:39]
	s_delay_alu instid0(VALU_DEP_1)
	v_dual_cndmask_b32 v55, v57, v55, s0 :: v_dual_cndmask_b32 v54, v56, v54, s0
	global_load_b128 v[54:57], v[54:55], off
	global_store_b32 v[42:43], v52, off offset:256
	s_wait_loadcnt 0x0
	global_store_b128 v[44:45], v[54:57], off offset:1024
	s_wait_xcnt 0x0
	s_or_b32 exec_lo, exec_lo, s13
	s_and_saveexec_b32 s13, s39
	s_cbranch_execnz .LBB284_25
	s_branch .LBB284_26
.LBB284_38:                             ;   in Loop: Header=BB284_13 Depth=1
	v_add_nc_u64_e32 v[54:55], 0x400, v[34:35]
	s_delay_alu instid0(VALU_DEP_1)
	v_dual_cndmask_b32 v55, v55, v47, s0 :: v_dual_cndmask_b32 v54, v54, v46, s0
	global_load_b128 v[54:57], v[54:55], off
	global_store_b32 v[42:43], v1, off
	s_wait_loadcnt 0x0
	global_store_b128 v[44:45], v[54:57], off
	s_wait_xcnt 0x0
	s_or_b32 exec_lo, exec_lo, s13
	s_and_saveexec_b32 s13, s41
	s_cbranch_execz .LBB284_28
.LBB284_39:                             ;   in Loop: Header=BB284_13 Depth=1
	s_delay_alu instid0(VALU_DEP_1) | instskip(SKIP_1) | instid1(VALU_DEP_1)
	v_add_nc_u64_e32 v[54:55], 0x200, v[46:47]
	v_add_nc_u64_e32 v[56:57], 0x400, v[36:37]
	v_dual_cndmask_b32 v55, v57, v55, s0 :: v_dual_cndmask_b32 v54, v56, v54, s0
	global_load_b128 v[54:57], v[54:55], off
	global_store_b32 v[42:43], v51, off offset:128
	s_wait_loadcnt 0x0
	global_store_b128 v[44:45], v[54:57], off offset:512
	s_wait_xcnt 0x0
	s_or_b32 exec_lo, exec_lo, s13
	s_and_saveexec_b32 s13, s42
	s_cbranch_execz .LBB284_29
.LBB284_40:                             ;   in Loop: Header=BB284_13 Depth=1
	v_add_nc_u64_e32 v[54:55], 0x400, v[46:47]
	v_add_nc_u64_e32 v[56:57], 0x400, v[38:39]
	s_delay_alu instid0(VALU_DEP_1)
	v_dual_cndmask_b32 v55, v57, v55, s0 :: v_dual_cndmask_b32 v54, v56, v54, s0
	global_load_b128 v[54:57], v[54:55], off
	global_store_b32 v[42:43], v52, off offset:256
	s_wait_loadcnt 0x0
	global_store_b128 v[44:45], v[54:57], off offset:1024
	s_wait_xcnt 0x0
	s_or_b32 exec_lo, exec_lo, s13
	s_and_saveexec_b32 s13, s43
	s_cbranch_execnz .LBB284_30
	s_branch .LBB284_31
.LBB284_41:                             ;   in Loop: Header=BB284_13 Depth=1
	v_add_nc_u64_e32 v[34:35], 0x600, v[34:35]
	s_delay_alu instid0(VALU_DEP_1)
	v_dual_cndmask_b32 v35, v35, v47, s0 :: v_dual_cndmask_b32 v34, v34, v46, s0
	global_load_b128 v[54:57], v[34:35], off
	global_store_b32 v[42:43], v1, off
	s_wait_loadcnt 0x0
	global_store_b128 v[44:45], v[54:57], off
	s_wait_xcnt 0x0
	s_or_b32 exec_lo, exec_lo, s13
	s_and_saveexec_b32 s13, s1
	s_cbranch_execz .LBB284_33
.LBB284_42:                             ;   in Loop: Header=BB284_13 Depth=1
	s_delay_alu instid0(VALU_DEP_1) | instskip(SKIP_1) | instid1(VALU_DEP_1)
	v_add_nc_u64_e32 v[34:35], 0x200, v[46:47]
	v_add_nc_u64_e32 v[36:37], 0x600, v[36:37]
	v_dual_cndmask_b32 v35, v37, v35, s0 :: v_dual_cndmask_b32 v34, v36, v34, s0
	global_load_b128 v[34:37], v[34:35], off
	global_store_b32 v[42:43], v51, off offset:128
	s_wait_loadcnt 0x0
	global_store_b128 v[44:45], v[34:37], off offset:512
	s_wait_xcnt 0x0
	s_or_b32 exec_lo, exec_lo, s13
	s_and_saveexec_b32 s13, s45
	s_cbranch_execz .LBB284_34
.LBB284_43:                             ;   in Loop: Header=BB284_13 Depth=1
	v_add_nc_u64_e32 v[34:35], 0x400, v[46:47]
	v_add_nc_u64_e32 v[36:37], 0x600, v[38:39]
	s_delay_alu instid0(VALU_DEP_1)
	v_dual_cndmask_b32 v35, v37, v35, s0 :: v_dual_cndmask_b32 v34, v36, v34, s0
	global_load_b128 v[34:37], v[34:35], off
	global_store_b32 v[42:43], v52, off offset:256
	s_wait_loadcnt 0x0
	global_store_b128 v[44:45], v[34:37], off offset:1024
	s_wait_xcnt 0x0
	s_or_b32 exec_lo, exec_lo, s13
	s_and_saveexec_b32 s13, s46
	s_cbranch_execz .LBB284_12
.LBB284_44:                             ;   in Loop: Header=BB284_13 Depth=1
	v_add_nc_u64_e32 v[34:35], 0x600, v[46:47]
	v_add_nc_u64_e32 v[36:37], 0x600, v[40:41]
	s_delay_alu instid0(VALU_DEP_1)
	v_dual_cndmask_b32 v35, v37, v35, s0 :: v_dual_cndmask_b32 v34, v36, v34, s0
	global_load_b128 v[34:37], v[34:35], off
	global_store_b32 v[42:43], v53, off offset:384
	s_wait_loadcnt 0x0
	global_store_b128 v[44:45], v[34:37], off offset:1536
	s_branch .LBB284_12
.LBB284_45:
	s_endpgm
	.section	.rodata,"a",@progbits
	.p2align	6, 0x0
	.amdhsa_kernel _ZN9rocsparseL35bsr2csr_block_per_row_33_256_kernelILj1024ELj128ELj32E21rocsparse_complex_numIdEliEEv20rocsparse_direction_T4_S4_21rocsparse_index_base_PKT2_PKT3_PKS4_S4_S5_PS6_PS9_PS4_
		.amdhsa_group_segment_fixed_size 0
		.amdhsa_private_segment_fixed_size 0
		.amdhsa_kernarg_size 72
		.amdhsa_user_sgpr_count 2
		.amdhsa_user_sgpr_dispatch_ptr 0
		.amdhsa_user_sgpr_queue_ptr 0
		.amdhsa_user_sgpr_kernarg_segment_ptr 1
		.amdhsa_user_sgpr_dispatch_id 0
		.amdhsa_user_sgpr_kernarg_preload_length 0
		.amdhsa_user_sgpr_kernarg_preload_offset 0
		.amdhsa_user_sgpr_private_segment_size 0
		.amdhsa_wavefront_size32 1
		.amdhsa_uses_dynamic_stack 0
		.amdhsa_enable_private_segment 0
		.amdhsa_system_sgpr_workgroup_id_x 1
		.amdhsa_system_sgpr_workgroup_id_y 0
		.amdhsa_system_sgpr_workgroup_id_z 0
		.amdhsa_system_sgpr_workgroup_info 0
		.amdhsa_system_vgpr_workitem_id 0
		.amdhsa_next_free_vgpr 58
		.amdhsa_next_free_sgpr 47
		.amdhsa_named_barrier_count 0
		.amdhsa_reserve_vcc 1
		.amdhsa_float_round_mode_32 0
		.amdhsa_float_round_mode_16_64 0
		.amdhsa_float_denorm_mode_32 3
		.amdhsa_float_denorm_mode_16_64 3
		.amdhsa_fp16_overflow 0
		.amdhsa_memory_ordered 1
		.amdhsa_forward_progress 1
		.amdhsa_inst_pref_size 22
		.amdhsa_round_robin_scheduling 0
		.amdhsa_exception_fp_ieee_invalid_op 0
		.amdhsa_exception_fp_denorm_src 0
		.amdhsa_exception_fp_ieee_div_zero 0
		.amdhsa_exception_fp_ieee_overflow 0
		.amdhsa_exception_fp_ieee_underflow 0
		.amdhsa_exception_fp_ieee_inexact 0
		.amdhsa_exception_int_div_zero 0
	.end_amdhsa_kernel
	.section	.text._ZN9rocsparseL35bsr2csr_block_per_row_33_256_kernelILj1024ELj128ELj32E21rocsparse_complex_numIdEliEEv20rocsparse_direction_T4_S4_21rocsparse_index_base_PKT2_PKT3_PKS4_S4_S5_PS6_PS9_PS4_,"axG",@progbits,_ZN9rocsparseL35bsr2csr_block_per_row_33_256_kernelILj1024ELj128ELj32E21rocsparse_complex_numIdEliEEv20rocsparse_direction_T4_S4_21rocsparse_index_base_PKT2_PKT3_PKS4_S4_S5_PS6_PS9_PS4_,comdat
.Lfunc_end284:
	.size	_ZN9rocsparseL35bsr2csr_block_per_row_33_256_kernelILj1024ELj128ELj32E21rocsparse_complex_numIdEliEEv20rocsparse_direction_T4_S4_21rocsparse_index_base_PKT2_PKT3_PKS4_S4_S5_PS6_PS9_PS4_, .Lfunc_end284-_ZN9rocsparseL35bsr2csr_block_per_row_33_256_kernelILj1024ELj128ELj32E21rocsparse_complex_numIdEliEEv20rocsparse_direction_T4_S4_21rocsparse_index_base_PKT2_PKT3_PKS4_S4_S5_PS6_PS9_PS4_
                                        ; -- End function
	.set _ZN9rocsparseL35bsr2csr_block_per_row_33_256_kernelILj1024ELj128ELj32E21rocsparse_complex_numIdEliEEv20rocsparse_direction_T4_S4_21rocsparse_index_base_PKT2_PKT3_PKS4_S4_S5_PS6_PS9_PS4_.num_vgpr, 58
	.set _ZN9rocsparseL35bsr2csr_block_per_row_33_256_kernelILj1024ELj128ELj32E21rocsparse_complex_numIdEliEEv20rocsparse_direction_T4_S4_21rocsparse_index_base_PKT2_PKT3_PKS4_S4_S5_PS6_PS9_PS4_.num_agpr, 0
	.set _ZN9rocsparseL35bsr2csr_block_per_row_33_256_kernelILj1024ELj128ELj32E21rocsparse_complex_numIdEliEEv20rocsparse_direction_T4_S4_21rocsparse_index_base_PKT2_PKT3_PKS4_S4_S5_PS6_PS9_PS4_.numbered_sgpr, 47
	.set _ZN9rocsparseL35bsr2csr_block_per_row_33_256_kernelILj1024ELj128ELj32E21rocsparse_complex_numIdEliEEv20rocsparse_direction_T4_S4_21rocsparse_index_base_PKT2_PKT3_PKS4_S4_S5_PS6_PS9_PS4_.num_named_barrier, 0
	.set _ZN9rocsparseL35bsr2csr_block_per_row_33_256_kernelILj1024ELj128ELj32E21rocsparse_complex_numIdEliEEv20rocsparse_direction_T4_S4_21rocsparse_index_base_PKT2_PKT3_PKS4_S4_S5_PS6_PS9_PS4_.private_seg_size, 0
	.set _ZN9rocsparseL35bsr2csr_block_per_row_33_256_kernelILj1024ELj128ELj32E21rocsparse_complex_numIdEliEEv20rocsparse_direction_T4_S4_21rocsparse_index_base_PKT2_PKT3_PKS4_S4_S5_PS6_PS9_PS4_.uses_vcc, 1
	.set _ZN9rocsparseL35bsr2csr_block_per_row_33_256_kernelILj1024ELj128ELj32E21rocsparse_complex_numIdEliEEv20rocsparse_direction_T4_S4_21rocsparse_index_base_PKT2_PKT3_PKS4_S4_S5_PS6_PS9_PS4_.uses_flat_scratch, 0
	.set _ZN9rocsparseL35bsr2csr_block_per_row_33_256_kernelILj1024ELj128ELj32E21rocsparse_complex_numIdEliEEv20rocsparse_direction_T4_S4_21rocsparse_index_base_PKT2_PKT3_PKS4_S4_S5_PS6_PS9_PS4_.has_dyn_sized_stack, 0
	.set _ZN9rocsparseL35bsr2csr_block_per_row_33_256_kernelILj1024ELj128ELj32E21rocsparse_complex_numIdEliEEv20rocsparse_direction_T4_S4_21rocsparse_index_base_PKT2_PKT3_PKS4_S4_S5_PS6_PS9_PS4_.has_recursion, 0
	.set _ZN9rocsparseL35bsr2csr_block_per_row_33_256_kernelILj1024ELj128ELj32E21rocsparse_complex_numIdEliEEv20rocsparse_direction_T4_S4_21rocsparse_index_base_PKT2_PKT3_PKS4_S4_S5_PS6_PS9_PS4_.has_indirect_call, 0
	.section	.AMDGPU.csdata,"",@progbits
; Kernel info:
; codeLenInByte = 2732
; TotalNumSgprs: 49
; NumVgprs: 58
; ScratchSize: 0
; MemoryBound: 0
; FloatMode: 240
; IeeeMode: 1
; LDSByteSize: 0 bytes/workgroup (compile time only)
; SGPRBlocks: 0
; VGPRBlocks: 3
; NumSGPRsForWavesPerEU: 49
; NumVGPRsForWavesPerEU: 58
; NamedBarCnt: 0
; Occupancy: 16
; WaveLimiterHint : 1
; COMPUTE_PGM_RSRC2:SCRATCH_EN: 0
; COMPUTE_PGM_RSRC2:USER_SGPR: 2
; COMPUTE_PGM_RSRC2:TRAP_HANDLER: 0
; COMPUTE_PGM_RSRC2:TGID_X_EN: 1
; COMPUTE_PGM_RSRC2:TGID_Y_EN: 0
; COMPUTE_PGM_RSRC2:TGID_Z_EN: 0
; COMPUTE_PGM_RSRC2:TIDIG_COMP_CNT: 0
	.section	.text._ZN9rocsparseL35bsr2csr_block_per_row_33_256_kernelILj1024ELj256ELj32E21rocsparse_complex_numIdEliEEv20rocsparse_direction_T4_S4_21rocsparse_index_base_PKT2_PKT3_PKS4_S4_S5_PS6_PS9_PS4_,"axG",@progbits,_ZN9rocsparseL35bsr2csr_block_per_row_33_256_kernelILj1024ELj256ELj32E21rocsparse_complex_numIdEliEEv20rocsparse_direction_T4_S4_21rocsparse_index_base_PKT2_PKT3_PKS4_S4_S5_PS6_PS9_PS4_,comdat
	.globl	_ZN9rocsparseL35bsr2csr_block_per_row_33_256_kernelILj1024ELj256ELj32E21rocsparse_complex_numIdEliEEv20rocsparse_direction_T4_S4_21rocsparse_index_base_PKT2_PKT3_PKS4_S4_S5_PS6_PS9_PS4_ ; -- Begin function _ZN9rocsparseL35bsr2csr_block_per_row_33_256_kernelILj1024ELj256ELj32E21rocsparse_complex_numIdEliEEv20rocsparse_direction_T4_S4_21rocsparse_index_base_PKT2_PKT3_PKS4_S4_S5_PS6_PS9_PS4_
	.p2align	8
	.type	_ZN9rocsparseL35bsr2csr_block_per_row_33_256_kernelILj1024ELj256ELj32E21rocsparse_complex_numIdEliEEv20rocsparse_direction_T4_S4_21rocsparse_index_base_PKT2_PKT3_PKS4_S4_S5_PS6_PS9_PS4_,@function
_ZN9rocsparseL35bsr2csr_block_per_row_33_256_kernelILj1024ELj256ELj32E21rocsparse_complex_numIdEliEEv20rocsparse_direction_T4_S4_21rocsparse_index_base_PKT2_PKT3_PKS4_S4_S5_PS6_PS9_PS4_: ; @_ZN9rocsparseL35bsr2csr_block_per_row_33_256_kernelILj1024ELj256ELj32E21rocsparse_complex_numIdEliEEv20rocsparse_direction_T4_S4_21rocsparse_index_base_PKT2_PKT3_PKS4_S4_S5_PS6_PS9_PS4_
; %bb.0:
	s_load_b64 s[2:3], s[0:1], 0x18
	s_bfe_u32 s4, ttmp6, 0x4000c
	s_and_b32 s5, ttmp6, 15
	s_add_co_i32 s4, s4, 1
	s_getreg_b32 s6, hwreg(HW_REG_IB_STS2, 6, 4)
	s_mul_i32 s4, ttmp9, s4
	s_clause 0x1
	s_load_b64 s[16:17], s[0:1], 0x28
	s_load_b64 s[10:11], s[0:1], 0x38
	s_add_co_i32 s5, s5, s4
	s_cmp_eq_u32 s6, 0
	s_mov_b32 s19, 0
	s_cselect_b32 s4, ttmp9, s5
	s_mov_b32 s21, s19
	s_ashr_i32 s5, s4, 31
	v_or_b32_e32 v1, s4, v0
	s_lshl_b64 s[6:7], s[4:5], 3
	s_wait_kmcnt 0x0
	s_add_nc_u64 s[2:3], s[2:3], s[6:7]
	s_load_b128 s[12:15], s[2:3], 0x0
	s_wait_xcnt 0x0
	s_mov_b32 s2, exec_lo
	s_mov_b32 s20, s17
	v_cmpx_eq_u32_e32 0, v1
	s_cbranch_execz .LBB285_2
; %bb.1:
	v_mov_b64_e32 v[2:3], s[20:21]
	v_mov_b32_e32 v1, 0
	global_store_b64 v1, v[2:3], s[10:11]
.LBB285_2:
	s_wait_xcnt 0x0
	s_or_b32 exec_lo, exec_lo, s2
	s_load_b32 s22, s[0:1], 0xc
	s_mov_b32 s23, s19
	v_lshrrev_b32_e32 v2, 5, v0
	s_mul_i32 s18, s16, s16
	s_mov_b32 s17, s19
	s_mul_i32 s34, s16, s4
	s_delay_alu instid0(VALU_DEP_1)
	v_cmp_gt_i32_e64 s2, s16, v2
	s_wait_kmcnt 0x0
	s_sub_nc_u64 s[24:25], s[12:13], s[22:23]
	s_sub_nc_u64 s[26:27], s[14:15], s[22:23]
	s_mul_u64 s[28:29], s[24:25], s[18:19]
	s_sub_nc_u64 s[40:41], s[26:27], s[24:25]
	s_add_nc_u64 s[6:7], s[28:29], s[20:21]
	s_mul_u64 s[30:31], s[40:41], s[16:17]
	s_delay_alu instid0(SALU_CYCLE_1)
	s_add_nc_u64 s[36:37], s[6:7], s[30:31]
	s_and_saveexec_b32 s3, s2
	s_cbranch_execz .LBB285_4
; %bb.3:
	v_mad_nc_u64_u32 v[4:5], s30, v2, s[36:37]
	v_add_nc_u32_e32 v1, s34, v2
	s_delay_alu instid0(VALU_DEP_2)
	v_mad_u32 v5, s31, v2, v5
	global_store_b64 v1, v[4:5], s[10:11] offset:8 scale_offset
.LBB285_4:
	s_wait_xcnt 0x0
	s_or_b32 exec_lo, exec_lo, s3
	v_or_b32_e32 v24, 32, v2
	s_delay_alu instid0(VALU_DEP_1)
	v_cmp_gt_i32_e64 s3, s16, v24
	s_and_saveexec_b32 s4, s3
	s_cbranch_execz .LBB285_6
; %bb.5:
	v_mad_nc_u64_u32 v[4:5], s30, v24, s[36:37]
	v_mov_b32_e32 v3, 0
	s_ashr_i32 s35, s34, 31
	s_delay_alu instid0(VALU_DEP_1) | instid1(SALU_CYCLE_1)
	v_add_nc_u64_e32 v[6:7], s[34:35], v[2:3]
	s_delay_alu instid0(VALU_DEP_3) | instskip(NEXT) | instid1(VALU_DEP_2)
	v_mad_u32 v5, s31, v24, v5
	v_lshl_add_u64 v[6:7], v[6:7], 3, s[10:11]
	global_store_b64 v[6:7], v[4:5], off offset:264
.LBB285_6:
	s_wait_xcnt 0x0
	s_or_b32 exec_lo, exec_lo, s4
	v_or_b32_e32 v28, 64, v2
	s_delay_alu instid0(VALU_DEP_1)
	v_cmp_gt_i32_e64 s4, s16, v28
	s_and_saveexec_b32 s5, s4
	s_cbranch_execz .LBB285_8
; %bb.7:
	v_mad_nc_u64_u32 v[4:5], s30, v28, s[36:37]
	v_mov_b32_e32 v3, 0
	s_ashr_i32 s35, s34, 31
	s_delay_alu instid0(VALU_DEP_1) | instid1(SALU_CYCLE_1)
	v_add_nc_u64_e32 v[6:7], s[34:35], v[2:3]
	s_delay_alu instid0(VALU_DEP_3) | instskip(NEXT) | instid1(VALU_DEP_2)
	v_mad_u32 v5, s31, v28, v5
	v_lshl_add_u64 v[6:7], v[6:7], 3, s[10:11]
	global_store_b64 v[6:7], v[4:5], off offset:520
.LBB285_8:
	;; [unrolled: 18-line block ×7, first 2 shown]
	s_wait_xcnt 0x0
	s_or_b32 exec_lo, exec_lo, s17
	v_cmp_lt_i64_e64 s10, s[12:13], s[14:15]
	s_and_b32 vcc_lo, exec_lo, s10
	s_cbranch_vccz .LBB285_149
; %bb.19:
	s_clause 0x2
	s_load_b64 s[30:31], s[0:1], 0x20
	s_load_b64 s[34:35], s[0:1], 0x30
	s_load_b32 s10, s[0:1], 0x0
	v_dual_mov_b32 v3, 0 :: v_dual_bitop2_b32 v0, 31, v0 bitop3:0x40
	s_clause 0x1
	s_load_b64 s[36:37], s[0:1], 0x10
	s_load_b64 s[38:39], s[0:1], 0x40
	v_mul_lo_u32 v4, v2, s16
	v_mul_lo_u32 v6, v0, s16
	v_dual_mov_b32 v31, v3 :: v_dual_mov_b32 v33, v3
	v_dual_mov_b32 v39, v3 :: v_dual_mov_b32 v41, v3
	;; [unrolled: 1-line block ×3, first 2 shown]
	v_mul_u64_e32 v[22:23], s[40:41], v[2:3]
	s_delay_alu instid0(VALU_DEP_4) | instskip(NEXT) | instid1(VALU_DEP_4)
	v_mul_u64_e32 v[32:33], s[40:41], v[32:33]
	v_mul_u64_e32 v[40:41], s[40:41], v[40:41]
	s_delay_alu instid0(VALU_DEP_4)
	v_mul_u64_e32 v[44:45], s[40:41], v[44:45]
	v_mul_u64_e32 v[46:47], s[40:41], v[46:47]
	v_dual_mov_b32 v9, v3 :: v_dual_bitop2_b32 v76, 32, v0 bitop3:0x54
	s_wait_kmcnt 0x0
	s_cmp_eq_u32 s10, 0
	v_dual_mov_b32 v11, v3 :: v_dual_bitop2_b32 v77, 64, v0 bitop3:0x54
	s_cselect_b32 s0, -1, 0
	s_lshl_b32 s91, s16, 5
	s_delay_alu instid0(SALU_CYCLE_1)
	v_dual_mov_b32 v17, v3 :: v_dual_add_nc_u32 v8, s91, v6
	v_mov_b32_e32 v19, v3
	v_or_b32_e32 v78, 0x60, v0
	v_or_b32_e32 v79, 0x80, v0
	;; [unrolled: 1-line block ×3, first 2 shown]
	v_dual_mov_b32 v25, v3 :: v_dual_add_nc_u32 v10, s91, v8
	v_or_b32_e32 v81, 0xc0, v0
	v_or_b32_e32 v82, 0xe0, v0
	v_cmp_gt_i32_e32 vcc_lo, s16, v0
	s_delay_alu instid0(VALU_DEP_4)
	v_add_nc_u32_e32 v12, s91, v10
	v_mul_u64_e32 v[24:25], s[40:41], v[24:25]
	v_cmp_gt_i32_e64 s1, s16, v76
	v_cmp_gt_i32_e64 s10, s16, v77
	;; [unrolled: 1-line block ×3, first 2 shown]
	v_add_nc_u32_e32 v14, s91, v12
	v_cmp_gt_i32_e64 s12, s16, v79
	v_cmp_gt_i32_e64 s13, s16, v80
	v_dual_mov_b32 v29, v3 :: v_dual_add_nc_u32 v26, s91, v4
	s_delay_alu instid0(VALU_DEP_4) | instskip(SKIP_2) | instid1(VALU_DEP_4)
	v_add_nc_u32_e32 v16, s91, v14
	v_cmp_gt_i32_e64 s14, s16, v81
	v_cmp_gt_i32_e64 s15, s16, v82
	v_add_nc_u32_e32 v30, s91, v26
	v_mul_u64_e32 v[28:29], s[40:41], v[28:29]
	v_dual_mov_b32 v27, v3 :: v_dual_add_nc_u32 v18, s91, v16
	v_dual_mov_b32 v1, v3 :: v_dual_mov_b32 v7, v3
	s_delay_alu instid0(VALU_DEP_4) | instskip(SKIP_1) | instid1(VALU_DEP_2)
	v_dual_mov_b32 v35, v3 :: v_dual_add_nc_u32 v34, s91, v30
	v_dual_mov_b32 v37, v3 :: v_dual_mov_b32 v13, v3
	v_dual_mov_b32 v15, v3 :: v_dual_add_nc_u32 v38, s91, v34
	v_dual_mov_b32 v21, v3 :: v_dual_mov_b32 v5, v3
	s_delay_alu instid0(VALU_DEP_3) | instskip(NEXT) | instid1(VALU_DEP_3)
	v_mul_u64_e32 v[36:37], s[40:41], v[36:37]
	v_dual_mov_b32 v43, v3 :: v_dual_add_nc_u32 v42, s91, v38
	v_add_nc_u32_e32 v20, s91, v18
	v_lshlrev_b32_e32 v2, 4, v2
	s_and_b32 s17, s2, vcc_lo
	s_delay_alu instid0(VALU_DEP_3) | instskip(SKIP_3) | instid1(VALU_DEP_1)
	v_dual_mov_b32 v49, v3 :: v_dual_add_nc_u32 v48, s91, v42
	s_and_b32 s21, s2, s1
	s_and_b32 s23, s2, s10
	;; [unrolled: 1-line block ×3, first 2 shown]
	v_dual_mov_b32 v51, v3 :: v_dual_add_nc_u32 v50, s91, v48
	s_and_b32 s42, s2, s12
	s_and_b32 s43, s2, s13
	s_and_b32 s44, s2, s14
	s_and_b32 s45, s2, s15
	s_and_b32 s46, s3, vcc_lo
	s_and_b32 s47, s3, s1
	s_and_b32 s48, s3, s10
	s_and_b32 s49, s3, s11
	s_and_b32 s50, s3, s12
	s_and_b32 s51, s3, s13
	s_and_b32 s52, s3, s14
	s_and_b32 s53, s3, s15
	s_and_b32 s54, s4, vcc_lo
	s_and_b32 s55, s4, s1
	s_and_b32 s56, s4, s10
	s_and_b32 s57, s4, s11
	;; [unrolled: 8-line block ×7, first 2 shown]
	s_and_b32 s12, s9, s12
	s_and_b32 s13, s9, s13
	;; [unrolled: 1-line block ×4, first 2 shown]
	s_mov_b64 s[2:3], s[24:25]
	s_branch .LBB285_21
.LBB285_20:                             ;   in Loop: Header=BB285_21 Depth=1
	s_wait_xcnt 0x0
	s_or_b32 exec_lo, exec_lo, s4
	s_add_nc_u64 s[2:3], s[2:3], 1
	s_delay_alu instid0(SALU_CYCLE_1)
	v_cmp_ge_i64_e64 s4, s[2:3], s[26:27]
	s_and_b32 vcc_lo, exec_lo, s4
	s_cbranch_vccnz .LBB285_149
.LBB285_21:                             ; =>This Inner Loop Header: Depth=1
	s_sub_nc_u64 s[4:5], s[2:3], s[24:25]
	s_lshl_b64 s[6:7], s[2:3], 2
	v_add_nc_u64_e32 v[52:53], s[4:5], v[22:23]
	s_add_nc_u64 s[6:7], s[30:31], s[6:7]
	s_load_b32 s15, s[6:7], 0x0
	s_wait_xcnt 0x0
	s_mul_u64 s[6:7], s[2:3], s[18:19]
	s_delay_alu instid0(SALU_CYCLE_1) | instskip(NEXT) | instid1(VALU_DEP_1)
	s_lshl_b64 s[6:7], s[6:7], 4
	v_mad_nc_u64_u32 v[54:55], v52, s16, s[28:29]
	s_add_nc_u64 s[6:7], s[36:37], s[6:7]
	s_delay_alu instid0(SALU_CYCLE_1) | instskip(SKIP_1) | instid1(VALU_DEP_3)
	v_add_nc_u64_e32 v[56:57], s[6:7], v[2:3]
	v_lshl_add_u64 v[74:75], v[4:5], 4, s[6:7]
	v_mad_u32 v55, v53, s16, v55
	s_wait_kmcnt 0x0
	s_sub_co_i32 s15, s15, s22
	s_delay_alu instid0(SALU_CYCLE_1) | instskip(NEXT) | instid1(SALU_CYCLE_1)
	s_mul_i32 s15, s15, s16
	s_add_co_i32 s15, s15, s20
	s_delay_alu instid0(SALU_CYCLE_1) | instskip(NEXT) | instid1(VALU_DEP_2)
	v_add_nc_u32_e32 v83, s15, v0
	v_add_nc_u64_e32 v[52:53], v[54:55], v[0:1]
	v_lshl_add_u64 v[54:55], v[6:7], 4, v[56:57]
	s_delay_alu instid0(VALU_DEP_2)
	v_lshl_add_u64 v[70:71], v[52:53], 2, s[38:39]
	v_lshl_add_u64 v[72:73], v[52:53], 4, s[34:35]
	v_lshlrev_b32_e32 v52, 4, v0
	s_and_saveexec_b32 s92, s17
	s_cbranch_execz .LBB285_23
; %bb.22:                               ;   in Loop: Header=BB285_21 Depth=1
	v_mov_b32_e32 v53, v3
	s_delay_alu instid0(VALU_DEP_1) | instskip(NEXT) | instid1(VALU_DEP_1)
	v_add_nc_u64_e32 v[58:59], v[74:75], v[52:53]
	v_dual_cndmask_b32 v59, v55, v59, s0 :: v_dual_cndmask_b32 v58, v54, v58, s0
	global_load_b128 v[58:61], v[58:59], off
	global_store_b32 v[70:71], v83, off
	s_wait_loadcnt 0x0
	global_store_b128 v[72:73], v[58:61], off
.LBB285_23:                             ;   in Loop: Header=BB285_21 Depth=1
	s_wait_xcnt 0x0
	s_or_b32 exec_lo, exec_lo, s92
	v_add_nc_u32_e32 v84, s15, v76
	v_lshl_add_u64 v[68:69], v[8:9], 4, v[56:57]
	s_and_saveexec_b32 s92, s21
	s_cbranch_execz .LBB285_25
; %bb.24:                               ;   in Loop: Header=BB285_21 Depth=1
	v_mov_b32_e32 v53, v3
	s_delay_alu instid0(VALU_DEP_1) | instskip(NEXT) | instid1(VALU_DEP_1)
	v_add_nc_u64_e32 v[58:59], v[74:75], v[52:53]
	v_add_nc_u64_e32 v[58:59], 0x200, v[58:59]
	s_delay_alu instid0(VALU_DEP_1)
	v_dual_cndmask_b32 v59, v69, v59, s0 :: v_dual_cndmask_b32 v58, v68, v58, s0
	global_load_b128 v[58:61], v[58:59], off
	global_store_b32 v[70:71], v84, off offset:128
	s_wait_loadcnt 0x0
	global_store_b128 v[72:73], v[58:61], off offset:512
.LBB285_25:                             ;   in Loop: Header=BB285_21 Depth=1
	s_wait_xcnt 0x0
	s_or_b32 exec_lo, exec_lo, s92
	v_add_nc_u32_e32 v85, s15, v77
	v_lshl_add_u64 v[66:67], v[10:11], 4, v[56:57]
	s_and_saveexec_b32 s92, s23
	s_cbranch_execz .LBB285_27
; %bb.26:                               ;   in Loop: Header=BB285_21 Depth=1
	v_mov_b32_e32 v53, v3
	s_delay_alu instid0(VALU_DEP_1) | instskip(NEXT) | instid1(VALU_DEP_1)
	v_add_nc_u64_e32 v[58:59], v[74:75], v[52:53]
	v_add_nc_u64_e32 v[58:59], 0x400, v[58:59]
	s_delay_alu instid0(VALU_DEP_1)
	v_dual_cndmask_b32 v59, v67, v59, s0 :: v_dual_cndmask_b32 v58, v66, v58, s0
	global_load_b128 v[58:61], v[58:59], off
	global_store_b32 v[70:71], v85, off offset:256
	s_wait_loadcnt 0x0
	global_store_b128 v[72:73], v[58:61], off offset:1024
.LBB285_27:                             ;   in Loop: Header=BB285_21 Depth=1
	;; [unrolled: 18-line block ×7, first 2 shown]
	s_wait_xcnt 0x0
	s_or_b32 exec_lo, exec_lo, s15
	v_add_nc_u64_e32 v[70:71], s[4:5], v[24:25]
	v_lshl_add_u64 v[74:75], v[26:27], 4, s[6:7]
	s_delay_alu instid0(VALU_DEP_2) | instskip(NEXT) | instid1(VALU_DEP_1)
	v_mad_nc_u64_u32 v[72:73], v70, s16, s[28:29]
	v_mad_u32 v73, v71, s16, v73
	s_delay_alu instid0(VALU_DEP_1) | instskip(NEXT) | instid1(VALU_DEP_1)
	v_add_nc_u64_e32 v[72:73], v[72:73], v[0:1]
	v_lshl_add_u64 v[70:71], v[72:73], 2, s[38:39]
	v_lshl_add_u64 v[72:73], v[72:73], 4, s[34:35]
	s_and_saveexec_b32 s15, s46
	s_cbranch_execnz .LBB285_99
; %bb.38:                               ;   in Loop: Header=BB285_21 Depth=1
	s_or_b32 exec_lo, exec_lo, s15
	s_and_saveexec_b32 s15, s47
	s_cbranch_execnz .LBB285_100
.LBB285_39:                             ;   in Loop: Header=BB285_21 Depth=1
	s_or_b32 exec_lo, exec_lo, s15
	s_and_saveexec_b32 s15, s48
	s_cbranch_execnz .LBB285_101
.LBB285_40:                             ;   in Loop: Header=BB285_21 Depth=1
	s_or_b32 exec_lo, exec_lo, s15
	s_and_saveexec_b32 s15, s49
	s_cbranch_execnz .LBB285_102
.LBB285_41:                             ;   in Loop: Header=BB285_21 Depth=1
	s_or_b32 exec_lo, exec_lo, s15
	s_and_saveexec_b32 s15, s50
	s_cbranch_execnz .LBB285_103
.LBB285_42:                             ;   in Loop: Header=BB285_21 Depth=1
	s_or_b32 exec_lo, exec_lo, s15
	s_and_saveexec_b32 s15, s51
	s_cbranch_execnz .LBB285_104
.LBB285_43:                             ;   in Loop: Header=BB285_21 Depth=1
	s_or_b32 exec_lo, exec_lo, s15
	s_and_saveexec_b32 s15, s52
	s_cbranch_execnz .LBB285_105
.LBB285_44:                             ;   in Loop: Header=BB285_21 Depth=1
	s_or_b32 exec_lo, exec_lo, s15
	s_and_saveexec_b32 s15, s53
	s_cbranch_execz .LBB285_46
.LBB285_45:                             ;   in Loop: Header=BB285_21 Depth=1
	v_add_nc_u64_e32 v[92:93], 0x200, v[56:57]
	v_mov_b32_e32 v53, v3
	s_delay_alu instid0(VALU_DEP_1) | instskip(NEXT) | instid1(VALU_DEP_1)
	v_add_nc_u64_e32 v[74:75], v[74:75], v[52:53]
	v_add_nc_u64_e32 v[74:75], 0xe00, v[74:75]
	s_delay_alu instid0(VALU_DEP_1)
	v_dual_cndmask_b32 v75, v93, v75, s0 :: v_dual_cndmask_b32 v74, v92, v74, s0
	global_load_b128 v[92:95], v[74:75], off
	global_store_b32 v[70:71], v90, off offset:896
	s_wait_loadcnt 0x0
	global_store_b128 v[72:73], v[92:95], off offset:3584
.LBB285_46:                             ;   in Loop: Header=BB285_21 Depth=1
	s_wait_xcnt 0x0
	s_or_b32 exec_lo, exec_lo, s15
	v_add_nc_u64_e32 v[70:71], s[4:5], v[28:29]
	v_lshl_add_u64 v[74:75], v[30:31], 4, s[6:7]
	s_delay_alu instid0(VALU_DEP_2) | instskip(NEXT) | instid1(VALU_DEP_1)
	v_mad_nc_u64_u32 v[72:73], v70, s16, s[28:29]
	v_mad_u32 v73, v71, s16, v73
	s_delay_alu instid0(VALU_DEP_1) | instskip(NEXT) | instid1(VALU_DEP_1)
	v_add_nc_u64_e32 v[72:73], v[72:73], v[0:1]
	v_lshl_add_u64 v[70:71], v[72:73], 2, s[38:39]
	v_lshl_add_u64 v[72:73], v[72:73], 4, s[34:35]
	s_and_saveexec_b32 s15, s54
	s_cbranch_execnz .LBB285_106
; %bb.47:                               ;   in Loop: Header=BB285_21 Depth=1
	s_or_b32 exec_lo, exec_lo, s15
	s_and_saveexec_b32 s15, s55
	s_cbranch_execnz .LBB285_107
.LBB285_48:                             ;   in Loop: Header=BB285_21 Depth=1
	s_or_b32 exec_lo, exec_lo, s15
	s_and_saveexec_b32 s15, s56
	s_cbranch_execnz .LBB285_108
.LBB285_49:                             ;   in Loop: Header=BB285_21 Depth=1
	s_or_b32 exec_lo, exec_lo, s15
	s_and_saveexec_b32 s15, s57
	s_cbranch_execnz .LBB285_109
.LBB285_50:                             ;   in Loop: Header=BB285_21 Depth=1
	s_or_b32 exec_lo, exec_lo, s15
	s_and_saveexec_b32 s15, s58
	s_cbranch_execnz .LBB285_110
.LBB285_51:                             ;   in Loop: Header=BB285_21 Depth=1
	s_or_b32 exec_lo, exec_lo, s15
	s_and_saveexec_b32 s15, s59
	s_cbranch_execnz .LBB285_111
.LBB285_52:                             ;   in Loop: Header=BB285_21 Depth=1
	s_or_b32 exec_lo, exec_lo, s15
	s_and_saveexec_b32 s15, s60
	s_cbranch_execnz .LBB285_112
.LBB285_53:                             ;   in Loop: Header=BB285_21 Depth=1
	s_or_b32 exec_lo, exec_lo, s15
	s_and_saveexec_b32 s15, s61
	s_cbranch_execz .LBB285_55
.LBB285_54:                             ;   in Loop: Header=BB285_21 Depth=1
	v_add_nc_u64_e32 v[92:93], 0x400, v[56:57]
	v_mov_b32_e32 v53, v3
	s_delay_alu instid0(VALU_DEP_1) | instskip(NEXT) | instid1(VALU_DEP_1)
	v_add_nc_u64_e32 v[74:75], v[74:75], v[52:53]
	v_add_nc_u64_e32 v[74:75], 0xe00, v[74:75]
	s_delay_alu instid0(VALU_DEP_1)
	v_dual_cndmask_b32 v75, v93, v75, s0 :: v_dual_cndmask_b32 v74, v92, v74, s0
	global_load_b128 v[92:95], v[74:75], off
	global_store_b32 v[70:71], v90, off offset:896
	s_wait_loadcnt 0x0
	global_store_b128 v[72:73], v[92:95], off offset:3584
.LBB285_55:                             ;   in Loop: Header=BB285_21 Depth=1
	s_wait_xcnt 0x0
	s_or_b32 exec_lo, exec_lo, s15
	v_add_nc_u64_e32 v[70:71], s[4:5], v[32:33]
	v_lshl_add_u64 v[74:75], v[34:35], 4, s[6:7]
	s_delay_alu instid0(VALU_DEP_2) | instskip(NEXT) | instid1(VALU_DEP_1)
	v_mad_nc_u64_u32 v[72:73], v70, s16, s[28:29]
	v_mad_u32 v73, v71, s16, v73
	s_delay_alu instid0(VALU_DEP_1) | instskip(NEXT) | instid1(VALU_DEP_1)
	v_add_nc_u64_e32 v[72:73], v[72:73], v[0:1]
	v_lshl_add_u64 v[70:71], v[72:73], 2, s[38:39]
	v_lshl_add_u64 v[72:73], v[72:73], 4, s[34:35]
	s_and_saveexec_b32 s15, s62
	s_cbranch_execnz .LBB285_113
; %bb.56:                               ;   in Loop: Header=BB285_21 Depth=1
	s_or_b32 exec_lo, exec_lo, s15
	s_and_saveexec_b32 s15, s63
	s_cbranch_execnz .LBB285_114
.LBB285_57:                             ;   in Loop: Header=BB285_21 Depth=1
	s_or_b32 exec_lo, exec_lo, s15
	s_and_saveexec_b32 s15, s64
	s_cbranch_execnz .LBB285_115
.LBB285_58:                             ;   in Loop: Header=BB285_21 Depth=1
	s_or_b32 exec_lo, exec_lo, s15
	s_and_saveexec_b32 s15, s65
	s_cbranch_execnz .LBB285_116
.LBB285_59:                             ;   in Loop: Header=BB285_21 Depth=1
	s_or_b32 exec_lo, exec_lo, s15
	s_and_saveexec_b32 s15, s66
	s_cbranch_execnz .LBB285_117
.LBB285_60:                             ;   in Loop: Header=BB285_21 Depth=1
	s_or_b32 exec_lo, exec_lo, s15
	s_and_saveexec_b32 s15, s67
	s_cbranch_execnz .LBB285_118
.LBB285_61:                             ;   in Loop: Header=BB285_21 Depth=1
	s_or_b32 exec_lo, exec_lo, s15
	s_and_saveexec_b32 s15, s68
	s_cbranch_execnz .LBB285_119
.LBB285_62:                             ;   in Loop: Header=BB285_21 Depth=1
	s_or_b32 exec_lo, exec_lo, s15
	s_and_saveexec_b32 s15, s69
	s_cbranch_execz .LBB285_64
.LBB285_63:                             ;   in Loop: Header=BB285_21 Depth=1
	v_add_nc_u64_e32 v[92:93], 0x600, v[56:57]
	v_mov_b32_e32 v53, v3
	s_delay_alu instid0(VALU_DEP_1) | instskip(NEXT) | instid1(VALU_DEP_1)
	v_add_nc_u64_e32 v[74:75], v[74:75], v[52:53]
	v_add_nc_u64_e32 v[74:75], 0xe00, v[74:75]
	s_delay_alu instid0(VALU_DEP_1)
	v_dual_cndmask_b32 v75, v93, v75, s0 :: v_dual_cndmask_b32 v74, v92, v74, s0
	global_load_b128 v[92:95], v[74:75], off
	global_store_b32 v[70:71], v90, off offset:896
	s_wait_loadcnt 0x0
	global_store_b128 v[72:73], v[92:95], off offset:3584
.LBB285_64:                             ;   in Loop: Header=BB285_21 Depth=1
	s_wait_xcnt 0x0
	s_or_b32 exec_lo, exec_lo, s15
	v_add_nc_u64_e32 v[70:71], s[4:5], v[36:37]
	v_lshl_add_u64 v[74:75], v[38:39], 4, s[6:7]
	s_delay_alu instid0(VALU_DEP_2) | instskip(NEXT) | instid1(VALU_DEP_1)
	v_mad_nc_u64_u32 v[72:73], v70, s16, s[28:29]
	v_mad_u32 v73, v71, s16, v73
	s_delay_alu instid0(VALU_DEP_1) | instskip(NEXT) | instid1(VALU_DEP_1)
	v_add_nc_u64_e32 v[72:73], v[72:73], v[0:1]
	v_lshl_add_u64 v[70:71], v[72:73], 2, s[38:39]
	v_lshl_add_u64 v[72:73], v[72:73], 4, s[34:35]
	s_and_saveexec_b32 s15, s70
	s_cbranch_execnz .LBB285_120
; %bb.65:                               ;   in Loop: Header=BB285_21 Depth=1
	s_or_b32 exec_lo, exec_lo, s15
	s_and_saveexec_b32 s15, s71
	s_cbranch_execnz .LBB285_121
.LBB285_66:                             ;   in Loop: Header=BB285_21 Depth=1
	s_or_b32 exec_lo, exec_lo, s15
	s_and_saveexec_b32 s15, s72
	s_cbranch_execnz .LBB285_122
.LBB285_67:                             ;   in Loop: Header=BB285_21 Depth=1
	s_or_b32 exec_lo, exec_lo, s15
	s_and_saveexec_b32 s15, s73
	s_cbranch_execnz .LBB285_123
.LBB285_68:                             ;   in Loop: Header=BB285_21 Depth=1
	s_or_b32 exec_lo, exec_lo, s15
	s_and_saveexec_b32 s15, s74
	s_cbranch_execnz .LBB285_124
.LBB285_69:                             ;   in Loop: Header=BB285_21 Depth=1
	s_or_b32 exec_lo, exec_lo, s15
	s_and_saveexec_b32 s15, s75
	s_cbranch_execnz .LBB285_125
.LBB285_70:                             ;   in Loop: Header=BB285_21 Depth=1
	s_or_b32 exec_lo, exec_lo, s15
	s_and_saveexec_b32 s15, s76
	s_cbranch_execnz .LBB285_126
.LBB285_71:                             ;   in Loop: Header=BB285_21 Depth=1
	s_or_b32 exec_lo, exec_lo, s15
	s_and_saveexec_b32 s15, s8
	s_cbranch_execz .LBB285_73
.LBB285_72:                             ;   in Loop: Header=BB285_21 Depth=1
	v_add_nc_u64_e32 v[92:93], 0x800, v[56:57]
	v_mov_b32_e32 v53, v3
	s_delay_alu instid0(VALU_DEP_1) | instskip(NEXT) | instid1(VALU_DEP_1)
	v_add_nc_u64_e32 v[74:75], v[74:75], v[52:53]
	v_add_nc_u64_e32 v[74:75], 0xe00, v[74:75]
	s_delay_alu instid0(VALU_DEP_1)
	v_dual_cndmask_b32 v75, v93, v75, s0 :: v_dual_cndmask_b32 v74, v92, v74, s0
	global_load_b128 v[92:95], v[74:75], off
	global_store_b32 v[70:71], v90, off offset:896
	s_wait_loadcnt 0x0
	global_store_b128 v[72:73], v[92:95], off offset:3584
.LBB285_73:                             ;   in Loop: Header=BB285_21 Depth=1
	s_wait_xcnt 0x0
	s_or_b32 exec_lo, exec_lo, s15
	v_add_nc_u64_e32 v[70:71], s[4:5], v[40:41]
	v_lshl_add_u64 v[74:75], v[42:43], 4, s[6:7]
	s_delay_alu instid0(VALU_DEP_2) | instskip(NEXT) | instid1(VALU_DEP_1)
	v_mad_nc_u64_u32 v[72:73], v70, s16, s[28:29]
	v_mad_u32 v73, v71, s16, v73
	s_delay_alu instid0(VALU_DEP_1) | instskip(NEXT) | instid1(VALU_DEP_1)
	v_add_nc_u64_e32 v[72:73], v[72:73], v[0:1]
	v_lshl_add_u64 v[70:71], v[72:73], 2, s[38:39]
	v_lshl_add_u64 v[72:73], v[72:73], 4, s[34:35]
	s_and_saveexec_b32 s15, s40
	s_cbranch_execnz .LBB285_127
; %bb.74:                               ;   in Loop: Header=BB285_21 Depth=1
	s_or_b32 exec_lo, exec_lo, s15
	s_and_saveexec_b32 s15, s41
	s_cbranch_execnz .LBB285_128
.LBB285_75:                             ;   in Loop: Header=BB285_21 Depth=1
	s_or_b32 exec_lo, exec_lo, s15
	s_and_saveexec_b32 s15, s77
	s_cbranch_execnz .LBB285_129
.LBB285_76:                             ;   in Loop: Header=BB285_21 Depth=1
	s_or_b32 exec_lo, exec_lo, s15
	s_and_saveexec_b32 s15, s78
	s_cbranch_execnz .LBB285_130
.LBB285_77:                             ;   in Loop: Header=BB285_21 Depth=1
	s_or_b32 exec_lo, exec_lo, s15
	s_and_saveexec_b32 s15, s79
	s_cbranch_execnz .LBB285_131
.LBB285_78:                             ;   in Loop: Header=BB285_21 Depth=1
	s_or_b32 exec_lo, exec_lo, s15
	s_and_saveexec_b32 s15, s80
	s_cbranch_execnz .LBB285_132
.LBB285_79:                             ;   in Loop: Header=BB285_21 Depth=1
	s_or_b32 exec_lo, exec_lo, s15
	s_and_saveexec_b32 s15, s81
	s_cbranch_execnz .LBB285_133
.LBB285_80:                             ;   in Loop: Header=BB285_21 Depth=1
	s_or_b32 exec_lo, exec_lo, s15
	s_and_saveexec_b32 s15, s82
	s_cbranch_execz .LBB285_82
.LBB285_81:                             ;   in Loop: Header=BB285_21 Depth=1
	v_add_nc_u64_e32 v[92:93], 0xa00, v[56:57]
	v_mov_b32_e32 v53, v3
	s_delay_alu instid0(VALU_DEP_1) | instskip(NEXT) | instid1(VALU_DEP_1)
	v_add_nc_u64_e32 v[74:75], v[74:75], v[52:53]
	v_add_nc_u64_e32 v[74:75], 0xe00, v[74:75]
	s_delay_alu instid0(VALU_DEP_1)
	v_dual_cndmask_b32 v75, v93, v75, s0 :: v_dual_cndmask_b32 v74, v92, v74, s0
	global_load_b128 v[92:95], v[74:75], off
	global_store_b32 v[70:71], v90, off offset:896
	s_wait_loadcnt 0x0
	global_store_b128 v[72:73], v[92:95], off offset:3584
.LBB285_82:                             ;   in Loop: Header=BB285_21 Depth=1
	s_wait_xcnt 0x0
	s_or_b32 exec_lo, exec_lo, s15
	v_add_nc_u64_e32 v[70:71], s[4:5], v[44:45]
	v_lshl_add_u64 v[74:75], v[48:49], 4, s[6:7]
	s_delay_alu instid0(VALU_DEP_2) | instskip(NEXT) | instid1(VALU_DEP_1)
	v_mad_nc_u64_u32 v[72:73], v70, s16, s[28:29]
	v_mad_u32 v73, v71, s16, v73
	s_delay_alu instid0(VALU_DEP_1) | instskip(NEXT) | instid1(VALU_DEP_1)
	v_add_nc_u64_e32 v[72:73], v[72:73], v[0:1]
	v_lshl_add_u64 v[70:71], v[72:73], 2, s[38:39]
	v_lshl_add_u64 v[72:73], v[72:73], 4, s[34:35]
	s_and_saveexec_b32 s15, s83
	s_cbranch_execnz .LBB285_134
; %bb.83:                               ;   in Loop: Header=BB285_21 Depth=1
	s_or_b32 exec_lo, exec_lo, s15
	s_and_saveexec_b32 s15, s84
	s_cbranch_execnz .LBB285_135
.LBB285_84:                             ;   in Loop: Header=BB285_21 Depth=1
	s_or_b32 exec_lo, exec_lo, s15
	s_and_saveexec_b32 s15, s85
	s_cbranch_execnz .LBB285_136
.LBB285_85:                             ;   in Loop: Header=BB285_21 Depth=1
	s_or_b32 exec_lo, exec_lo, s15
	s_and_saveexec_b32 s15, s86
	s_cbranch_execnz .LBB285_137
.LBB285_86:                             ;   in Loop: Header=BB285_21 Depth=1
	s_or_b32 exec_lo, exec_lo, s15
	s_and_saveexec_b32 s15, s87
	s_cbranch_execnz .LBB285_138
.LBB285_87:                             ;   in Loop: Header=BB285_21 Depth=1
	s_or_b32 exec_lo, exec_lo, s15
	s_and_saveexec_b32 s15, s88
	s_cbranch_execnz .LBB285_139
.LBB285_88:                             ;   in Loop: Header=BB285_21 Depth=1
	s_or_b32 exec_lo, exec_lo, s15
	s_and_saveexec_b32 s15, s89
	s_cbranch_execnz .LBB285_140
.LBB285_89:                             ;   in Loop: Header=BB285_21 Depth=1
	s_or_b32 exec_lo, exec_lo, s15
	s_and_saveexec_b32 s15, s90
	s_cbranch_execz .LBB285_91
.LBB285_90:                             ;   in Loop: Header=BB285_21 Depth=1
	v_add_nc_u64_e32 v[92:93], 0xc00, v[56:57]
	v_mov_b32_e32 v53, v3
	s_delay_alu instid0(VALU_DEP_1) | instskip(NEXT) | instid1(VALU_DEP_1)
	v_add_nc_u64_e32 v[74:75], v[74:75], v[52:53]
	v_add_nc_u64_e32 v[74:75], 0xe00, v[74:75]
	s_delay_alu instid0(VALU_DEP_1)
	v_dual_cndmask_b32 v75, v93, v75, s0 :: v_dual_cndmask_b32 v74, v92, v74, s0
	global_load_b128 v[92:95], v[74:75], off
	global_store_b32 v[70:71], v90, off offset:896
	s_wait_loadcnt 0x0
	global_store_b128 v[72:73], v[92:95], off offset:3584
.LBB285_91:                             ;   in Loop: Header=BB285_21 Depth=1
	s_wait_xcnt 0x0
	s_or_b32 exec_lo, exec_lo, s15
	v_add_nc_u64_e32 v[70:71], s[4:5], v[46:47]
	v_lshl_add_u64 v[74:75], v[50:51], 4, s[6:7]
	s_delay_alu instid0(VALU_DEP_2) | instskip(NEXT) | instid1(VALU_DEP_1)
	v_mad_nc_u64_u32 v[72:73], v70, s16, s[28:29]
	v_mad_u32 v73, v71, s16, v73
	s_delay_alu instid0(VALU_DEP_1) | instskip(NEXT) | instid1(VALU_DEP_1)
	v_add_nc_u64_e32 v[72:73], v[72:73], v[0:1]
	v_lshl_add_u64 v[70:71], v[72:73], 2, s[38:39]
	v_lshl_add_u64 v[72:73], v[72:73], 4, s[34:35]
	s_and_saveexec_b32 s4, s91
	s_cbranch_execnz .LBB285_141
; %bb.92:                               ;   in Loop: Header=BB285_21 Depth=1
	s_or_b32 exec_lo, exec_lo, s4
	s_and_saveexec_b32 s4, s1
	s_cbranch_execnz .LBB285_142
.LBB285_93:                             ;   in Loop: Header=BB285_21 Depth=1
	s_or_b32 exec_lo, exec_lo, s4
	s_and_saveexec_b32 s4, s10
	s_cbranch_execnz .LBB285_143
.LBB285_94:                             ;   in Loop: Header=BB285_21 Depth=1
	s_or_b32 exec_lo, exec_lo, s4
	s_and_saveexec_b32 s4, s11
	s_cbranch_execnz .LBB285_144
.LBB285_95:                             ;   in Loop: Header=BB285_21 Depth=1
	s_or_b32 exec_lo, exec_lo, s4
	s_and_saveexec_b32 s4, s12
	s_cbranch_execnz .LBB285_145
.LBB285_96:                             ;   in Loop: Header=BB285_21 Depth=1
	s_or_b32 exec_lo, exec_lo, s4
	s_and_saveexec_b32 s4, s13
	s_cbranch_execnz .LBB285_146
.LBB285_97:                             ;   in Loop: Header=BB285_21 Depth=1
	s_or_b32 exec_lo, exec_lo, s4
	s_and_saveexec_b32 s4, s14
	s_cbranch_execnz .LBB285_147
.LBB285_98:                             ;   in Loop: Header=BB285_21 Depth=1
	s_or_b32 exec_lo, exec_lo, s4
	s_and_saveexec_b32 s4, s9
	s_cbranch_execz .LBB285_20
	s_branch .LBB285_148
.LBB285_99:                             ;   in Loop: Header=BB285_21 Depth=1
	v_add_nc_u64_e32 v[92:93], 0x200, v[54:55]
	v_mov_b32_e32 v53, v3
	s_delay_alu instid0(VALU_DEP_1) | instskip(NEXT) | instid1(VALU_DEP_1)
	v_add_nc_u64_e32 v[94:95], v[74:75], v[52:53]
	v_dual_cndmask_b32 v93, v93, v95, s0 :: v_dual_cndmask_b32 v92, v92, v94, s0
	global_load_b128 v[92:95], v[92:93], off
	global_store_b32 v[70:71], v83, off
	s_wait_loadcnt 0x0
	global_store_b128 v[72:73], v[92:95], off
	s_wait_xcnt 0x0
	s_or_b32 exec_lo, exec_lo, s15
	s_and_saveexec_b32 s15, s47
	s_cbranch_execz .LBB285_39
.LBB285_100:                            ;   in Loop: Header=BB285_21 Depth=1
	v_add_nc_u64_e32 v[94:95], 0x200, v[68:69]
	v_mov_b32_e32 v53, v3
	s_delay_alu instid0(VALU_DEP_1) | instskip(NEXT) | instid1(VALU_DEP_1)
	v_add_nc_u64_e32 v[92:93], v[74:75], v[52:53]
	v_add_nc_u64_e32 v[92:93], 0x200, v[92:93]
	s_delay_alu instid0(VALU_DEP_1)
	v_dual_cndmask_b32 v93, v95, v93, s0 :: v_dual_cndmask_b32 v92, v94, v92, s0
	global_load_b128 v[92:95], v[92:93], off
	global_store_b32 v[70:71], v84, off offset:128
	s_wait_loadcnt 0x0
	global_store_b128 v[72:73], v[92:95], off offset:512
	s_wait_xcnt 0x0
	s_or_b32 exec_lo, exec_lo, s15
	s_and_saveexec_b32 s15, s48
	s_cbranch_execz .LBB285_40
.LBB285_101:                            ;   in Loop: Header=BB285_21 Depth=1
	v_add_nc_u64_e32 v[94:95], 0x200, v[66:67]
	v_mov_b32_e32 v53, v3
	s_delay_alu instid0(VALU_DEP_1) | instskip(NEXT) | instid1(VALU_DEP_1)
	v_add_nc_u64_e32 v[92:93], v[74:75], v[52:53]
	v_add_nc_u64_e32 v[92:93], 0x400, v[92:93]
	s_delay_alu instid0(VALU_DEP_1)
	v_dual_cndmask_b32 v93, v95, v93, s0 :: v_dual_cndmask_b32 v92, v94, v92, s0
	global_load_b128 v[92:95], v[92:93], off
	global_store_b32 v[70:71], v85, off offset:256
	s_wait_loadcnt 0x0
	global_store_b128 v[72:73], v[92:95], off offset:1024
	s_wait_xcnt 0x0
	s_or_b32 exec_lo, exec_lo, s15
	s_and_saveexec_b32 s15, s49
	s_cbranch_execz .LBB285_41
.LBB285_102:                            ;   in Loop: Header=BB285_21 Depth=1
	v_add_nc_u64_e32 v[94:95], 0x200, v[64:65]
	v_mov_b32_e32 v53, v3
	s_delay_alu instid0(VALU_DEP_1) | instskip(NEXT) | instid1(VALU_DEP_1)
	v_add_nc_u64_e32 v[92:93], v[74:75], v[52:53]
	v_add_nc_u64_e32 v[92:93], 0x600, v[92:93]
	s_delay_alu instid0(VALU_DEP_1)
	v_dual_cndmask_b32 v93, v95, v93, s0 :: v_dual_cndmask_b32 v92, v94, v92, s0
	global_load_b128 v[92:95], v[92:93], off
	global_store_b32 v[70:71], v86, off offset:384
	s_wait_loadcnt 0x0
	global_store_b128 v[72:73], v[92:95], off offset:1536
	s_wait_xcnt 0x0
	s_or_b32 exec_lo, exec_lo, s15
	s_and_saveexec_b32 s15, s50
	s_cbranch_execz .LBB285_42
.LBB285_103:                            ;   in Loop: Header=BB285_21 Depth=1
	v_add_nc_u64_e32 v[94:95], 0x200, v[62:63]
	v_mov_b32_e32 v53, v3
	s_delay_alu instid0(VALU_DEP_1) | instskip(NEXT) | instid1(VALU_DEP_1)
	v_add_nc_u64_e32 v[92:93], v[74:75], v[52:53]
	v_add_nc_u64_e32 v[92:93], 0x800, v[92:93]
	s_delay_alu instid0(VALU_DEP_1)
	v_dual_cndmask_b32 v93, v95, v93, s0 :: v_dual_cndmask_b32 v92, v94, v92, s0
	global_load_b128 v[92:95], v[92:93], off
	global_store_b32 v[70:71], v87, off offset:512
	s_wait_loadcnt 0x0
	global_store_b128 v[72:73], v[92:95], off offset:2048
	s_wait_xcnt 0x0
	s_or_b32 exec_lo, exec_lo, s15
	s_and_saveexec_b32 s15, s51
	s_cbranch_execz .LBB285_43
.LBB285_104:                            ;   in Loop: Header=BB285_21 Depth=1
	v_add_nc_u64_e32 v[94:95], 0x200, v[60:61]
	v_mov_b32_e32 v53, v3
	s_delay_alu instid0(VALU_DEP_1) | instskip(NEXT) | instid1(VALU_DEP_1)
	v_add_nc_u64_e32 v[92:93], v[74:75], v[52:53]
	v_add_nc_u64_e32 v[92:93], 0xa00, v[92:93]
	s_delay_alu instid0(VALU_DEP_1)
	v_dual_cndmask_b32 v93, v95, v93, s0 :: v_dual_cndmask_b32 v92, v94, v92, s0
	global_load_b128 v[92:95], v[92:93], off
	global_store_b32 v[70:71], v88, off offset:640
	s_wait_loadcnt 0x0
	global_store_b128 v[72:73], v[92:95], off offset:2560
	s_wait_xcnt 0x0
	s_or_b32 exec_lo, exec_lo, s15
	s_and_saveexec_b32 s15, s52
	s_cbranch_execz .LBB285_44
.LBB285_105:                            ;   in Loop: Header=BB285_21 Depth=1
	v_add_nc_u64_e32 v[94:95], 0x200, v[58:59]
	v_mov_b32_e32 v53, v3
	s_delay_alu instid0(VALU_DEP_1) | instskip(NEXT) | instid1(VALU_DEP_1)
	v_add_nc_u64_e32 v[92:93], v[74:75], v[52:53]
	v_add_nc_u64_e32 v[92:93], 0xc00, v[92:93]
	s_delay_alu instid0(VALU_DEP_1)
	v_dual_cndmask_b32 v93, v95, v93, s0 :: v_dual_cndmask_b32 v92, v94, v92, s0
	global_load_b128 v[92:95], v[92:93], off
	global_store_b32 v[70:71], v89, off offset:768
	s_wait_loadcnt 0x0
	global_store_b128 v[72:73], v[92:95], off offset:3072
	s_wait_xcnt 0x0
	s_or_b32 exec_lo, exec_lo, s15
	s_and_saveexec_b32 s15, s53
	s_cbranch_execnz .LBB285_45
	s_branch .LBB285_46
.LBB285_106:                            ;   in Loop: Header=BB285_21 Depth=1
	v_add_nc_u64_e32 v[92:93], 0x400, v[54:55]
	v_mov_b32_e32 v53, v3
	s_delay_alu instid0(VALU_DEP_1) | instskip(NEXT) | instid1(VALU_DEP_1)
	v_add_nc_u64_e32 v[94:95], v[74:75], v[52:53]
	v_dual_cndmask_b32 v93, v93, v95, s0 :: v_dual_cndmask_b32 v92, v92, v94, s0
	global_load_b128 v[92:95], v[92:93], off
	global_store_b32 v[70:71], v83, off
	s_wait_loadcnt 0x0
	global_store_b128 v[72:73], v[92:95], off
	s_wait_xcnt 0x0
	s_or_b32 exec_lo, exec_lo, s15
	s_and_saveexec_b32 s15, s55
	s_cbranch_execz .LBB285_48
.LBB285_107:                            ;   in Loop: Header=BB285_21 Depth=1
	v_add_nc_u64_e32 v[94:95], 0x400, v[68:69]
	v_mov_b32_e32 v53, v3
	s_delay_alu instid0(VALU_DEP_1) | instskip(NEXT) | instid1(VALU_DEP_1)
	v_add_nc_u64_e32 v[92:93], v[74:75], v[52:53]
	v_add_nc_u64_e32 v[92:93], 0x200, v[92:93]
	s_delay_alu instid0(VALU_DEP_1)
	v_dual_cndmask_b32 v93, v95, v93, s0 :: v_dual_cndmask_b32 v92, v94, v92, s0
	global_load_b128 v[92:95], v[92:93], off
	global_store_b32 v[70:71], v84, off offset:128
	s_wait_loadcnt 0x0
	global_store_b128 v[72:73], v[92:95], off offset:512
	s_wait_xcnt 0x0
	s_or_b32 exec_lo, exec_lo, s15
	s_and_saveexec_b32 s15, s56
	s_cbranch_execz .LBB285_49
.LBB285_108:                            ;   in Loop: Header=BB285_21 Depth=1
	v_add_nc_u64_e32 v[94:95], 0x400, v[66:67]
	v_mov_b32_e32 v53, v3
	s_delay_alu instid0(VALU_DEP_1) | instskip(NEXT) | instid1(VALU_DEP_1)
	v_add_nc_u64_e32 v[92:93], v[74:75], v[52:53]
	v_add_nc_u64_e32 v[92:93], 0x400, v[92:93]
	s_delay_alu instid0(VALU_DEP_1)
	v_dual_cndmask_b32 v93, v95, v93, s0 :: v_dual_cndmask_b32 v92, v94, v92, s0
	global_load_b128 v[92:95], v[92:93], off
	global_store_b32 v[70:71], v85, off offset:256
	s_wait_loadcnt 0x0
	global_store_b128 v[72:73], v[92:95], off offset:1024
	s_wait_xcnt 0x0
	s_or_b32 exec_lo, exec_lo, s15
	s_and_saveexec_b32 s15, s57
	s_cbranch_execz .LBB285_50
.LBB285_109:                            ;   in Loop: Header=BB285_21 Depth=1
	v_add_nc_u64_e32 v[94:95], 0x400, v[64:65]
	v_mov_b32_e32 v53, v3
	s_delay_alu instid0(VALU_DEP_1) | instskip(NEXT) | instid1(VALU_DEP_1)
	v_add_nc_u64_e32 v[92:93], v[74:75], v[52:53]
	v_add_nc_u64_e32 v[92:93], 0x600, v[92:93]
	s_delay_alu instid0(VALU_DEP_1)
	v_dual_cndmask_b32 v93, v95, v93, s0 :: v_dual_cndmask_b32 v92, v94, v92, s0
	global_load_b128 v[92:95], v[92:93], off
	global_store_b32 v[70:71], v86, off offset:384
	s_wait_loadcnt 0x0
	global_store_b128 v[72:73], v[92:95], off offset:1536
	s_wait_xcnt 0x0
	s_or_b32 exec_lo, exec_lo, s15
	s_and_saveexec_b32 s15, s58
	s_cbranch_execz .LBB285_51
.LBB285_110:                            ;   in Loop: Header=BB285_21 Depth=1
	v_add_nc_u64_e32 v[94:95], 0x400, v[62:63]
	v_mov_b32_e32 v53, v3
	s_delay_alu instid0(VALU_DEP_1) | instskip(NEXT) | instid1(VALU_DEP_1)
	v_add_nc_u64_e32 v[92:93], v[74:75], v[52:53]
	v_add_nc_u64_e32 v[92:93], 0x800, v[92:93]
	s_delay_alu instid0(VALU_DEP_1)
	v_dual_cndmask_b32 v93, v95, v93, s0 :: v_dual_cndmask_b32 v92, v94, v92, s0
	global_load_b128 v[92:95], v[92:93], off
	global_store_b32 v[70:71], v87, off offset:512
	s_wait_loadcnt 0x0
	global_store_b128 v[72:73], v[92:95], off offset:2048
	s_wait_xcnt 0x0
	s_or_b32 exec_lo, exec_lo, s15
	s_and_saveexec_b32 s15, s59
	s_cbranch_execz .LBB285_52
.LBB285_111:                            ;   in Loop: Header=BB285_21 Depth=1
	v_add_nc_u64_e32 v[94:95], 0x400, v[60:61]
	v_mov_b32_e32 v53, v3
	s_delay_alu instid0(VALU_DEP_1) | instskip(NEXT) | instid1(VALU_DEP_1)
	v_add_nc_u64_e32 v[92:93], v[74:75], v[52:53]
	v_add_nc_u64_e32 v[92:93], 0xa00, v[92:93]
	s_delay_alu instid0(VALU_DEP_1)
	v_dual_cndmask_b32 v93, v95, v93, s0 :: v_dual_cndmask_b32 v92, v94, v92, s0
	global_load_b128 v[92:95], v[92:93], off
	global_store_b32 v[70:71], v88, off offset:640
	s_wait_loadcnt 0x0
	global_store_b128 v[72:73], v[92:95], off offset:2560
	s_wait_xcnt 0x0
	s_or_b32 exec_lo, exec_lo, s15
	s_and_saveexec_b32 s15, s60
	s_cbranch_execz .LBB285_53
.LBB285_112:                            ;   in Loop: Header=BB285_21 Depth=1
	v_add_nc_u64_e32 v[94:95], 0x400, v[58:59]
	v_mov_b32_e32 v53, v3
	s_delay_alu instid0(VALU_DEP_1) | instskip(NEXT) | instid1(VALU_DEP_1)
	v_add_nc_u64_e32 v[92:93], v[74:75], v[52:53]
	v_add_nc_u64_e32 v[92:93], 0xc00, v[92:93]
	s_delay_alu instid0(VALU_DEP_1)
	v_dual_cndmask_b32 v93, v95, v93, s0 :: v_dual_cndmask_b32 v92, v94, v92, s0
	global_load_b128 v[92:95], v[92:93], off
	global_store_b32 v[70:71], v89, off offset:768
	s_wait_loadcnt 0x0
	global_store_b128 v[72:73], v[92:95], off offset:3072
	s_wait_xcnt 0x0
	s_or_b32 exec_lo, exec_lo, s15
	s_and_saveexec_b32 s15, s61
	s_cbranch_execnz .LBB285_54
	s_branch .LBB285_55
.LBB285_113:                            ;   in Loop: Header=BB285_21 Depth=1
	v_add_nc_u64_e32 v[92:93], 0x600, v[54:55]
	v_mov_b32_e32 v53, v3
	s_delay_alu instid0(VALU_DEP_1) | instskip(NEXT) | instid1(VALU_DEP_1)
	v_add_nc_u64_e32 v[94:95], v[74:75], v[52:53]
	v_dual_cndmask_b32 v93, v93, v95, s0 :: v_dual_cndmask_b32 v92, v92, v94, s0
	global_load_b128 v[92:95], v[92:93], off
	global_store_b32 v[70:71], v83, off
	s_wait_loadcnt 0x0
	global_store_b128 v[72:73], v[92:95], off
	s_wait_xcnt 0x0
	s_or_b32 exec_lo, exec_lo, s15
	s_and_saveexec_b32 s15, s63
	s_cbranch_execz .LBB285_57
.LBB285_114:                            ;   in Loop: Header=BB285_21 Depth=1
	v_add_nc_u64_e32 v[94:95], 0x600, v[68:69]
	v_mov_b32_e32 v53, v3
	s_delay_alu instid0(VALU_DEP_1) | instskip(NEXT) | instid1(VALU_DEP_1)
	v_add_nc_u64_e32 v[92:93], v[74:75], v[52:53]
	v_add_nc_u64_e32 v[92:93], 0x200, v[92:93]
	s_delay_alu instid0(VALU_DEP_1)
	v_dual_cndmask_b32 v93, v95, v93, s0 :: v_dual_cndmask_b32 v92, v94, v92, s0
	global_load_b128 v[92:95], v[92:93], off
	global_store_b32 v[70:71], v84, off offset:128
	s_wait_loadcnt 0x0
	global_store_b128 v[72:73], v[92:95], off offset:512
	s_wait_xcnt 0x0
	s_or_b32 exec_lo, exec_lo, s15
	s_and_saveexec_b32 s15, s64
	s_cbranch_execz .LBB285_58
.LBB285_115:                            ;   in Loop: Header=BB285_21 Depth=1
	v_add_nc_u64_e32 v[94:95], 0x600, v[66:67]
	v_mov_b32_e32 v53, v3
	s_delay_alu instid0(VALU_DEP_1) | instskip(NEXT) | instid1(VALU_DEP_1)
	v_add_nc_u64_e32 v[92:93], v[74:75], v[52:53]
	v_add_nc_u64_e32 v[92:93], 0x400, v[92:93]
	s_delay_alu instid0(VALU_DEP_1)
	v_dual_cndmask_b32 v93, v95, v93, s0 :: v_dual_cndmask_b32 v92, v94, v92, s0
	global_load_b128 v[92:95], v[92:93], off
	global_store_b32 v[70:71], v85, off offset:256
	s_wait_loadcnt 0x0
	global_store_b128 v[72:73], v[92:95], off offset:1024
	s_wait_xcnt 0x0
	s_or_b32 exec_lo, exec_lo, s15
	s_and_saveexec_b32 s15, s65
	s_cbranch_execz .LBB285_59
.LBB285_116:                            ;   in Loop: Header=BB285_21 Depth=1
	v_add_nc_u64_e32 v[94:95], 0x600, v[64:65]
	v_mov_b32_e32 v53, v3
	s_delay_alu instid0(VALU_DEP_1) | instskip(NEXT) | instid1(VALU_DEP_1)
	v_add_nc_u64_e32 v[92:93], v[74:75], v[52:53]
	v_add_nc_u64_e32 v[92:93], 0x600, v[92:93]
	s_delay_alu instid0(VALU_DEP_1)
	v_dual_cndmask_b32 v93, v95, v93, s0 :: v_dual_cndmask_b32 v92, v94, v92, s0
	global_load_b128 v[92:95], v[92:93], off
	global_store_b32 v[70:71], v86, off offset:384
	s_wait_loadcnt 0x0
	global_store_b128 v[72:73], v[92:95], off offset:1536
	s_wait_xcnt 0x0
	s_or_b32 exec_lo, exec_lo, s15
	s_and_saveexec_b32 s15, s66
	s_cbranch_execz .LBB285_60
.LBB285_117:                            ;   in Loop: Header=BB285_21 Depth=1
	v_add_nc_u64_e32 v[94:95], 0x600, v[62:63]
	v_mov_b32_e32 v53, v3
	s_delay_alu instid0(VALU_DEP_1) | instskip(NEXT) | instid1(VALU_DEP_1)
	v_add_nc_u64_e32 v[92:93], v[74:75], v[52:53]
	v_add_nc_u64_e32 v[92:93], 0x800, v[92:93]
	s_delay_alu instid0(VALU_DEP_1)
	v_dual_cndmask_b32 v93, v95, v93, s0 :: v_dual_cndmask_b32 v92, v94, v92, s0
	global_load_b128 v[92:95], v[92:93], off
	global_store_b32 v[70:71], v87, off offset:512
	s_wait_loadcnt 0x0
	global_store_b128 v[72:73], v[92:95], off offset:2048
	s_wait_xcnt 0x0
	s_or_b32 exec_lo, exec_lo, s15
	s_and_saveexec_b32 s15, s67
	s_cbranch_execz .LBB285_61
.LBB285_118:                            ;   in Loop: Header=BB285_21 Depth=1
	v_add_nc_u64_e32 v[94:95], 0x600, v[60:61]
	v_mov_b32_e32 v53, v3
	s_delay_alu instid0(VALU_DEP_1) | instskip(NEXT) | instid1(VALU_DEP_1)
	v_add_nc_u64_e32 v[92:93], v[74:75], v[52:53]
	v_add_nc_u64_e32 v[92:93], 0xa00, v[92:93]
	s_delay_alu instid0(VALU_DEP_1)
	v_dual_cndmask_b32 v93, v95, v93, s0 :: v_dual_cndmask_b32 v92, v94, v92, s0
	global_load_b128 v[92:95], v[92:93], off
	global_store_b32 v[70:71], v88, off offset:640
	s_wait_loadcnt 0x0
	global_store_b128 v[72:73], v[92:95], off offset:2560
	s_wait_xcnt 0x0
	s_or_b32 exec_lo, exec_lo, s15
	s_and_saveexec_b32 s15, s68
	s_cbranch_execz .LBB285_62
.LBB285_119:                            ;   in Loop: Header=BB285_21 Depth=1
	v_add_nc_u64_e32 v[94:95], 0x600, v[58:59]
	v_mov_b32_e32 v53, v3
	s_delay_alu instid0(VALU_DEP_1) | instskip(NEXT) | instid1(VALU_DEP_1)
	v_add_nc_u64_e32 v[92:93], v[74:75], v[52:53]
	v_add_nc_u64_e32 v[92:93], 0xc00, v[92:93]
	s_delay_alu instid0(VALU_DEP_1)
	v_dual_cndmask_b32 v93, v95, v93, s0 :: v_dual_cndmask_b32 v92, v94, v92, s0
	global_load_b128 v[92:95], v[92:93], off
	global_store_b32 v[70:71], v89, off offset:768
	s_wait_loadcnt 0x0
	global_store_b128 v[72:73], v[92:95], off offset:3072
	s_wait_xcnt 0x0
	s_or_b32 exec_lo, exec_lo, s15
	s_and_saveexec_b32 s15, s69
	s_cbranch_execnz .LBB285_63
	s_branch .LBB285_64
.LBB285_120:                            ;   in Loop: Header=BB285_21 Depth=1
	v_add_nc_u64_e32 v[92:93], 0x800, v[54:55]
	v_mov_b32_e32 v53, v3
	s_delay_alu instid0(VALU_DEP_1) | instskip(NEXT) | instid1(VALU_DEP_1)
	v_add_nc_u64_e32 v[94:95], v[74:75], v[52:53]
	v_dual_cndmask_b32 v93, v93, v95, s0 :: v_dual_cndmask_b32 v92, v92, v94, s0
	global_load_b128 v[92:95], v[92:93], off
	global_store_b32 v[70:71], v83, off
	s_wait_loadcnt 0x0
	global_store_b128 v[72:73], v[92:95], off
	s_wait_xcnt 0x0
	s_or_b32 exec_lo, exec_lo, s15
	s_and_saveexec_b32 s15, s71
	s_cbranch_execz .LBB285_66
.LBB285_121:                            ;   in Loop: Header=BB285_21 Depth=1
	v_add_nc_u64_e32 v[94:95], 0x800, v[68:69]
	v_mov_b32_e32 v53, v3
	s_delay_alu instid0(VALU_DEP_1) | instskip(NEXT) | instid1(VALU_DEP_1)
	v_add_nc_u64_e32 v[92:93], v[74:75], v[52:53]
	v_add_nc_u64_e32 v[92:93], 0x200, v[92:93]
	s_delay_alu instid0(VALU_DEP_1)
	v_dual_cndmask_b32 v93, v95, v93, s0 :: v_dual_cndmask_b32 v92, v94, v92, s0
	global_load_b128 v[92:95], v[92:93], off
	global_store_b32 v[70:71], v84, off offset:128
	s_wait_loadcnt 0x0
	global_store_b128 v[72:73], v[92:95], off offset:512
	s_wait_xcnt 0x0
	s_or_b32 exec_lo, exec_lo, s15
	s_and_saveexec_b32 s15, s72
	s_cbranch_execz .LBB285_67
.LBB285_122:                            ;   in Loop: Header=BB285_21 Depth=1
	v_add_nc_u64_e32 v[94:95], 0x800, v[66:67]
	v_mov_b32_e32 v53, v3
	s_delay_alu instid0(VALU_DEP_1) | instskip(NEXT) | instid1(VALU_DEP_1)
	v_add_nc_u64_e32 v[92:93], v[74:75], v[52:53]
	v_add_nc_u64_e32 v[92:93], 0x400, v[92:93]
	s_delay_alu instid0(VALU_DEP_1)
	v_dual_cndmask_b32 v93, v95, v93, s0 :: v_dual_cndmask_b32 v92, v94, v92, s0
	global_load_b128 v[92:95], v[92:93], off
	global_store_b32 v[70:71], v85, off offset:256
	s_wait_loadcnt 0x0
	global_store_b128 v[72:73], v[92:95], off offset:1024
	s_wait_xcnt 0x0
	s_or_b32 exec_lo, exec_lo, s15
	s_and_saveexec_b32 s15, s73
	s_cbranch_execz .LBB285_68
.LBB285_123:                            ;   in Loop: Header=BB285_21 Depth=1
	v_add_nc_u64_e32 v[94:95], 0x800, v[64:65]
	v_mov_b32_e32 v53, v3
	s_delay_alu instid0(VALU_DEP_1) | instskip(NEXT) | instid1(VALU_DEP_1)
	v_add_nc_u64_e32 v[92:93], v[74:75], v[52:53]
	v_add_nc_u64_e32 v[92:93], 0x600, v[92:93]
	s_delay_alu instid0(VALU_DEP_1)
	v_dual_cndmask_b32 v93, v95, v93, s0 :: v_dual_cndmask_b32 v92, v94, v92, s0
	global_load_b128 v[92:95], v[92:93], off
	global_store_b32 v[70:71], v86, off offset:384
	s_wait_loadcnt 0x0
	global_store_b128 v[72:73], v[92:95], off offset:1536
	s_wait_xcnt 0x0
	s_or_b32 exec_lo, exec_lo, s15
	s_and_saveexec_b32 s15, s74
	s_cbranch_execz .LBB285_69
.LBB285_124:                            ;   in Loop: Header=BB285_21 Depth=1
	v_add_nc_u64_e32 v[94:95], 0x800, v[62:63]
	v_mov_b32_e32 v53, v3
	s_delay_alu instid0(VALU_DEP_1) | instskip(NEXT) | instid1(VALU_DEP_1)
	v_add_nc_u64_e32 v[92:93], v[74:75], v[52:53]
	v_add_nc_u64_e32 v[92:93], 0x800, v[92:93]
	s_delay_alu instid0(VALU_DEP_1)
	v_dual_cndmask_b32 v93, v95, v93, s0 :: v_dual_cndmask_b32 v92, v94, v92, s0
	global_load_b128 v[92:95], v[92:93], off
	global_store_b32 v[70:71], v87, off offset:512
	s_wait_loadcnt 0x0
	global_store_b128 v[72:73], v[92:95], off offset:2048
	s_wait_xcnt 0x0
	s_or_b32 exec_lo, exec_lo, s15
	s_and_saveexec_b32 s15, s75
	s_cbranch_execz .LBB285_70
.LBB285_125:                            ;   in Loop: Header=BB285_21 Depth=1
	v_add_nc_u64_e32 v[94:95], 0x800, v[60:61]
	v_mov_b32_e32 v53, v3
	s_delay_alu instid0(VALU_DEP_1) | instskip(NEXT) | instid1(VALU_DEP_1)
	v_add_nc_u64_e32 v[92:93], v[74:75], v[52:53]
	v_add_nc_u64_e32 v[92:93], 0xa00, v[92:93]
	s_delay_alu instid0(VALU_DEP_1)
	v_dual_cndmask_b32 v93, v95, v93, s0 :: v_dual_cndmask_b32 v92, v94, v92, s0
	global_load_b128 v[92:95], v[92:93], off
	global_store_b32 v[70:71], v88, off offset:640
	s_wait_loadcnt 0x0
	global_store_b128 v[72:73], v[92:95], off offset:2560
	s_wait_xcnt 0x0
	s_or_b32 exec_lo, exec_lo, s15
	s_and_saveexec_b32 s15, s76
	s_cbranch_execz .LBB285_71
.LBB285_126:                            ;   in Loop: Header=BB285_21 Depth=1
	v_add_nc_u64_e32 v[94:95], 0x800, v[58:59]
	v_mov_b32_e32 v53, v3
	s_delay_alu instid0(VALU_DEP_1) | instskip(NEXT) | instid1(VALU_DEP_1)
	v_add_nc_u64_e32 v[92:93], v[74:75], v[52:53]
	v_add_nc_u64_e32 v[92:93], 0xc00, v[92:93]
	s_delay_alu instid0(VALU_DEP_1)
	v_dual_cndmask_b32 v93, v95, v93, s0 :: v_dual_cndmask_b32 v92, v94, v92, s0
	global_load_b128 v[92:95], v[92:93], off
	global_store_b32 v[70:71], v89, off offset:768
	s_wait_loadcnt 0x0
	global_store_b128 v[72:73], v[92:95], off offset:3072
	s_wait_xcnt 0x0
	s_or_b32 exec_lo, exec_lo, s15
	s_and_saveexec_b32 s15, s8
	s_cbranch_execnz .LBB285_72
	s_branch .LBB285_73
.LBB285_127:                            ;   in Loop: Header=BB285_21 Depth=1
	v_add_nc_u64_e32 v[92:93], 0xa00, v[54:55]
	v_mov_b32_e32 v53, v3
	s_delay_alu instid0(VALU_DEP_1) | instskip(NEXT) | instid1(VALU_DEP_1)
	v_add_nc_u64_e32 v[94:95], v[74:75], v[52:53]
	v_dual_cndmask_b32 v93, v93, v95, s0 :: v_dual_cndmask_b32 v92, v92, v94, s0
	global_load_b128 v[92:95], v[92:93], off
	global_store_b32 v[70:71], v83, off
	s_wait_loadcnt 0x0
	global_store_b128 v[72:73], v[92:95], off
	s_wait_xcnt 0x0
	s_or_b32 exec_lo, exec_lo, s15
	s_and_saveexec_b32 s15, s41
	s_cbranch_execz .LBB285_75
.LBB285_128:                            ;   in Loop: Header=BB285_21 Depth=1
	v_add_nc_u64_e32 v[94:95], 0xa00, v[68:69]
	v_mov_b32_e32 v53, v3
	s_delay_alu instid0(VALU_DEP_1) | instskip(NEXT) | instid1(VALU_DEP_1)
	v_add_nc_u64_e32 v[92:93], v[74:75], v[52:53]
	v_add_nc_u64_e32 v[92:93], 0x200, v[92:93]
	s_delay_alu instid0(VALU_DEP_1)
	v_dual_cndmask_b32 v93, v95, v93, s0 :: v_dual_cndmask_b32 v92, v94, v92, s0
	global_load_b128 v[92:95], v[92:93], off
	global_store_b32 v[70:71], v84, off offset:128
	s_wait_loadcnt 0x0
	global_store_b128 v[72:73], v[92:95], off offset:512
	s_wait_xcnt 0x0
	s_or_b32 exec_lo, exec_lo, s15
	s_and_saveexec_b32 s15, s77
	s_cbranch_execz .LBB285_76
.LBB285_129:                            ;   in Loop: Header=BB285_21 Depth=1
	v_add_nc_u64_e32 v[94:95], 0xa00, v[66:67]
	v_mov_b32_e32 v53, v3
	s_delay_alu instid0(VALU_DEP_1) | instskip(NEXT) | instid1(VALU_DEP_1)
	v_add_nc_u64_e32 v[92:93], v[74:75], v[52:53]
	v_add_nc_u64_e32 v[92:93], 0x400, v[92:93]
	s_delay_alu instid0(VALU_DEP_1)
	v_dual_cndmask_b32 v93, v95, v93, s0 :: v_dual_cndmask_b32 v92, v94, v92, s0
	global_load_b128 v[92:95], v[92:93], off
	global_store_b32 v[70:71], v85, off offset:256
	s_wait_loadcnt 0x0
	global_store_b128 v[72:73], v[92:95], off offset:1024
	s_wait_xcnt 0x0
	s_or_b32 exec_lo, exec_lo, s15
	s_and_saveexec_b32 s15, s78
	s_cbranch_execz .LBB285_77
.LBB285_130:                            ;   in Loop: Header=BB285_21 Depth=1
	v_add_nc_u64_e32 v[94:95], 0xa00, v[64:65]
	v_mov_b32_e32 v53, v3
	s_delay_alu instid0(VALU_DEP_1) | instskip(NEXT) | instid1(VALU_DEP_1)
	v_add_nc_u64_e32 v[92:93], v[74:75], v[52:53]
	v_add_nc_u64_e32 v[92:93], 0x600, v[92:93]
	s_delay_alu instid0(VALU_DEP_1)
	v_dual_cndmask_b32 v93, v95, v93, s0 :: v_dual_cndmask_b32 v92, v94, v92, s0
	global_load_b128 v[92:95], v[92:93], off
	global_store_b32 v[70:71], v86, off offset:384
	s_wait_loadcnt 0x0
	global_store_b128 v[72:73], v[92:95], off offset:1536
	s_wait_xcnt 0x0
	s_or_b32 exec_lo, exec_lo, s15
	s_and_saveexec_b32 s15, s79
	s_cbranch_execz .LBB285_78
.LBB285_131:                            ;   in Loop: Header=BB285_21 Depth=1
	v_add_nc_u64_e32 v[94:95], 0xa00, v[62:63]
	v_mov_b32_e32 v53, v3
	s_delay_alu instid0(VALU_DEP_1) | instskip(NEXT) | instid1(VALU_DEP_1)
	v_add_nc_u64_e32 v[92:93], v[74:75], v[52:53]
	v_add_nc_u64_e32 v[92:93], 0x800, v[92:93]
	s_delay_alu instid0(VALU_DEP_1)
	v_dual_cndmask_b32 v93, v95, v93, s0 :: v_dual_cndmask_b32 v92, v94, v92, s0
	global_load_b128 v[92:95], v[92:93], off
	global_store_b32 v[70:71], v87, off offset:512
	s_wait_loadcnt 0x0
	global_store_b128 v[72:73], v[92:95], off offset:2048
	s_wait_xcnt 0x0
	s_or_b32 exec_lo, exec_lo, s15
	s_and_saveexec_b32 s15, s80
	s_cbranch_execz .LBB285_79
.LBB285_132:                            ;   in Loop: Header=BB285_21 Depth=1
	v_add_nc_u64_e32 v[94:95], 0xa00, v[60:61]
	v_mov_b32_e32 v53, v3
	s_delay_alu instid0(VALU_DEP_1) | instskip(NEXT) | instid1(VALU_DEP_1)
	v_add_nc_u64_e32 v[92:93], v[74:75], v[52:53]
	v_add_nc_u64_e32 v[92:93], 0xa00, v[92:93]
	s_delay_alu instid0(VALU_DEP_1)
	v_dual_cndmask_b32 v93, v95, v93, s0 :: v_dual_cndmask_b32 v92, v94, v92, s0
	global_load_b128 v[92:95], v[92:93], off
	global_store_b32 v[70:71], v88, off offset:640
	s_wait_loadcnt 0x0
	global_store_b128 v[72:73], v[92:95], off offset:2560
	s_wait_xcnt 0x0
	s_or_b32 exec_lo, exec_lo, s15
	s_and_saveexec_b32 s15, s81
	s_cbranch_execz .LBB285_80
.LBB285_133:                            ;   in Loop: Header=BB285_21 Depth=1
	v_add_nc_u64_e32 v[94:95], 0xa00, v[58:59]
	v_mov_b32_e32 v53, v3
	s_delay_alu instid0(VALU_DEP_1) | instskip(NEXT) | instid1(VALU_DEP_1)
	v_add_nc_u64_e32 v[92:93], v[74:75], v[52:53]
	v_add_nc_u64_e32 v[92:93], 0xc00, v[92:93]
	s_delay_alu instid0(VALU_DEP_1)
	v_dual_cndmask_b32 v93, v95, v93, s0 :: v_dual_cndmask_b32 v92, v94, v92, s0
	global_load_b128 v[92:95], v[92:93], off
	global_store_b32 v[70:71], v89, off offset:768
	s_wait_loadcnt 0x0
	global_store_b128 v[72:73], v[92:95], off offset:3072
	s_wait_xcnt 0x0
	s_or_b32 exec_lo, exec_lo, s15
	s_and_saveexec_b32 s15, s82
	s_cbranch_execnz .LBB285_81
	s_branch .LBB285_82
.LBB285_134:                            ;   in Loop: Header=BB285_21 Depth=1
	v_add_nc_u64_e32 v[92:93], 0xc00, v[54:55]
	v_mov_b32_e32 v53, v3
	s_delay_alu instid0(VALU_DEP_1) | instskip(NEXT) | instid1(VALU_DEP_1)
	v_add_nc_u64_e32 v[94:95], v[74:75], v[52:53]
	v_dual_cndmask_b32 v93, v93, v95, s0 :: v_dual_cndmask_b32 v92, v92, v94, s0
	global_load_b128 v[92:95], v[92:93], off
	global_store_b32 v[70:71], v83, off
	s_wait_loadcnt 0x0
	global_store_b128 v[72:73], v[92:95], off
	s_wait_xcnt 0x0
	s_or_b32 exec_lo, exec_lo, s15
	s_and_saveexec_b32 s15, s84
	s_cbranch_execz .LBB285_84
.LBB285_135:                            ;   in Loop: Header=BB285_21 Depth=1
	v_add_nc_u64_e32 v[94:95], 0xc00, v[68:69]
	v_mov_b32_e32 v53, v3
	s_delay_alu instid0(VALU_DEP_1) | instskip(NEXT) | instid1(VALU_DEP_1)
	v_add_nc_u64_e32 v[92:93], v[74:75], v[52:53]
	v_add_nc_u64_e32 v[92:93], 0x200, v[92:93]
	s_delay_alu instid0(VALU_DEP_1)
	v_dual_cndmask_b32 v93, v95, v93, s0 :: v_dual_cndmask_b32 v92, v94, v92, s0
	global_load_b128 v[92:95], v[92:93], off
	global_store_b32 v[70:71], v84, off offset:128
	s_wait_loadcnt 0x0
	global_store_b128 v[72:73], v[92:95], off offset:512
	s_wait_xcnt 0x0
	s_or_b32 exec_lo, exec_lo, s15
	s_and_saveexec_b32 s15, s85
	s_cbranch_execz .LBB285_85
.LBB285_136:                            ;   in Loop: Header=BB285_21 Depth=1
	v_add_nc_u64_e32 v[94:95], 0xc00, v[66:67]
	v_mov_b32_e32 v53, v3
	s_delay_alu instid0(VALU_DEP_1) | instskip(NEXT) | instid1(VALU_DEP_1)
	v_add_nc_u64_e32 v[92:93], v[74:75], v[52:53]
	v_add_nc_u64_e32 v[92:93], 0x400, v[92:93]
	s_delay_alu instid0(VALU_DEP_1)
	v_dual_cndmask_b32 v93, v95, v93, s0 :: v_dual_cndmask_b32 v92, v94, v92, s0
	global_load_b128 v[92:95], v[92:93], off
	global_store_b32 v[70:71], v85, off offset:256
	s_wait_loadcnt 0x0
	global_store_b128 v[72:73], v[92:95], off offset:1024
	s_wait_xcnt 0x0
	s_or_b32 exec_lo, exec_lo, s15
	s_and_saveexec_b32 s15, s86
	s_cbranch_execz .LBB285_86
.LBB285_137:                            ;   in Loop: Header=BB285_21 Depth=1
	v_add_nc_u64_e32 v[94:95], 0xc00, v[64:65]
	v_mov_b32_e32 v53, v3
	s_delay_alu instid0(VALU_DEP_1) | instskip(NEXT) | instid1(VALU_DEP_1)
	v_add_nc_u64_e32 v[92:93], v[74:75], v[52:53]
	v_add_nc_u64_e32 v[92:93], 0x600, v[92:93]
	s_delay_alu instid0(VALU_DEP_1)
	v_dual_cndmask_b32 v93, v95, v93, s0 :: v_dual_cndmask_b32 v92, v94, v92, s0
	global_load_b128 v[92:95], v[92:93], off
	global_store_b32 v[70:71], v86, off offset:384
	s_wait_loadcnt 0x0
	global_store_b128 v[72:73], v[92:95], off offset:1536
	s_wait_xcnt 0x0
	s_or_b32 exec_lo, exec_lo, s15
	s_and_saveexec_b32 s15, s87
	s_cbranch_execz .LBB285_87
.LBB285_138:                            ;   in Loop: Header=BB285_21 Depth=1
	v_add_nc_u64_e32 v[94:95], 0xc00, v[62:63]
	v_mov_b32_e32 v53, v3
	s_delay_alu instid0(VALU_DEP_1) | instskip(NEXT) | instid1(VALU_DEP_1)
	v_add_nc_u64_e32 v[92:93], v[74:75], v[52:53]
	v_add_nc_u64_e32 v[92:93], 0x800, v[92:93]
	s_delay_alu instid0(VALU_DEP_1)
	v_dual_cndmask_b32 v93, v95, v93, s0 :: v_dual_cndmask_b32 v92, v94, v92, s0
	global_load_b128 v[92:95], v[92:93], off
	global_store_b32 v[70:71], v87, off offset:512
	s_wait_loadcnt 0x0
	global_store_b128 v[72:73], v[92:95], off offset:2048
	s_wait_xcnt 0x0
	s_or_b32 exec_lo, exec_lo, s15
	s_and_saveexec_b32 s15, s88
	s_cbranch_execz .LBB285_88
.LBB285_139:                            ;   in Loop: Header=BB285_21 Depth=1
	v_add_nc_u64_e32 v[94:95], 0xc00, v[60:61]
	v_mov_b32_e32 v53, v3
	s_delay_alu instid0(VALU_DEP_1) | instskip(NEXT) | instid1(VALU_DEP_1)
	v_add_nc_u64_e32 v[92:93], v[74:75], v[52:53]
	v_add_nc_u64_e32 v[92:93], 0xa00, v[92:93]
	s_delay_alu instid0(VALU_DEP_1)
	v_dual_cndmask_b32 v93, v95, v93, s0 :: v_dual_cndmask_b32 v92, v94, v92, s0
	global_load_b128 v[92:95], v[92:93], off
	global_store_b32 v[70:71], v88, off offset:640
	s_wait_loadcnt 0x0
	global_store_b128 v[72:73], v[92:95], off offset:2560
	s_wait_xcnt 0x0
	s_or_b32 exec_lo, exec_lo, s15
	s_and_saveexec_b32 s15, s89
	s_cbranch_execz .LBB285_89
.LBB285_140:                            ;   in Loop: Header=BB285_21 Depth=1
	v_add_nc_u64_e32 v[94:95], 0xc00, v[58:59]
	v_mov_b32_e32 v53, v3
	s_delay_alu instid0(VALU_DEP_1) | instskip(NEXT) | instid1(VALU_DEP_1)
	v_add_nc_u64_e32 v[92:93], v[74:75], v[52:53]
	v_add_nc_u64_e32 v[92:93], 0xc00, v[92:93]
	s_delay_alu instid0(VALU_DEP_1)
	v_dual_cndmask_b32 v93, v95, v93, s0 :: v_dual_cndmask_b32 v92, v94, v92, s0
	global_load_b128 v[92:95], v[92:93], off
	global_store_b32 v[70:71], v89, off offset:768
	s_wait_loadcnt 0x0
	global_store_b128 v[72:73], v[92:95], off offset:3072
	s_wait_xcnt 0x0
	s_or_b32 exec_lo, exec_lo, s15
	s_and_saveexec_b32 s15, s90
	s_cbranch_execnz .LBB285_90
	s_branch .LBB285_91
.LBB285_141:                            ;   in Loop: Header=BB285_21 Depth=1
	v_add_nc_u64_e32 v[54:55], 0xe00, v[54:55]
	v_mov_b32_e32 v53, v3
	s_delay_alu instid0(VALU_DEP_1) | instskip(NEXT) | instid1(VALU_DEP_1)
	v_add_nc_u64_e32 v[92:93], v[74:75], v[52:53]
	v_dual_cndmask_b32 v55, v55, v93, s0 :: v_dual_cndmask_b32 v54, v54, v92, s0
	global_load_b128 v[92:95], v[54:55], off
	global_store_b32 v[70:71], v83, off
	s_wait_loadcnt 0x0
	global_store_b128 v[72:73], v[92:95], off
	s_wait_xcnt 0x0
	s_or_b32 exec_lo, exec_lo, s4
	s_and_saveexec_b32 s4, s1
	s_cbranch_execz .LBB285_93
.LBB285_142:                            ;   in Loop: Header=BB285_21 Depth=1
	v_add_nc_u64_e32 v[68:69], 0xe00, v[68:69]
	v_mov_b32_e32 v53, v3
	s_delay_alu instid0(VALU_DEP_1) | instskip(NEXT) | instid1(VALU_DEP_1)
	v_add_nc_u64_e32 v[54:55], v[74:75], v[52:53]
	v_add_nc_u64_e32 v[54:55], 0x200, v[54:55]
	s_delay_alu instid0(VALU_DEP_1)
	v_dual_cndmask_b32 v55, v69, v55, s0 :: v_dual_cndmask_b32 v54, v68, v54, s0
	global_load_b128 v[92:95], v[54:55], off
	global_store_b32 v[70:71], v84, off offset:128
	s_wait_loadcnt 0x0
	global_store_b128 v[72:73], v[92:95], off offset:512
	s_wait_xcnt 0x0
	s_or_b32 exec_lo, exec_lo, s4
	s_and_saveexec_b32 s4, s10
	s_cbranch_execz .LBB285_94
.LBB285_143:                            ;   in Loop: Header=BB285_21 Depth=1
	v_add_nc_u64_e32 v[66:67], 0xe00, v[66:67]
	v_mov_b32_e32 v53, v3
	s_delay_alu instid0(VALU_DEP_1) | instskip(NEXT) | instid1(VALU_DEP_1)
	v_add_nc_u64_e32 v[54:55], v[74:75], v[52:53]
	v_add_nc_u64_e32 v[54:55], 0x400, v[54:55]
	s_delay_alu instid0(VALU_DEP_1)
	v_dual_cndmask_b32 v55, v67, v55, s0 :: v_dual_cndmask_b32 v54, v66, v54, s0
	global_load_b128 v[66:69], v[54:55], off
	global_store_b32 v[70:71], v85, off offset:256
	s_wait_loadcnt 0x0
	global_store_b128 v[72:73], v[66:69], off offset:1024
	s_wait_xcnt 0x0
	s_or_b32 exec_lo, exec_lo, s4
	s_and_saveexec_b32 s4, s11
	s_cbranch_execz .LBB285_95
.LBB285_144:                            ;   in Loop: Header=BB285_21 Depth=1
	v_add_nc_u64_e32 v[64:65], 0xe00, v[64:65]
	v_mov_b32_e32 v53, v3
	s_delay_alu instid0(VALU_DEP_1) | instskip(NEXT) | instid1(VALU_DEP_1)
	v_add_nc_u64_e32 v[54:55], v[74:75], v[52:53]
	v_add_nc_u64_e32 v[54:55], 0x600, v[54:55]
	s_delay_alu instid0(VALU_DEP_1)
	v_dual_cndmask_b32 v55, v65, v55, s0 :: v_dual_cndmask_b32 v54, v64, v54, s0
	global_load_b128 v[64:67], v[54:55], off
	global_store_b32 v[70:71], v86, off offset:384
	s_wait_loadcnt 0x0
	global_store_b128 v[72:73], v[64:67], off offset:1536
	s_wait_xcnt 0x0
	s_or_b32 exec_lo, exec_lo, s4
	s_and_saveexec_b32 s4, s12
	s_cbranch_execz .LBB285_96
.LBB285_145:                            ;   in Loop: Header=BB285_21 Depth=1
	v_add_nc_u64_e32 v[62:63], 0xe00, v[62:63]
	v_mov_b32_e32 v53, v3
	s_delay_alu instid0(VALU_DEP_1) | instskip(NEXT) | instid1(VALU_DEP_1)
	v_add_nc_u64_e32 v[54:55], v[74:75], v[52:53]
	v_add_nc_u64_e32 v[54:55], 0x800, v[54:55]
	s_delay_alu instid0(VALU_DEP_1)
	v_dual_cndmask_b32 v55, v63, v55, s0 :: v_dual_cndmask_b32 v54, v62, v54, s0
	global_load_b128 v[62:65], v[54:55], off
	global_store_b32 v[70:71], v87, off offset:512
	s_wait_loadcnt 0x0
	global_store_b128 v[72:73], v[62:65], off offset:2048
	s_wait_xcnt 0x0
	s_or_b32 exec_lo, exec_lo, s4
	s_and_saveexec_b32 s4, s13
	s_cbranch_execz .LBB285_97
.LBB285_146:                            ;   in Loop: Header=BB285_21 Depth=1
	v_add_nc_u64_e32 v[60:61], 0xe00, v[60:61]
	v_mov_b32_e32 v53, v3
	s_delay_alu instid0(VALU_DEP_1) | instskip(NEXT) | instid1(VALU_DEP_1)
	v_add_nc_u64_e32 v[54:55], v[74:75], v[52:53]
	v_add_nc_u64_e32 v[54:55], 0xa00, v[54:55]
	s_delay_alu instid0(VALU_DEP_1)
	v_dual_cndmask_b32 v55, v61, v55, s0 :: v_dual_cndmask_b32 v54, v60, v54, s0
	global_load_b128 v[60:63], v[54:55], off
	global_store_b32 v[70:71], v88, off offset:640
	s_wait_loadcnt 0x0
	global_store_b128 v[72:73], v[60:63], off offset:2560
	s_wait_xcnt 0x0
	s_or_b32 exec_lo, exec_lo, s4
	s_and_saveexec_b32 s4, s14
	s_cbranch_execz .LBB285_98
.LBB285_147:                            ;   in Loop: Header=BB285_21 Depth=1
	v_add_nc_u64_e32 v[58:59], 0xe00, v[58:59]
	v_mov_b32_e32 v53, v3
	s_delay_alu instid0(VALU_DEP_1) | instskip(NEXT) | instid1(VALU_DEP_1)
	v_add_nc_u64_e32 v[54:55], v[74:75], v[52:53]
	v_add_nc_u64_e32 v[54:55], 0xc00, v[54:55]
	s_delay_alu instid0(VALU_DEP_1)
	v_dual_cndmask_b32 v55, v59, v55, s0 :: v_dual_cndmask_b32 v54, v58, v54, s0
	global_load_b128 v[58:61], v[54:55], off
	global_store_b32 v[70:71], v89, off offset:768
	s_wait_loadcnt 0x0
	global_store_b128 v[72:73], v[58:61], off offset:3072
	s_wait_xcnt 0x0
	s_or_b32 exec_lo, exec_lo, s4
	s_and_saveexec_b32 s4, s9
	s_cbranch_execz .LBB285_20
.LBB285_148:                            ;   in Loop: Header=BB285_21 Depth=1
	v_add_nc_u64_e32 v[54:55], 0xe00, v[56:57]
	v_mov_b32_e32 v53, v3
	s_delay_alu instid0(VALU_DEP_1) | instskip(NEXT) | instid1(VALU_DEP_1)
	v_add_nc_u64_e32 v[52:53], v[74:75], v[52:53]
	v_add_nc_u64_e32 v[52:53], 0xe00, v[52:53]
	s_delay_alu instid0(VALU_DEP_1)
	v_dual_cndmask_b32 v53, v55, v53, s0 :: v_dual_cndmask_b32 v52, v54, v52, s0
	global_load_b128 v[52:55], v[52:53], off
	global_store_b32 v[70:71], v90, off offset:896
	s_wait_loadcnt 0x0
	global_store_b128 v[72:73], v[52:55], off offset:3584
	s_branch .LBB285_20
.LBB285_149:
	s_sendmsg sendmsg(MSG_DEALLOC_VGPRS)
	s_endpgm
	.section	.rodata,"a",@progbits
	.p2align	6, 0x0
	.amdhsa_kernel _ZN9rocsparseL35bsr2csr_block_per_row_33_256_kernelILj1024ELj256ELj32E21rocsparse_complex_numIdEliEEv20rocsparse_direction_T4_S4_21rocsparse_index_base_PKT2_PKT3_PKS4_S4_S5_PS6_PS9_PS4_
		.amdhsa_group_segment_fixed_size 0
		.amdhsa_private_segment_fixed_size 0
		.amdhsa_kernarg_size 72
		.amdhsa_user_sgpr_count 2
		.amdhsa_user_sgpr_dispatch_ptr 0
		.amdhsa_user_sgpr_queue_ptr 0
		.amdhsa_user_sgpr_kernarg_segment_ptr 1
		.amdhsa_user_sgpr_dispatch_id 0
		.amdhsa_user_sgpr_kernarg_preload_length 0
		.amdhsa_user_sgpr_kernarg_preload_offset 0
		.amdhsa_user_sgpr_private_segment_size 0
		.amdhsa_wavefront_size32 1
		.amdhsa_uses_dynamic_stack 0
		.amdhsa_enable_private_segment 0
		.amdhsa_system_sgpr_workgroup_id_x 1
		.amdhsa_system_sgpr_workgroup_id_y 0
		.amdhsa_system_sgpr_workgroup_id_z 0
		.amdhsa_system_sgpr_workgroup_info 0
		.amdhsa_system_vgpr_workitem_id 0
		.amdhsa_next_free_vgpr 96
		.amdhsa_next_free_sgpr 93
		.amdhsa_named_barrier_count 0
		.amdhsa_reserve_vcc 1
		.amdhsa_float_round_mode_32 0
		.amdhsa_float_round_mode_16_64 0
		.amdhsa_float_denorm_mode_32 3
		.amdhsa_float_denorm_mode_16_64 3
		.amdhsa_fp16_overflow 0
		.amdhsa_memory_ordered 1
		.amdhsa_forward_progress 1
		.amdhsa_inst_pref_size 72
		.amdhsa_round_robin_scheduling 0
		.amdhsa_exception_fp_ieee_invalid_op 0
		.amdhsa_exception_fp_denorm_src 0
		.amdhsa_exception_fp_ieee_div_zero 0
		.amdhsa_exception_fp_ieee_overflow 0
		.amdhsa_exception_fp_ieee_underflow 0
		.amdhsa_exception_fp_ieee_inexact 0
		.amdhsa_exception_int_div_zero 0
	.end_amdhsa_kernel
	.section	.text._ZN9rocsparseL35bsr2csr_block_per_row_33_256_kernelILj1024ELj256ELj32E21rocsparse_complex_numIdEliEEv20rocsparse_direction_T4_S4_21rocsparse_index_base_PKT2_PKT3_PKS4_S4_S5_PS6_PS9_PS4_,"axG",@progbits,_ZN9rocsparseL35bsr2csr_block_per_row_33_256_kernelILj1024ELj256ELj32E21rocsparse_complex_numIdEliEEv20rocsparse_direction_T4_S4_21rocsparse_index_base_PKT2_PKT3_PKS4_S4_S5_PS6_PS9_PS4_,comdat
.Lfunc_end285:
	.size	_ZN9rocsparseL35bsr2csr_block_per_row_33_256_kernelILj1024ELj256ELj32E21rocsparse_complex_numIdEliEEv20rocsparse_direction_T4_S4_21rocsparse_index_base_PKT2_PKT3_PKS4_S4_S5_PS6_PS9_PS4_, .Lfunc_end285-_ZN9rocsparseL35bsr2csr_block_per_row_33_256_kernelILj1024ELj256ELj32E21rocsparse_complex_numIdEliEEv20rocsparse_direction_T4_S4_21rocsparse_index_base_PKT2_PKT3_PKS4_S4_S5_PS6_PS9_PS4_
                                        ; -- End function
	.set _ZN9rocsparseL35bsr2csr_block_per_row_33_256_kernelILj1024ELj256ELj32E21rocsparse_complex_numIdEliEEv20rocsparse_direction_T4_S4_21rocsparse_index_base_PKT2_PKT3_PKS4_S4_S5_PS6_PS9_PS4_.num_vgpr, 96
	.set _ZN9rocsparseL35bsr2csr_block_per_row_33_256_kernelILj1024ELj256ELj32E21rocsparse_complex_numIdEliEEv20rocsparse_direction_T4_S4_21rocsparse_index_base_PKT2_PKT3_PKS4_S4_S5_PS6_PS9_PS4_.num_agpr, 0
	.set _ZN9rocsparseL35bsr2csr_block_per_row_33_256_kernelILj1024ELj256ELj32E21rocsparse_complex_numIdEliEEv20rocsparse_direction_T4_S4_21rocsparse_index_base_PKT2_PKT3_PKS4_S4_S5_PS6_PS9_PS4_.numbered_sgpr, 93
	.set _ZN9rocsparseL35bsr2csr_block_per_row_33_256_kernelILj1024ELj256ELj32E21rocsparse_complex_numIdEliEEv20rocsparse_direction_T4_S4_21rocsparse_index_base_PKT2_PKT3_PKS4_S4_S5_PS6_PS9_PS4_.num_named_barrier, 0
	.set _ZN9rocsparseL35bsr2csr_block_per_row_33_256_kernelILj1024ELj256ELj32E21rocsparse_complex_numIdEliEEv20rocsparse_direction_T4_S4_21rocsparse_index_base_PKT2_PKT3_PKS4_S4_S5_PS6_PS9_PS4_.private_seg_size, 0
	.set _ZN9rocsparseL35bsr2csr_block_per_row_33_256_kernelILj1024ELj256ELj32E21rocsparse_complex_numIdEliEEv20rocsparse_direction_T4_S4_21rocsparse_index_base_PKT2_PKT3_PKS4_S4_S5_PS6_PS9_PS4_.uses_vcc, 1
	.set _ZN9rocsparseL35bsr2csr_block_per_row_33_256_kernelILj1024ELj256ELj32E21rocsparse_complex_numIdEliEEv20rocsparse_direction_T4_S4_21rocsparse_index_base_PKT2_PKT3_PKS4_S4_S5_PS6_PS9_PS4_.uses_flat_scratch, 0
	.set _ZN9rocsparseL35bsr2csr_block_per_row_33_256_kernelILj1024ELj256ELj32E21rocsparse_complex_numIdEliEEv20rocsparse_direction_T4_S4_21rocsparse_index_base_PKT2_PKT3_PKS4_S4_S5_PS6_PS9_PS4_.has_dyn_sized_stack, 0
	.set _ZN9rocsparseL35bsr2csr_block_per_row_33_256_kernelILj1024ELj256ELj32E21rocsparse_complex_numIdEliEEv20rocsparse_direction_T4_S4_21rocsparse_index_base_PKT2_PKT3_PKS4_S4_S5_PS6_PS9_PS4_.has_recursion, 0
	.set _ZN9rocsparseL35bsr2csr_block_per_row_33_256_kernelILj1024ELj256ELj32E21rocsparse_complex_numIdEliEEv20rocsparse_direction_T4_S4_21rocsparse_index_base_PKT2_PKT3_PKS4_S4_S5_PS6_PS9_PS4_.has_indirect_call, 0
	.section	.AMDGPU.csdata,"",@progbits
; Kernel info:
; codeLenInByte = 9152
; TotalNumSgprs: 95
; NumVgprs: 96
; ScratchSize: 0
; MemoryBound: 0
; FloatMode: 240
; IeeeMode: 1
; LDSByteSize: 0 bytes/workgroup (compile time only)
; SGPRBlocks: 0
; VGPRBlocks: 5
; NumSGPRsForWavesPerEU: 95
; NumVGPRsForWavesPerEU: 96
; NamedBarCnt: 0
; Occupancy: 10
; WaveLimiterHint : 1
; COMPUTE_PGM_RSRC2:SCRATCH_EN: 0
; COMPUTE_PGM_RSRC2:USER_SGPR: 2
; COMPUTE_PGM_RSRC2:TRAP_HANDLER: 0
; COMPUTE_PGM_RSRC2:TGID_X_EN: 1
; COMPUTE_PGM_RSRC2:TGID_Y_EN: 0
; COMPUTE_PGM_RSRC2:TGID_Z_EN: 0
; COMPUTE_PGM_RSRC2:TIDIG_COMP_CNT: 0
	.section	.text._ZN9rocsparseL35bsr2csr_block_dim_equals_one_kernelILj1024E21rocsparse_complex_numIdEilEEvT2_S3_21rocsparse_index_base_PKT0_PKT1_PKS3_S4_PS5_PS8_PS3_,"axG",@progbits,_ZN9rocsparseL35bsr2csr_block_dim_equals_one_kernelILj1024E21rocsparse_complex_numIdEilEEvT2_S3_21rocsparse_index_base_PKT0_PKT1_PKS3_S4_PS5_PS8_PS3_,comdat
	.globl	_ZN9rocsparseL35bsr2csr_block_dim_equals_one_kernelILj1024E21rocsparse_complex_numIdEilEEvT2_S3_21rocsparse_index_base_PKT0_PKT1_PKS3_S4_PS5_PS8_PS3_ ; -- Begin function _ZN9rocsparseL35bsr2csr_block_dim_equals_one_kernelILj1024E21rocsparse_complex_numIdEilEEvT2_S3_21rocsparse_index_base_PKT0_PKT1_PKS3_S4_PS5_PS8_PS3_
	.p2align	8
	.type	_ZN9rocsparseL35bsr2csr_block_dim_equals_one_kernelILj1024E21rocsparse_complex_numIdEilEEvT2_S3_21rocsparse_index_base_PKT0_PKT1_PKS3_S4_PS5_PS8_PS3_,@function
_ZN9rocsparseL35bsr2csr_block_dim_equals_one_kernelILj1024E21rocsparse_complex_numIdEilEEvT2_S3_21rocsparse_index_base_PKT0_PKT1_PKS3_S4_PS5_PS8_PS3_: ; @_ZN9rocsparseL35bsr2csr_block_dim_equals_one_kernelILj1024E21rocsparse_complex_numIdEilEEvT2_S3_21rocsparse_index_base_PKT0_PKT1_PKS3_S4_PS5_PS8_PS3_
; %bb.0:
	s_clause 0x3
	s_load_b32 s2, s[0:1], 0x10
	s_load_b64 s[16:17], s[0:1], 0x20
	s_load_b32 s4, s[0:1], 0x30
	s_load_b64 s[12:13], s[0:1], 0x0
	s_bfe_u32 s3, ttmp6, 0x4000c
	s_and_b32 s5, ttmp6, 15
	s_add_co_i32 s3, s3, 1
	s_getreg_b32 s6, hwreg(HW_REG_IB_STS2, 6, 4)
	s_mul_i32 s3, ttmp9, s3
	v_mov_b32_e32 v1, 0
	s_add_co_i32 s5, s5, s3
	s_cmp_eq_u32 s6, 0
	s_cselect_b32 s3, ttmp9, s5
	s_delay_alu instid0(SALU_CYCLE_1) | instskip(SKIP_2) | instid1(VALU_DEP_1)
	v_lshl_or_b32 v0, s3, 10, v0
	s_mov_b32 s3, exec_lo
	s_wait_kmcnt 0x0
	v_cmpx_gt_i64_e64 s[12:13], v[0:1]
	s_cbranch_execz .LBB286_6
; %bb.1:
	s_mov_b32 s5, exec_lo
                                        ; implicit-def: $sgpr8
	v_cmpx_ne_u32_e32 0, v0
	s_xor_b32 s5, exec_lo, s5
; %bb.2:
	s_sub_co_i32 s8, s4, s2
; %bb.3:
	s_or_saveexec_b32 s5, s5
	s_load_b64 s[6:7], s[0:1], 0x40
	v_mov_b32_e32 v2, s8
	s_xor_b32 exec_lo, exec_lo, s5
	s_cbranch_execz .LBB286_5
; %bb.4:
	s_load_b32 s8, s[16:17], 0x0
	s_sub_co_i32 s9, s4, s2
	s_delay_alu instid0(SALU_CYCLE_1) | instskip(SKIP_2) | instid1(SALU_CYCLE_1)
	v_mov_b32_e32 v2, s9
	s_wait_kmcnt 0x0
	s_add_co_i32 s8, s9, s8
	v_dual_mov_b32 v3, 0 :: v_dual_mov_b32 v4, s8
	global_store_b32 v3, v4, s[6:7]
.LBB286_5:
	s_wait_xcnt 0x0
	s_or_b32 exec_lo, exec_lo, s5
	v_lshlrev_b64_e32 v[4:5], 2, v[0:1]
	s_delay_alu instid0(VALU_DEP_1)
	v_add_nc_u64_e32 v[6:7], s[16:17], v[4:5]
	s_wait_kmcnt 0x0
	v_add_nc_u64_e32 v[4:5], s[6:7], v[4:5]
	global_load_b32 v3, v[6:7], off offset:4
	s_wait_loadcnt 0x0
	v_add_nc_u32_e32 v2, v2, v3
	global_store_b32 v[4:5], v2, off offset:4
.LBB286_6:
	s_wait_xcnt 0x0
	s_or_b32 exec_lo, exec_lo, s3
	s_lshl_b64 s[12:13], s[12:13], 2
	s_clause 0x3
	s_load_b64 s[6:7], s[0:1], 0x48
	s_load_b64 s[8:9], s[0:1], 0x18
	;; [unrolled: 1-line block ×4, first 2 shown]
	s_add_nc_u64 s[12:13], s[16:17], s[12:13]
	s_clause 0x1
	s_load_b32 s3, s[12:13], 0x0
	s_load_b32 s5, s[16:17], 0x0
	s_wait_kmcnt 0x0
	s_sub_co_i32 s12, s3, s5
	s_mov_b32 s3, exec_lo
	s_ashr_i32 s13, s12, 31
	s_delay_alu instid0(SALU_CYCLE_1)
	v_cmpx_gt_i64_e64 s[12:13], v[0:1]
	s_cbranch_execz .LBB286_9
; %bb.7:
	s_load_b32 s16, s[0:1], 0x50
	s_mov_b32 s3, 0
	v_lshlrev_b64_e32 v[2:3], 4, v[0:1]
	v_lshlrev_b64_e32 v[4:5], 3, v[0:1]
	s_mov_b32 s5, s3
	s_mov_b32 s18, s3
	s_wait_xcnt 0x0
	s_sub_nc_u64 s[0:1], s[4:5], s[2:3]
	s_wait_kmcnt 0x0
	s_lshl_b32 s2, s16, 10
	s_delay_alu instid0(SALU_CYCLE_1)
	s_lshl_b64 s[4:5], s[2:3], 4
	s_lshl_b64 s[16:17], s[2:3], 3
.LBB286_8:                              ; =>This Inner Loop Header: Depth=1
	v_add_nc_u64_e32 v[10:11], s[10:11], v[4:5]
	v_add_nc_u64_e32 v[12:13], s[8:9], v[2:3]
	;; [unrolled: 1-line block ×3, first 2 shown]
	global_load_b64 v[14:15], v[10:11], off
	global_load_b128 v[6:9], v[12:13], off
	s_wait_xcnt 0x1
	v_add_nc_u64_e32 v[10:11], s[6:7], v[4:5]
	v_cmp_le_i64_e32 vcc_lo, s[12:13], v[0:1]
	s_wait_xcnt 0x0
	v_add_nc_u64_e32 v[12:13], s[14:15], v[2:3]
	v_add_nc_u64_e32 v[2:3], s[4:5], v[2:3]
	;; [unrolled: 1-line block ×3, first 2 shown]
	s_or_b32 s18, vcc_lo, s18
	s_wait_loadcnt 0x1
	v_add_nc_u64_e32 v[14:15], s[0:1], v[14:15]
	s_wait_loadcnt 0x0
	global_store_b128 v[12:13], v[6:9], off
	global_store_b64 v[10:11], v[14:15], off
	s_wait_xcnt 0x0
	s_and_not1_b32 exec_lo, exec_lo, s18
	s_cbranch_execnz .LBB286_8
.LBB286_9:
	s_endpgm
	.section	.rodata,"a",@progbits
	.p2align	6, 0x0
	.amdhsa_kernel _ZN9rocsparseL35bsr2csr_block_dim_equals_one_kernelILj1024E21rocsparse_complex_numIdEilEEvT2_S3_21rocsparse_index_base_PKT0_PKT1_PKS3_S4_PS5_PS8_PS3_
		.amdhsa_group_segment_fixed_size 0
		.amdhsa_private_segment_fixed_size 0
		.amdhsa_kernarg_size 336
		.amdhsa_user_sgpr_count 2
		.amdhsa_user_sgpr_dispatch_ptr 0
		.amdhsa_user_sgpr_queue_ptr 0
		.amdhsa_user_sgpr_kernarg_segment_ptr 1
		.amdhsa_user_sgpr_dispatch_id 0
		.amdhsa_user_sgpr_kernarg_preload_length 0
		.amdhsa_user_sgpr_kernarg_preload_offset 0
		.amdhsa_user_sgpr_private_segment_size 0
		.amdhsa_wavefront_size32 1
		.amdhsa_uses_dynamic_stack 0
		.amdhsa_enable_private_segment 0
		.amdhsa_system_sgpr_workgroup_id_x 1
		.amdhsa_system_sgpr_workgroup_id_y 0
		.amdhsa_system_sgpr_workgroup_id_z 0
		.amdhsa_system_sgpr_workgroup_info 0
		.amdhsa_system_vgpr_workitem_id 0
		.amdhsa_next_free_vgpr 16
		.amdhsa_next_free_sgpr 19
		.amdhsa_named_barrier_count 0
		.amdhsa_reserve_vcc 1
		.amdhsa_float_round_mode_32 0
		.amdhsa_float_round_mode_16_64 0
		.amdhsa_float_denorm_mode_32 3
		.amdhsa_float_denorm_mode_16_64 3
		.amdhsa_fp16_overflow 0
		.amdhsa_memory_ordered 1
		.amdhsa_forward_progress 1
		.amdhsa_inst_pref_size 5
		.amdhsa_round_robin_scheduling 0
		.amdhsa_exception_fp_ieee_invalid_op 0
		.amdhsa_exception_fp_denorm_src 0
		.amdhsa_exception_fp_ieee_div_zero 0
		.amdhsa_exception_fp_ieee_overflow 0
		.amdhsa_exception_fp_ieee_underflow 0
		.amdhsa_exception_fp_ieee_inexact 0
		.amdhsa_exception_int_div_zero 0
	.end_amdhsa_kernel
	.section	.text._ZN9rocsparseL35bsr2csr_block_dim_equals_one_kernelILj1024E21rocsparse_complex_numIdEilEEvT2_S3_21rocsparse_index_base_PKT0_PKT1_PKS3_S4_PS5_PS8_PS3_,"axG",@progbits,_ZN9rocsparseL35bsr2csr_block_dim_equals_one_kernelILj1024E21rocsparse_complex_numIdEilEEvT2_S3_21rocsparse_index_base_PKT0_PKT1_PKS3_S4_PS5_PS8_PS3_,comdat
.Lfunc_end286:
	.size	_ZN9rocsparseL35bsr2csr_block_dim_equals_one_kernelILj1024E21rocsparse_complex_numIdEilEEvT2_S3_21rocsparse_index_base_PKT0_PKT1_PKS3_S4_PS5_PS8_PS3_, .Lfunc_end286-_ZN9rocsparseL35bsr2csr_block_dim_equals_one_kernelILj1024E21rocsparse_complex_numIdEilEEvT2_S3_21rocsparse_index_base_PKT0_PKT1_PKS3_S4_PS5_PS8_PS3_
                                        ; -- End function
	.set _ZN9rocsparseL35bsr2csr_block_dim_equals_one_kernelILj1024E21rocsparse_complex_numIdEilEEvT2_S3_21rocsparse_index_base_PKT0_PKT1_PKS3_S4_PS5_PS8_PS3_.num_vgpr, 16
	.set _ZN9rocsparseL35bsr2csr_block_dim_equals_one_kernelILj1024E21rocsparse_complex_numIdEilEEvT2_S3_21rocsparse_index_base_PKT0_PKT1_PKS3_S4_PS5_PS8_PS3_.num_agpr, 0
	.set _ZN9rocsparseL35bsr2csr_block_dim_equals_one_kernelILj1024E21rocsparse_complex_numIdEilEEvT2_S3_21rocsparse_index_base_PKT0_PKT1_PKS3_S4_PS5_PS8_PS3_.numbered_sgpr, 19
	.set _ZN9rocsparseL35bsr2csr_block_dim_equals_one_kernelILj1024E21rocsparse_complex_numIdEilEEvT2_S3_21rocsparse_index_base_PKT0_PKT1_PKS3_S4_PS5_PS8_PS3_.num_named_barrier, 0
	.set _ZN9rocsparseL35bsr2csr_block_dim_equals_one_kernelILj1024E21rocsparse_complex_numIdEilEEvT2_S3_21rocsparse_index_base_PKT0_PKT1_PKS3_S4_PS5_PS8_PS3_.private_seg_size, 0
	.set _ZN9rocsparseL35bsr2csr_block_dim_equals_one_kernelILj1024E21rocsparse_complex_numIdEilEEvT2_S3_21rocsparse_index_base_PKT0_PKT1_PKS3_S4_PS5_PS8_PS3_.uses_vcc, 1
	.set _ZN9rocsparseL35bsr2csr_block_dim_equals_one_kernelILj1024E21rocsparse_complex_numIdEilEEvT2_S3_21rocsparse_index_base_PKT0_PKT1_PKS3_S4_PS5_PS8_PS3_.uses_flat_scratch, 0
	.set _ZN9rocsparseL35bsr2csr_block_dim_equals_one_kernelILj1024E21rocsparse_complex_numIdEilEEvT2_S3_21rocsparse_index_base_PKT0_PKT1_PKS3_S4_PS5_PS8_PS3_.has_dyn_sized_stack, 0
	.set _ZN9rocsparseL35bsr2csr_block_dim_equals_one_kernelILj1024E21rocsparse_complex_numIdEilEEvT2_S3_21rocsparse_index_base_PKT0_PKT1_PKS3_S4_PS5_PS8_PS3_.has_recursion, 0
	.set _ZN9rocsparseL35bsr2csr_block_dim_equals_one_kernelILj1024E21rocsparse_complex_numIdEilEEvT2_S3_21rocsparse_index_base_PKT0_PKT1_PKS3_S4_PS5_PS8_PS3_.has_indirect_call, 0
	.section	.AMDGPU.csdata,"",@progbits
; Kernel info:
; codeLenInByte = 536
; TotalNumSgprs: 21
; NumVgprs: 16
; ScratchSize: 0
; MemoryBound: 0
; FloatMode: 240
; IeeeMode: 1
; LDSByteSize: 0 bytes/workgroup (compile time only)
; SGPRBlocks: 0
; VGPRBlocks: 0
; NumSGPRsForWavesPerEU: 21
; NumVGPRsForWavesPerEU: 16
; NamedBarCnt: 0
; Occupancy: 16
; WaveLimiterHint : 0
; COMPUTE_PGM_RSRC2:SCRATCH_EN: 0
; COMPUTE_PGM_RSRC2:USER_SGPR: 2
; COMPUTE_PGM_RSRC2:TRAP_HANDLER: 0
; COMPUTE_PGM_RSRC2:TGID_X_EN: 1
; COMPUTE_PGM_RSRC2:TGID_Y_EN: 0
; COMPUTE_PGM_RSRC2:TGID_Z_EN: 0
; COMPUTE_PGM_RSRC2:TIDIG_COMP_CNT: 0
	.section	.text._ZN9rocsparseL32bsr2csr_block_per_row_2_7_kernelILj256ELj2E21rocsparse_complex_numIdEilEEv20rocsparse_direction_T3_S4_21rocsparse_index_base_PKT1_PKT2_PKS4_S4_S5_PS6_PS9_PS4_,"axG",@progbits,_ZN9rocsparseL32bsr2csr_block_per_row_2_7_kernelILj256ELj2E21rocsparse_complex_numIdEilEEv20rocsparse_direction_T3_S4_21rocsparse_index_base_PKT1_PKT2_PKS4_S4_S5_PS6_PS9_PS4_,comdat
	.globl	_ZN9rocsparseL32bsr2csr_block_per_row_2_7_kernelILj256ELj2E21rocsparse_complex_numIdEilEEv20rocsparse_direction_T3_S4_21rocsparse_index_base_PKT1_PKT2_PKS4_S4_S5_PS6_PS9_PS4_ ; -- Begin function _ZN9rocsparseL32bsr2csr_block_per_row_2_7_kernelILj256ELj2E21rocsparse_complex_numIdEilEEv20rocsparse_direction_T3_S4_21rocsparse_index_base_PKT1_PKT2_PKS4_S4_S5_PS6_PS9_PS4_
	.p2align	8
	.type	_ZN9rocsparseL32bsr2csr_block_per_row_2_7_kernelILj256ELj2E21rocsparse_complex_numIdEilEEv20rocsparse_direction_T3_S4_21rocsparse_index_base_PKT1_PKT2_PKS4_S4_S5_PS6_PS9_PS4_,@function
_ZN9rocsparseL32bsr2csr_block_per_row_2_7_kernelILj256ELj2E21rocsparse_complex_numIdEilEEv20rocsparse_direction_T3_S4_21rocsparse_index_base_PKT1_PKT2_PKS4_S4_S5_PS6_PS9_PS4_: ; @_ZN9rocsparseL32bsr2csr_block_per_row_2_7_kernelILj256ELj2E21rocsparse_complex_numIdEilEEv20rocsparse_direction_T3_S4_21rocsparse_index_base_PKT1_PKT2_PKS4_S4_S5_PS6_PS9_PS4_
; %bb.0:
	s_load_b64 s[4:5], s[0:1], 0x28
	s_bfe_u32 s2, ttmp6, 0x4000c
	s_and_b32 s3, ttmp6, 15
	s_add_co_i32 s2, s2, 1
	s_getreg_b32 s6, hwreg(HW_REG_IB_STS2, 6, 4)
	s_mul_i32 s2, ttmp9, s2
	s_mov_b32 s7, 0
	s_add_co_i32 s3, s3, s2
	s_cmp_eq_u32 s6, 0
	s_clause 0x1
	s_load_b32 s2, s[0:1], 0x40
	s_load_b64 s[8:9], s[0:1], 0x50
	s_cselect_b32 s6, ttmp9, s3
	s_mov_b32 s3, exec_lo
	s_lshl_b64 s[10:11], s[6:7], 2
	v_or_b32_e32 v1, s6, v0
	s_wait_kmcnt 0x0
	s_add_nc_u64 s[4:5], s[4:5], s[10:11]
	s_load_b64 s[14:15], s[4:5], 0x0
	s_delay_alu instid0(VALU_DEP_1)
	v_cmpx_eq_u32_e32 0, v1
	s_cbranch_execz .LBB287_2
; %bb.1:
	v_dual_mov_b32 v1, 0 :: v_dual_mov_b32 v2, s2
	global_store_b32 v1, v2, s[8:9]
.LBB287_2:
	s_wait_xcnt 0x0
	s_or_b32 exec_lo, exec_lo, s3
	s_load_b32 s4, s[0:1], 0x18
	v_dual_lshrrev_b32 v0, 1, v0 :: v_dual_bitop2_b32 v8, 1, v0 bitop3:0x40
	s_lshl_b64 s[6:7], s[6:7], 3
	s_delay_alu instid0(SALU_CYCLE_1)
	s_add_nc_u64 s[6:7], s[8:9], s[6:7]
	s_wait_kmcnt 0x0
	s_sub_co_i32 s3, s14, s4
	s_sub_co_i32 s15, s15, s4
	s_lshl_b32 s10, s3, 2
	s_sub_co_i32 s5, s15, s3
	v_add_nc_u32_e32 v9, s3, v0
	s_lshl_b32 s5, s5, 1
	s_mov_b32 s3, exec_lo
	v_mul_lo_u32 v2, s5, v8
	s_add_co_i32 s5, s5, s2
	s_delay_alu instid0(VALU_DEP_1) | instid1(SALU_CYCLE_1)
	v_add3_u32 v1, s5, s10, v2
	global_store_b32 v8, v1, s[6:7] offset:4 scale_offset
	s_wait_xcnt 0x0
	v_cmpx_gt_i32_e64 s15, v9
	s_cbranch_execz .LBB287_5
; %bb.3:
	s_clause 0x4
	s_load_b64 s[6:7], s[0:1], 0x30
	s_load_b64 s[8:9], s[0:1], 0x48
	s_load_b32 s3, s[0:1], 0x0
	s_load_b64 s[10:11], s[0:1], 0x20
	s_load_b64 s[12:13], s[0:1], 0x58
	v_dual_lshlrev_b32 v3, 1, v0 :: v_dual_mov_b32 v1, 0
	v_dual_lshlrev_b32 v0, 5, v8 :: v_dual_lshlrev_b32 v6, 2, v9
	s_mov_b32 s5, 0
	s_wait_xcnt 0x0
	s_mov_b32 s1, s5
	s_wait_kmcnt 0x0
	s_cmp_eq_u32 s3, 0
	s_mov_b32 s3, s5
	s_cselect_b32 vcc_lo, -1, 0
	s_lshl_b32 s0, s14, 2
	s_delay_alu instid0(SALU_CYCLE_1) | instskip(SKIP_2) | instid1(VALU_DEP_2)
	v_add3_u32 v4, v2, s0, v3
	s_lshl_b32 s0, s4, 2
	v_add_nc_u64_e32 v[2:3], s[10:11], v[0:1]
	v_subrev_nc_u32_e32 v4, s0, v4
.LBB287_4:                              ; =>This Inner Loop Header: Depth=1
	v_dual_mov_b32 v7, v1 :: v_dual_add_nc_u32 v0, v8, v6
	global_load_b64 v[18:19], v9, s[6:7] scale_offset
	s_wait_xcnt 0x0
	v_add_nc_u32_e32 v9, 0x80, v9
	v_ashrrev_i32_e32 v5, 31, v4
	v_lshl_add_u64 v[10:11], v[0:1], 4, s[10:11]
	v_lshl_add_u64 v[12:13], v[6:7], 4, v[2:3]
	v_add_nc_u32_e32 v6, 0x200, v6
	v_cmp_le_i32_e64 s0, s15, v9
	s_delay_alu instid0(VALU_DEP_4) | instskip(NEXT) | instid1(VALU_DEP_4)
	v_add_nc_u64_e32 v[16:17], 32, v[10:11]
	v_add_nc_u64_e32 v[14:15], 16, v[12:13]
	v_dual_cndmask_b32 v21, v11, v13 :: v_dual_cndmask_b32 v20, v10, v12
	s_or_b32 s1, s0, s1
	s_delay_alu instid0(VALU_DEP_2)
	v_dual_cndmask_b32 v23, v17, v15 :: v_dual_cndmask_b32 v22, v16, v14
	global_load_b128 v[10:13], v[20:21], off
	global_load_b128 v[14:17], v[22:23], off
	s_wait_xcnt 0x0
	v_lshl_add_u64 v[22:23], v[4:5], 3, s[12:13]
	s_wait_loadcnt 0x1
	global_store_b128 v4, v[10:13], s[8:9] scale_offset
	s_wait_loadcnt 0x0
	global_store_b128 v4, v[14:17], s[8:9] offset:16 scale_offset
	v_sub_nc_u64_e64 v[18:19], v[18:19], s[4:5]
	s_wait_xcnt 0x0
	v_add_nc_u32_e32 v4, 0x100, v4
	s_delay_alu instid0(VALU_DEP_2) | instskip(NEXT) | instid1(VALU_DEP_1)
	v_lshl_add_u64 v[18:19], v[18:19], 1, s[2:3]
	v_add_nc_u64_e32 v[20:21], 1, v[18:19]
	global_store_b128 v[22:23], v[18:21], off
	s_wait_xcnt 0x0
	s_and_not1_b32 exec_lo, exec_lo, s1
	s_cbranch_execnz .LBB287_4
.LBB287_5:
	s_endpgm
	.section	.rodata,"a",@progbits
	.p2align	6, 0x0
	.amdhsa_kernel _ZN9rocsparseL32bsr2csr_block_per_row_2_7_kernelILj256ELj2E21rocsparse_complex_numIdEilEEv20rocsparse_direction_T3_S4_21rocsparse_index_base_PKT1_PKT2_PKS4_S4_S5_PS6_PS9_PS4_
		.amdhsa_group_segment_fixed_size 0
		.amdhsa_private_segment_fixed_size 0
		.amdhsa_kernarg_size 96
		.amdhsa_user_sgpr_count 2
		.amdhsa_user_sgpr_dispatch_ptr 0
		.amdhsa_user_sgpr_queue_ptr 0
		.amdhsa_user_sgpr_kernarg_segment_ptr 1
		.amdhsa_user_sgpr_dispatch_id 0
		.amdhsa_user_sgpr_kernarg_preload_length 0
		.amdhsa_user_sgpr_kernarg_preload_offset 0
		.amdhsa_user_sgpr_private_segment_size 0
		.amdhsa_wavefront_size32 1
		.amdhsa_uses_dynamic_stack 0
		.amdhsa_enable_private_segment 0
		.amdhsa_system_sgpr_workgroup_id_x 1
		.amdhsa_system_sgpr_workgroup_id_y 0
		.amdhsa_system_sgpr_workgroup_id_z 0
		.amdhsa_system_sgpr_workgroup_info 0
		.amdhsa_system_vgpr_workitem_id 0
		.amdhsa_next_free_vgpr 24
		.amdhsa_next_free_sgpr 16
		.amdhsa_named_barrier_count 0
		.amdhsa_reserve_vcc 1
		.amdhsa_float_round_mode_32 0
		.amdhsa_float_round_mode_16_64 0
		.amdhsa_float_denorm_mode_32 3
		.amdhsa_float_denorm_mode_16_64 3
		.amdhsa_fp16_overflow 0
		.amdhsa_memory_ordered 1
		.amdhsa_forward_progress 1
		.amdhsa_inst_pref_size 5
		.amdhsa_round_robin_scheduling 0
		.amdhsa_exception_fp_ieee_invalid_op 0
		.amdhsa_exception_fp_denorm_src 0
		.amdhsa_exception_fp_ieee_div_zero 0
		.amdhsa_exception_fp_ieee_overflow 0
		.amdhsa_exception_fp_ieee_underflow 0
		.amdhsa_exception_fp_ieee_inexact 0
		.amdhsa_exception_int_div_zero 0
	.end_amdhsa_kernel
	.section	.text._ZN9rocsparseL32bsr2csr_block_per_row_2_7_kernelILj256ELj2E21rocsparse_complex_numIdEilEEv20rocsparse_direction_T3_S4_21rocsparse_index_base_PKT1_PKT2_PKS4_S4_S5_PS6_PS9_PS4_,"axG",@progbits,_ZN9rocsparseL32bsr2csr_block_per_row_2_7_kernelILj256ELj2E21rocsparse_complex_numIdEilEEv20rocsparse_direction_T3_S4_21rocsparse_index_base_PKT1_PKT2_PKS4_S4_S5_PS6_PS9_PS4_,comdat
.Lfunc_end287:
	.size	_ZN9rocsparseL32bsr2csr_block_per_row_2_7_kernelILj256ELj2E21rocsparse_complex_numIdEilEEv20rocsparse_direction_T3_S4_21rocsparse_index_base_PKT1_PKT2_PKS4_S4_S5_PS6_PS9_PS4_, .Lfunc_end287-_ZN9rocsparseL32bsr2csr_block_per_row_2_7_kernelILj256ELj2E21rocsparse_complex_numIdEilEEv20rocsparse_direction_T3_S4_21rocsparse_index_base_PKT1_PKT2_PKS4_S4_S5_PS6_PS9_PS4_
                                        ; -- End function
	.set _ZN9rocsparseL32bsr2csr_block_per_row_2_7_kernelILj256ELj2E21rocsparse_complex_numIdEilEEv20rocsparse_direction_T3_S4_21rocsparse_index_base_PKT1_PKT2_PKS4_S4_S5_PS6_PS9_PS4_.num_vgpr, 24
	.set _ZN9rocsparseL32bsr2csr_block_per_row_2_7_kernelILj256ELj2E21rocsparse_complex_numIdEilEEv20rocsparse_direction_T3_S4_21rocsparse_index_base_PKT1_PKT2_PKS4_S4_S5_PS6_PS9_PS4_.num_agpr, 0
	.set _ZN9rocsparseL32bsr2csr_block_per_row_2_7_kernelILj256ELj2E21rocsparse_complex_numIdEilEEv20rocsparse_direction_T3_S4_21rocsparse_index_base_PKT1_PKT2_PKS4_S4_S5_PS6_PS9_PS4_.numbered_sgpr, 16
	.set _ZN9rocsparseL32bsr2csr_block_per_row_2_7_kernelILj256ELj2E21rocsparse_complex_numIdEilEEv20rocsparse_direction_T3_S4_21rocsparse_index_base_PKT1_PKT2_PKS4_S4_S5_PS6_PS9_PS4_.num_named_barrier, 0
	.set _ZN9rocsparseL32bsr2csr_block_per_row_2_7_kernelILj256ELj2E21rocsparse_complex_numIdEilEEv20rocsparse_direction_T3_S4_21rocsparse_index_base_PKT1_PKT2_PKS4_S4_S5_PS6_PS9_PS4_.private_seg_size, 0
	.set _ZN9rocsparseL32bsr2csr_block_per_row_2_7_kernelILj256ELj2E21rocsparse_complex_numIdEilEEv20rocsparse_direction_T3_S4_21rocsparse_index_base_PKT1_PKT2_PKS4_S4_S5_PS6_PS9_PS4_.uses_vcc, 1
	.set _ZN9rocsparseL32bsr2csr_block_per_row_2_7_kernelILj256ELj2E21rocsparse_complex_numIdEilEEv20rocsparse_direction_T3_S4_21rocsparse_index_base_PKT1_PKT2_PKS4_S4_S5_PS6_PS9_PS4_.uses_flat_scratch, 0
	.set _ZN9rocsparseL32bsr2csr_block_per_row_2_7_kernelILj256ELj2E21rocsparse_complex_numIdEilEEv20rocsparse_direction_T3_S4_21rocsparse_index_base_PKT1_PKT2_PKS4_S4_S5_PS6_PS9_PS4_.has_dyn_sized_stack, 0
	.set _ZN9rocsparseL32bsr2csr_block_per_row_2_7_kernelILj256ELj2E21rocsparse_complex_numIdEilEEv20rocsparse_direction_T3_S4_21rocsparse_index_base_PKT1_PKT2_PKS4_S4_S5_PS6_PS9_PS4_.has_recursion, 0
	.set _ZN9rocsparseL32bsr2csr_block_per_row_2_7_kernelILj256ELj2E21rocsparse_complex_numIdEilEEv20rocsparse_direction_T3_S4_21rocsparse_index_base_PKT1_PKT2_PKS4_S4_S5_PS6_PS9_PS4_.has_indirect_call, 0
	.section	.AMDGPU.csdata,"",@progbits
; Kernel info:
; codeLenInByte = 612
; TotalNumSgprs: 18
; NumVgprs: 24
; ScratchSize: 0
; MemoryBound: 0
; FloatMode: 240
; IeeeMode: 1
; LDSByteSize: 0 bytes/workgroup (compile time only)
; SGPRBlocks: 0
; VGPRBlocks: 1
; NumSGPRsForWavesPerEU: 18
; NumVGPRsForWavesPerEU: 24
; NamedBarCnt: 0
; Occupancy: 16
; WaveLimiterHint : 0
; COMPUTE_PGM_RSRC2:SCRATCH_EN: 0
; COMPUTE_PGM_RSRC2:USER_SGPR: 2
; COMPUTE_PGM_RSRC2:TRAP_HANDLER: 0
; COMPUTE_PGM_RSRC2:TGID_X_EN: 1
; COMPUTE_PGM_RSRC2:TGID_Y_EN: 0
; COMPUTE_PGM_RSRC2:TGID_Z_EN: 0
; COMPUTE_PGM_RSRC2:TIDIG_COMP_CNT: 0
	.section	.text._ZN9rocsparseL32bsr2csr_block_per_row_2_7_kernelILj256ELj3E21rocsparse_complex_numIdEilEEv20rocsparse_direction_T3_S4_21rocsparse_index_base_PKT1_PKT2_PKS4_S4_S5_PS6_PS9_PS4_,"axG",@progbits,_ZN9rocsparseL32bsr2csr_block_per_row_2_7_kernelILj256ELj3E21rocsparse_complex_numIdEilEEv20rocsparse_direction_T3_S4_21rocsparse_index_base_PKT1_PKT2_PKS4_S4_S5_PS6_PS9_PS4_,comdat
	.globl	_ZN9rocsparseL32bsr2csr_block_per_row_2_7_kernelILj256ELj3E21rocsparse_complex_numIdEilEEv20rocsparse_direction_T3_S4_21rocsparse_index_base_PKT1_PKT2_PKS4_S4_S5_PS6_PS9_PS4_ ; -- Begin function _ZN9rocsparseL32bsr2csr_block_per_row_2_7_kernelILj256ELj3E21rocsparse_complex_numIdEilEEv20rocsparse_direction_T3_S4_21rocsparse_index_base_PKT1_PKT2_PKS4_S4_S5_PS6_PS9_PS4_
	.p2align	8
	.type	_ZN9rocsparseL32bsr2csr_block_per_row_2_7_kernelILj256ELj3E21rocsparse_complex_numIdEilEEv20rocsparse_direction_T3_S4_21rocsparse_index_base_PKT1_PKT2_PKS4_S4_S5_PS6_PS9_PS4_,@function
_ZN9rocsparseL32bsr2csr_block_per_row_2_7_kernelILj256ELj3E21rocsparse_complex_numIdEilEEv20rocsparse_direction_T3_S4_21rocsparse_index_base_PKT1_PKT2_PKS4_S4_S5_PS6_PS9_PS4_: ; @_ZN9rocsparseL32bsr2csr_block_per_row_2_7_kernelILj256ELj3E21rocsparse_complex_numIdEilEEv20rocsparse_direction_T3_S4_21rocsparse_index_base_PKT1_PKT2_PKS4_S4_S5_PS6_PS9_PS4_
; %bb.0:
	s_clause 0x1
	s_load_b32 s2, s[0:1], 0x40
	s_load_b64 s[6:7], s[0:1], 0x50
	s_bfe_u32 s3, ttmp6, 0x4000c
	s_and_b32 s4, ttmp6, 15
	s_add_co_i32 s3, s3, 1
	s_getreg_b32 s5, hwreg(HW_REG_IB_STS2, 6, 4)
	s_mul_i32 s3, ttmp9, s3
	s_mov_b32 s9, 0
	s_add_co_i32 s4, s4, s3
	s_cmp_eq_u32 s5, 0
	s_mov_b32 s3, exec_lo
	s_cselect_b32 s8, ttmp9, s4
	s_delay_alu instid0(SALU_CYCLE_1) | instskip(NEXT) | instid1(VALU_DEP_1)
	v_or_b32_e32 v1, s8, v0
	v_cmpx_eq_u32_e32 0, v1
	s_cbranch_execz .LBB288_2
; %bb.1:
	s_wait_kmcnt 0x0
	v_dual_mov_b32 v1, 0 :: v_dual_mov_b32 v2, s2
	global_store_b32 v1, v2, s[6:7]
.LBB288_2:
	s_wait_xcnt 0x0
	s_or_b32 exec_lo, exec_lo, s3
	v_and_b32_e32 v4, 3, v0
	s_mov_b32 s3, exec_lo
	s_delay_alu instid0(VALU_DEP_1)
	v_cmpx_ne_u32_e32 3, v4
	s_cbranch_execz .LBB288_6
; %bb.3:
	s_clause 0x1
	s_load_b64 s[10:11], s[0:1], 0x28
	s_load_b32 s4, s[0:1], 0x18
	s_lshl_b64 s[12:13], s[8:9], 2
	v_lshrrev_b32_e32 v2, 2, v0
	s_mul_u64 s[8:9], s[8:9], 12
	s_wait_kmcnt 0x0
	s_add_nc_u64 s[6:7], s[6:7], s[8:9]
	s_add_nc_u64 s[10:11], s[10:11], s[12:13]
	s_load_b64 s[12:13], s[10:11], 0x0
	s_wait_kmcnt 0x0
	s_sub_co_i32 s3, s12, s4
	s_sub_co_i32 s13, s13, s4
	v_add_nc_u32_e32 v8, s3, v2
	s_sub_co_i32 s5, s13, s3
	s_mul_i32 s10, s3, 9
	s_mul_i32 s5, s5, 3
	s_delay_alu instid0(SALU_CYCLE_1) | instskip(SKIP_2) | instid1(VALU_DEP_2)
	v_mul_lo_u32 v5, s5, v4
	s_add_co_i32 s5, s5, s2
	v_cmp_gt_i32_e32 vcc_lo, s13, v8
	v_add3_u32 v0, s5, s10, v5
	global_store_b32 v4, v0, s[6:7] offset:4 scale_offset
	s_wait_xcnt 0x0
	s_and_b32 exec_lo, exec_lo, vcc_lo
	s_cbranch_execz .LBB288_6
; %bb.4:
	s_clause 0x4
	s_load_b64 s[6:7], s[0:1], 0x48
	s_load_b64 s[14:15], s[0:1], 0x20
	s_load_b32 s3, s[0:1], 0x0
	s_load_b64 s[8:9], s[0:1], 0x30
	s_load_b64 s[10:11], s[0:1], 0x58
	v_dual_mov_b32 v1, 0 :: v_dual_lshlrev_b32 v0, 4, v4
	v_mul_u32_u24_e32 v6, 3, v2
	s_wait_xcnt 0x0
	s_mul_i32 s0, s12, 9
	s_mov_b32 s5, 0
	s_delay_alu instid0(SALU_CYCLE_1)
	s_mov_b32 s1, s5
	v_add3_u32 v6, v5, s0, v6
	s_mul_i32 s0, s4, 9
	s_delay_alu instid0(VALU_DEP_1) | instid1(SALU_CYCLE_1)
	v_subrev_nc_u32_e32 v6, s0, v6
	s_wait_kmcnt 0x0
	v_add_nc_u64_e32 v[2:3], s[14:15], v[0:1]
	v_lshlrev_b32_e32 v0, 5, v4
	s_cmp_eq_u32 s3, 0
	s_mov_b32 s3, s5
	s_cselect_b32 vcc_lo, -1, 0
	s_delay_alu instid0(VALU_DEP_1)
	v_add_nc_u64_e32 v[4:5], v[2:3], v[0:1]
	v_lshl_add_u32 v0, v8, 3, v8
.LBB288_5:                              ; =>This Inner Loop Header: Depth=1
	global_load_b64 v[22:23], v8, s[8:9] scale_offset
	v_lshlrev_b64_e32 v[10:11], 4, v[0:1]
	s_wait_xcnt 0x0
	v_dual_ashrrev_i32 v7, 31, v6 :: v_dual_add_nc_u32 v8, 64, v8
	v_add_nc_u32_e32 v0, 0x240, v0
	s_delay_alu instid0(VALU_DEP_2) | instskip(NEXT) | instid1(VALU_DEP_4)
	v_cmp_le_i32_e64 s0, s13, v8
	v_add_nc_u64_e32 v[12:13], v[2:3], v[10:11]
	v_add_nc_u64_e32 v[10:11], v[4:5], v[10:11]
	s_or_b32 s1, s0, s1
	s_delay_alu instid0(VALU_DEP_2) | instskip(NEXT) | instid1(VALU_DEP_2)
	v_add_nc_u64_e32 v[18:19], 48, v[12:13]
	v_add_nc_u64_e32 v[16:17], 16, v[10:11]
	;; [unrolled: 1-line block ×4, first 2 shown]
	v_dual_cndmask_b32 v15, v13, v11 :: v_dual_cndmask_b32 v14, v12, v10
	s_delay_alu instid0(VALU_DEP_4) | instskip(NEXT) | instid1(VALU_DEP_3)
	v_dual_cndmask_b32 v27, v19, v17 :: v_dual_cndmask_b32 v26, v18, v16
	v_dual_cndmask_b32 v25, v25, v21 :: v_dual_cndmask_b32 v24, v24, v20
	global_load_b128 v[10:13], v[14:15], off
	global_load_b128 v[14:17], v[26:27], off
	global_load_b128 v[18:21], v[24:25], off
	s_wait_xcnt 0x1
	v_lshl_add_u64 v[26:27], v[6:7], 3, s[10:11]
	s_wait_loadcnt 0x2
	global_store_b128 v6, v[10:13], s[6:7] scale_offset
	s_wait_loadcnt 0x1
	global_store_b128 v6, v[14:17], s[6:7] offset:16 scale_offset
	s_wait_xcnt 0x2
	v_sub_nc_u64_e64 v[24:25], v[22:23], s[4:5]
	s_delay_alu instid0(VALU_DEP_1) | instskip(NEXT) | instid1(VALU_DEP_1)
	v_mad_nc_u64_u32 v[22:23], v24, 3, s[2:3]
	v_mad_u32 v23, v25, 3, v23
	s_delay_alu instid0(VALU_DEP_1)
	v_add_nc_u64_e32 v[28:29], 2, v[22:23]
	v_add_nc_u64_e32 v[24:25], 1, v[22:23]
	global_store_b64 v6, v[28:29], s[10:11] offset:16 scale_offset
	s_wait_loadcnt 0x0
	global_store_b128 v6, v[18:21], s[6:7] offset:32 scale_offset
	s_wait_xcnt 0x0
	v_add_nc_u32_e32 v6, 0xc0, v6
	global_store_b128 v[26:27], v[22:25], off
	s_wait_xcnt 0x0
	s_and_not1_b32 exec_lo, exec_lo, s1
	s_cbranch_execnz .LBB288_5
.LBB288_6:
	s_endpgm
	.section	.rodata,"a",@progbits
	.p2align	6, 0x0
	.amdhsa_kernel _ZN9rocsparseL32bsr2csr_block_per_row_2_7_kernelILj256ELj3E21rocsparse_complex_numIdEilEEv20rocsparse_direction_T3_S4_21rocsparse_index_base_PKT1_PKT2_PKS4_S4_S5_PS6_PS9_PS4_
		.amdhsa_group_segment_fixed_size 0
		.amdhsa_private_segment_fixed_size 0
		.amdhsa_kernarg_size 96
		.amdhsa_user_sgpr_count 2
		.amdhsa_user_sgpr_dispatch_ptr 0
		.amdhsa_user_sgpr_queue_ptr 0
		.amdhsa_user_sgpr_kernarg_segment_ptr 1
		.amdhsa_user_sgpr_dispatch_id 0
		.amdhsa_user_sgpr_kernarg_preload_length 0
		.amdhsa_user_sgpr_kernarg_preload_offset 0
		.amdhsa_user_sgpr_private_segment_size 0
		.amdhsa_wavefront_size32 1
		.amdhsa_uses_dynamic_stack 0
		.amdhsa_enable_private_segment 0
		.amdhsa_system_sgpr_workgroup_id_x 1
		.amdhsa_system_sgpr_workgroup_id_y 0
		.amdhsa_system_sgpr_workgroup_id_z 0
		.amdhsa_system_sgpr_workgroup_info 0
		.amdhsa_system_vgpr_workitem_id 0
		.amdhsa_next_free_vgpr 30
		.amdhsa_next_free_sgpr 16
		.amdhsa_named_barrier_count 0
		.amdhsa_reserve_vcc 1
		.amdhsa_float_round_mode_32 0
		.amdhsa_float_round_mode_16_64 0
		.amdhsa_float_denorm_mode_32 3
		.amdhsa_float_denorm_mode_16_64 3
		.amdhsa_fp16_overflow 0
		.amdhsa_memory_ordered 1
		.amdhsa_forward_progress 1
		.amdhsa_inst_pref_size 6
		.amdhsa_round_robin_scheduling 0
		.amdhsa_exception_fp_ieee_invalid_op 0
		.amdhsa_exception_fp_denorm_src 0
		.amdhsa_exception_fp_ieee_div_zero 0
		.amdhsa_exception_fp_ieee_overflow 0
		.amdhsa_exception_fp_ieee_underflow 0
		.amdhsa_exception_fp_ieee_inexact 0
		.amdhsa_exception_int_div_zero 0
	.end_amdhsa_kernel
	.section	.text._ZN9rocsparseL32bsr2csr_block_per_row_2_7_kernelILj256ELj3E21rocsparse_complex_numIdEilEEv20rocsparse_direction_T3_S4_21rocsparse_index_base_PKT1_PKT2_PKS4_S4_S5_PS6_PS9_PS4_,"axG",@progbits,_ZN9rocsparseL32bsr2csr_block_per_row_2_7_kernelILj256ELj3E21rocsparse_complex_numIdEilEEv20rocsparse_direction_T3_S4_21rocsparse_index_base_PKT1_PKT2_PKS4_S4_S5_PS6_PS9_PS4_,comdat
.Lfunc_end288:
	.size	_ZN9rocsparseL32bsr2csr_block_per_row_2_7_kernelILj256ELj3E21rocsparse_complex_numIdEilEEv20rocsparse_direction_T3_S4_21rocsparse_index_base_PKT1_PKT2_PKS4_S4_S5_PS6_PS9_PS4_, .Lfunc_end288-_ZN9rocsparseL32bsr2csr_block_per_row_2_7_kernelILj256ELj3E21rocsparse_complex_numIdEilEEv20rocsparse_direction_T3_S4_21rocsparse_index_base_PKT1_PKT2_PKS4_S4_S5_PS6_PS9_PS4_
                                        ; -- End function
	.set _ZN9rocsparseL32bsr2csr_block_per_row_2_7_kernelILj256ELj3E21rocsparse_complex_numIdEilEEv20rocsparse_direction_T3_S4_21rocsparse_index_base_PKT1_PKT2_PKS4_S4_S5_PS6_PS9_PS4_.num_vgpr, 30
	.set _ZN9rocsparseL32bsr2csr_block_per_row_2_7_kernelILj256ELj3E21rocsparse_complex_numIdEilEEv20rocsparse_direction_T3_S4_21rocsparse_index_base_PKT1_PKT2_PKS4_S4_S5_PS6_PS9_PS4_.num_agpr, 0
	.set _ZN9rocsparseL32bsr2csr_block_per_row_2_7_kernelILj256ELj3E21rocsparse_complex_numIdEilEEv20rocsparse_direction_T3_S4_21rocsparse_index_base_PKT1_PKT2_PKS4_S4_S5_PS6_PS9_PS4_.numbered_sgpr, 16
	.set _ZN9rocsparseL32bsr2csr_block_per_row_2_7_kernelILj256ELj3E21rocsparse_complex_numIdEilEEv20rocsparse_direction_T3_S4_21rocsparse_index_base_PKT1_PKT2_PKS4_S4_S5_PS6_PS9_PS4_.num_named_barrier, 0
	.set _ZN9rocsparseL32bsr2csr_block_per_row_2_7_kernelILj256ELj3E21rocsparse_complex_numIdEilEEv20rocsparse_direction_T3_S4_21rocsparse_index_base_PKT1_PKT2_PKS4_S4_S5_PS6_PS9_PS4_.private_seg_size, 0
	.set _ZN9rocsparseL32bsr2csr_block_per_row_2_7_kernelILj256ELj3E21rocsparse_complex_numIdEilEEv20rocsparse_direction_T3_S4_21rocsparse_index_base_PKT1_PKT2_PKS4_S4_S5_PS6_PS9_PS4_.uses_vcc, 1
	.set _ZN9rocsparseL32bsr2csr_block_per_row_2_7_kernelILj256ELj3E21rocsparse_complex_numIdEilEEv20rocsparse_direction_T3_S4_21rocsparse_index_base_PKT1_PKT2_PKS4_S4_S5_PS6_PS9_PS4_.uses_flat_scratch, 0
	.set _ZN9rocsparseL32bsr2csr_block_per_row_2_7_kernelILj256ELj3E21rocsparse_complex_numIdEilEEv20rocsparse_direction_T3_S4_21rocsparse_index_base_PKT1_PKT2_PKS4_S4_S5_PS6_PS9_PS4_.has_dyn_sized_stack, 0
	.set _ZN9rocsparseL32bsr2csr_block_per_row_2_7_kernelILj256ELj3E21rocsparse_complex_numIdEilEEv20rocsparse_direction_T3_S4_21rocsparse_index_base_PKT1_PKT2_PKS4_S4_S5_PS6_PS9_PS4_.has_recursion, 0
	.set _ZN9rocsparseL32bsr2csr_block_per_row_2_7_kernelILj256ELj3E21rocsparse_complex_numIdEilEEv20rocsparse_direction_T3_S4_21rocsparse_index_base_PKT1_PKT2_PKS4_S4_S5_PS6_PS9_PS4_.has_indirect_call, 0
	.section	.AMDGPU.csdata,"",@progbits
; Kernel info:
; codeLenInByte = 708
; TotalNumSgprs: 18
; NumVgprs: 30
; ScratchSize: 0
; MemoryBound: 0
; FloatMode: 240
; IeeeMode: 1
; LDSByteSize: 0 bytes/workgroup (compile time only)
; SGPRBlocks: 0
; VGPRBlocks: 1
; NumSGPRsForWavesPerEU: 18
; NumVGPRsForWavesPerEU: 30
; NamedBarCnt: 0
; Occupancy: 16
; WaveLimiterHint : 0
; COMPUTE_PGM_RSRC2:SCRATCH_EN: 0
; COMPUTE_PGM_RSRC2:USER_SGPR: 2
; COMPUTE_PGM_RSRC2:TRAP_HANDLER: 0
; COMPUTE_PGM_RSRC2:TGID_X_EN: 1
; COMPUTE_PGM_RSRC2:TGID_Y_EN: 0
; COMPUTE_PGM_RSRC2:TGID_Z_EN: 0
; COMPUTE_PGM_RSRC2:TIDIG_COMP_CNT: 0
	.section	.text._ZN9rocsparseL32bsr2csr_block_per_row_2_7_kernelILj256ELj4E21rocsparse_complex_numIdEilEEv20rocsparse_direction_T3_S4_21rocsparse_index_base_PKT1_PKT2_PKS4_S4_S5_PS6_PS9_PS4_,"axG",@progbits,_ZN9rocsparseL32bsr2csr_block_per_row_2_7_kernelILj256ELj4E21rocsparse_complex_numIdEilEEv20rocsparse_direction_T3_S4_21rocsparse_index_base_PKT1_PKT2_PKS4_S4_S5_PS6_PS9_PS4_,comdat
	.globl	_ZN9rocsparseL32bsr2csr_block_per_row_2_7_kernelILj256ELj4E21rocsparse_complex_numIdEilEEv20rocsparse_direction_T3_S4_21rocsparse_index_base_PKT1_PKT2_PKS4_S4_S5_PS6_PS9_PS4_ ; -- Begin function _ZN9rocsparseL32bsr2csr_block_per_row_2_7_kernelILj256ELj4E21rocsparse_complex_numIdEilEEv20rocsparse_direction_T3_S4_21rocsparse_index_base_PKT1_PKT2_PKS4_S4_S5_PS6_PS9_PS4_
	.p2align	8
	.type	_ZN9rocsparseL32bsr2csr_block_per_row_2_7_kernelILj256ELj4E21rocsparse_complex_numIdEilEEv20rocsparse_direction_T3_S4_21rocsparse_index_base_PKT1_PKT2_PKS4_S4_S5_PS6_PS9_PS4_,@function
_ZN9rocsparseL32bsr2csr_block_per_row_2_7_kernelILj256ELj4E21rocsparse_complex_numIdEilEEv20rocsparse_direction_T3_S4_21rocsparse_index_base_PKT1_PKT2_PKS4_S4_S5_PS6_PS9_PS4_: ; @_ZN9rocsparseL32bsr2csr_block_per_row_2_7_kernelILj256ELj4E21rocsparse_complex_numIdEilEEv20rocsparse_direction_T3_S4_21rocsparse_index_base_PKT1_PKT2_PKS4_S4_S5_PS6_PS9_PS4_
; %bb.0:
	s_load_b64 s[4:5], s[0:1], 0x28
	s_bfe_u32 s2, ttmp6, 0x4000c
	s_and_b32 s3, ttmp6, 15
	s_add_co_i32 s2, s2, 1
	s_getreg_b32 s6, hwreg(HW_REG_IB_STS2, 6, 4)
	s_mul_i32 s2, ttmp9, s2
	s_mov_b32 s7, 0
	s_add_co_i32 s3, s3, s2
	s_cmp_eq_u32 s6, 0
	s_clause 0x1
	s_load_b32 s2, s[0:1], 0x40
	s_load_b64 s[8:9], s[0:1], 0x50
	s_cselect_b32 s6, ttmp9, s3
	s_mov_b32 s3, exec_lo
	s_lshl_b64 s[10:11], s[6:7], 2
	v_or_b32_e32 v1, s6, v0
	s_wait_kmcnt 0x0
	s_add_nc_u64 s[4:5], s[4:5], s[10:11]
	s_load_b64 s[14:15], s[4:5], 0x0
	s_delay_alu instid0(VALU_DEP_1)
	v_cmpx_eq_u32_e32 0, v1
	s_cbranch_execz .LBB289_2
; %bb.1:
	v_dual_mov_b32 v1, 0 :: v_dual_mov_b32 v2, s2
	global_store_b32 v1, v2, s[8:9]
.LBB289_2:
	s_wait_xcnt 0x0
	s_or_b32 exec_lo, exec_lo, s3
	s_load_b32 s4, s[0:1], 0x18
	v_dual_lshrrev_b32 v0, 2, v0 :: v_dual_bitop2_b32 v8, 3, v0 bitop3:0x40
	s_lshl_b64 s[6:7], s[6:7], 4
	s_delay_alu instid0(SALU_CYCLE_1)
	s_add_nc_u64 s[6:7], s[8:9], s[6:7]
	s_wait_kmcnt 0x0
	s_sub_co_i32 s3, s14, s4
	s_sub_co_i32 s15, s15, s4
	s_lshl_b32 s10, s3, 4
	s_sub_co_i32 s5, s15, s3
	v_add_nc_u32_e32 v9, s3, v0
	s_lshl_b32 s5, s5, 2
	s_mov_b32 s3, exec_lo
	v_mul_lo_u32 v2, s5, v8
	s_add_co_i32 s5, s5, s2
	s_delay_alu instid0(VALU_DEP_1) | instid1(SALU_CYCLE_1)
	v_add3_u32 v1, s5, s10, v2
	global_store_b32 v8, v1, s[6:7] offset:4 scale_offset
	s_wait_xcnt 0x0
	v_cmpx_gt_i32_e64 s15, v9
	s_cbranch_execz .LBB289_5
; %bb.3:
	s_clause 0x4
	s_load_b64 s[6:7], s[0:1], 0x30
	s_load_b64 s[8:9], s[0:1], 0x48
	s_load_b32 s3, s[0:1], 0x0
	s_load_b64 s[10:11], s[0:1], 0x20
	s_load_b64 s[12:13], s[0:1], 0x58
	v_dual_lshlrev_b32 v3, 2, v0 :: v_dual_mov_b32 v1, 0
	v_dual_lshlrev_b32 v0, 6, v8 :: v_dual_lshlrev_b32 v6, 4, v9
	s_mov_b32 s5, 0
	s_wait_xcnt 0x0
	s_mov_b32 s1, s5
	s_wait_kmcnt 0x0
	s_cmp_eq_u32 s3, 0
	s_mov_b32 s3, s5
	s_cselect_b32 vcc_lo, -1, 0
	s_lshl_b32 s0, s14, 4
	s_delay_alu instid0(SALU_CYCLE_1) | instskip(SKIP_2) | instid1(VALU_DEP_2)
	v_add3_u32 v4, v2, s0, v3
	s_lshl_b32 s0, s4, 4
	v_add_nc_u64_e32 v[2:3], s[10:11], v[0:1]
	v_subrev_nc_u32_e32 v4, s0, v4
.LBB289_4:                              ; =>This Inner Loop Header: Depth=1
	v_dual_mov_b32 v7, v1 :: v_dual_add_nc_u32 v0, v8, v6
	global_load_b64 v[26:27], v9, s[6:7] scale_offset
	s_wait_xcnt 0x0
	v_dual_ashrrev_i32 v5, 31, v4 :: v_dual_add_nc_u32 v9, 64, v9
	v_lshl_add_u64 v[10:11], v[6:7], 4, v[2:3]
	v_lshl_add_u64 v[12:13], v[0:1], 4, s[10:11]
	v_add_nc_u32_e32 v6, 0x400, v6
	s_delay_alu instid0(VALU_DEP_4) | instskip(NEXT) | instid1(VALU_DEP_4)
	v_cmp_le_i32_e64 s0, s15, v9
	v_add_nc_u64_e32 v[14:15], 16, v[10:11]
	s_delay_alu instid0(VALU_DEP_4)
	v_add_nc_u64_e32 v[16:17], 64, v[12:13]
	v_add_nc_u64_e32 v[18:19], 32, v[10:11]
	;; [unrolled: 1-line block ×5, first 2 shown]
	v_dual_cndmask_b32 v29, v13, v11 :: v_dual_cndmask_b32 v28, v12, v10
	v_dual_cndmask_b32 v31, v17, v15 :: v_dual_cndmask_b32 v30, v16, v14
	;; [unrolled: 1-line block ×3, first 2 shown]
	s_delay_alu instid0(VALU_DEP_4)
	v_dual_cndmask_b32 v35, v25, v23 :: v_dual_cndmask_b32 v34, v24, v22
	global_load_b128 v[10:13], v[28:29], off
	global_load_b128 v[14:17], v[30:31], off
	global_load_b128 v[18:21], v[32:33], off
	global_load_b128 v[22:25], v[34:35], off
	s_wait_xcnt 0x0
	v_lshl_add_u64 v[34:35], v[4:5], 3, s[12:13]
	s_or_b32 s1, s0, s1
	s_wait_loadcnt 0x3
	global_store_b128 v4, v[10:13], s[8:9] scale_offset
	s_wait_loadcnt 0x2
	global_store_b128 v4, v[14:17], s[8:9] offset:16 scale_offset
	s_wait_loadcnt 0x1
	global_store_b128 v4, v[18:21], s[8:9] offset:32 scale_offset
	s_wait_loadcnt 0x0
	global_store_b128 v4, v[22:25], s[8:9] offset:48 scale_offset
	v_sub_nc_u64_e64 v[26:27], v[26:27], s[4:5]
	s_wait_xcnt 0x0
	v_add_nc_u32_e32 v4, 0x100, v4
	s_delay_alu instid0(VALU_DEP_2) | instskip(NEXT) | instid1(VALU_DEP_1)
	v_lshl_add_u64 v[26:27], v[26:27], 2, s[2:3]
	v_add_nc_u64_e32 v[28:29], 1, v[26:27]
	v_add_nc_u64_e32 v[30:31], 2, v[26:27]
	;; [unrolled: 1-line block ×3, first 2 shown]
	s_clause 0x1
	global_store_b128 v[34:35], v[26:29], off
	global_store_b128 v[34:35], v[30:33], off offset:16
	s_wait_xcnt 0x0
	s_and_not1_b32 exec_lo, exec_lo, s1
	s_cbranch_execnz .LBB289_4
.LBB289_5:
	s_endpgm
	.section	.rodata,"a",@progbits
	.p2align	6, 0x0
	.amdhsa_kernel _ZN9rocsparseL32bsr2csr_block_per_row_2_7_kernelILj256ELj4E21rocsparse_complex_numIdEilEEv20rocsparse_direction_T3_S4_21rocsparse_index_base_PKT1_PKT2_PKS4_S4_S5_PS6_PS9_PS4_
		.amdhsa_group_segment_fixed_size 0
		.amdhsa_private_segment_fixed_size 0
		.amdhsa_kernarg_size 96
		.amdhsa_user_sgpr_count 2
		.amdhsa_user_sgpr_dispatch_ptr 0
		.amdhsa_user_sgpr_queue_ptr 0
		.amdhsa_user_sgpr_kernarg_segment_ptr 1
		.amdhsa_user_sgpr_dispatch_id 0
		.amdhsa_user_sgpr_kernarg_preload_length 0
		.amdhsa_user_sgpr_kernarg_preload_offset 0
		.amdhsa_user_sgpr_private_segment_size 0
		.amdhsa_wavefront_size32 1
		.amdhsa_uses_dynamic_stack 0
		.amdhsa_enable_private_segment 0
		.amdhsa_system_sgpr_workgroup_id_x 1
		.amdhsa_system_sgpr_workgroup_id_y 0
		.amdhsa_system_sgpr_workgroup_id_z 0
		.amdhsa_system_sgpr_workgroup_info 0
		.amdhsa_system_vgpr_workitem_id 0
		.amdhsa_next_free_vgpr 36
		.amdhsa_next_free_sgpr 16
		.amdhsa_named_barrier_count 0
		.amdhsa_reserve_vcc 1
		.amdhsa_float_round_mode_32 0
		.amdhsa_float_round_mode_16_64 0
		.amdhsa_float_denorm_mode_32 3
		.amdhsa_float_denorm_mode_16_64 3
		.amdhsa_fp16_overflow 0
		.amdhsa_memory_ordered 1
		.amdhsa_forward_progress 1
		.amdhsa_inst_pref_size 6
		.amdhsa_round_robin_scheduling 0
		.amdhsa_exception_fp_ieee_invalid_op 0
		.amdhsa_exception_fp_denorm_src 0
		.amdhsa_exception_fp_ieee_div_zero 0
		.amdhsa_exception_fp_ieee_overflow 0
		.amdhsa_exception_fp_ieee_underflow 0
		.amdhsa_exception_fp_ieee_inexact 0
		.amdhsa_exception_int_div_zero 0
	.end_amdhsa_kernel
	.section	.text._ZN9rocsparseL32bsr2csr_block_per_row_2_7_kernelILj256ELj4E21rocsparse_complex_numIdEilEEv20rocsparse_direction_T3_S4_21rocsparse_index_base_PKT1_PKT2_PKS4_S4_S5_PS6_PS9_PS4_,"axG",@progbits,_ZN9rocsparseL32bsr2csr_block_per_row_2_7_kernelILj256ELj4E21rocsparse_complex_numIdEilEEv20rocsparse_direction_T3_S4_21rocsparse_index_base_PKT1_PKT2_PKS4_S4_S5_PS6_PS9_PS4_,comdat
.Lfunc_end289:
	.size	_ZN9rocsparseL32bsr2csr_block_per_row_2_7_kernelILj256ELj4E21rocsparse_complex_numIdEilEEv20rocsparse_direction_T3_S4_21rocsparse_index_base_PKT1_PKT2_PKS4_S4_S5_PS6_PS9_PS4_, .Lfunc_end289-_ZN9rocsparseL32bsr2csr_block_per_row_2_7_kernelILj256ELj4E21rocsparse_complex_numIdEilEEv20rocsparse_direction_T3_S4_21rocsparse_index_base_PKT1_PKT2_PKS4_S4_S5_PS6_PS9_PS4_
                                        ; -- End function
	.set _ZN9rocsparseL32bsr2csr_block_per_row_2_7_kernelILj256ELj4E21rocsparse_complex_numIdEilEEv20rocsparse_direction_T3_S4_21rocsparse_index_base_PKT1_PKT2_PKS4_S4_S5_PS6_PS9_PS4_.num_vgpr, 36
	.set _ZN9rocsparseL32bsr2csr_block_per_row_2_7_kernelILj256ELj4E21rocsparse_complex_numIdEilEEv20rocsparse_direction_T3_S4_21rocsparse_index_base_PKT1_PKT2_PKS4_S4_S5_PS6_PS9_PS4_.num_agpr, 0
	.set _ZN9rocsparseL32bsr2csr_block_per_row_2_7_kernelILj256ELj4E21rocsparse_complex_numIdEilEEv20rocsparse_direction_T3_S4_21rocsparse_index_base_PKT1_PKT2_PKS4_S4_S5_PS6_PS9_PS4_.numbered_sgpr, 16
	.set _ZN9rocsparseL32bsr2csr_block_per_row_2_7_kernelILj256ELj4E21rocsparse_complex_numIdEilEEv20rocsparse_direction_T3_S4_21rocsparse_index_base_PKT1_PKT2_PKS4_S4_S5_PS6_PS9_PS4_.num_named_barrier, 0
	.set _ZN9rocsparseL32bsr2csr_block_per_row_2_7_kernelILj256ELj4E21rocsparse_complex_numIdEilEEv20rocsparse_direction_T3_S4_21rocsparse_index_base_PKT1_PKT2_PKS4_S4_S5_PS6_PS9_PS4_.private_seg_size, 0
	.set _ZN9rocsparseL32bsr2csr_block_per_row_2_7_kernelILj256ELj4E21rocsparse_complex_numIdEilEEv20rocsparse_direction_T3_S4_21rocsparse_index_base_PKT1_PKT2_PKS4_S4_S5_PS6_PS9_PS4_.uses_vcc, 1
	.set _ZN9rocsparseL32bsr2csr_block_per_row_2_7_kernelILj256ELj4E21rocsparse_complex_numIdEilEEv20rocsparse_direction_T3_S4_21rocsparse_index_base_PKT1_PKT2_PKS4_S4_S5_PS6_PS9_PS4_.uses_flat_scratch, 0
	.set _ZN9rocsparseL32bsr2csr_block_per_row_2_7_kernelILj256ELj4E21rocsparse_complex_numIdEilEEv20rocsparse_direction_T3_S4_21rocsparse_index_base_PKT1_PKT2_PKS4_S4_S5_PS6_PS9_PS4_.has_dyn_sized_stack, 0
	.set _ZN9rocsparseL32bsr2csr_block_per_row_2_7_kernelILj256ELj4E21rocsparse_complex_numIdEilEEv20rocsparse_direction_T3_S4_21rocsparse_index_base_PKT1_PKT2_PKS4_S4_S5_PS6_PS9_PS4_.has_recursion, 0
	.set _ZN9rocsparseL32bsr2csr_block_per_row_2_7_kernelILj256ELj4E21rocsparse_complex_numIdEilEEv20rocsparse_direction_T3_S4_21rocsparse_index_base_PKT1_PKT2_PKS4_S4_S5_PS6_PS9_PS4_.has_indirect_call, 0
	.section	.AMDGPU.csdata,"",@progbits
; Kernel info:
; codeLenInByte = 736
; TotalNumSgprs: 18
; NumVgprs: 36
; ScratchSize: 0
; MemoryBound: 0
; FloatMode: 240
; IeeeMode: 1
; LDSByteSize: 0 bytes/workgroup (compile time only)
; SGPRBlocks: 0
; VGPRBlocks: 2
; NumSGPRsForWavesPerEU: 18
; NumVGPRsForWavesPerEU: 36
; NamedBarCnt: 0
; Occupancy: 16
; WaveLimiterHint : 0
; COMPUTE_PGM_RSRC2:SCRATCH_EN: 0
; COMPUTE_PGM_RSRC2:USER_SGPR: 2
; COMPUTE_PGM_RSRC2:TRAP_HANDLER: 0
; COMPUTE_PGM_RSRC2:TGID_X_EN: 1
; COMPUTE_PGM_RSRC2:TGID_Y_EN: 0
; COMPUTE_PGM_RSRC2:TGID_Z_EN: 0
; COMPUTE_PGM_RSRC2:TIDIG_COMP_CNT: 0
	.section	.text._ZN9rocsparseL32bsr2csr_block_per_row_2_7_kernelILj256ELj5E21rocsparse_complex_numIdEilEEv20rocsparse_direction_T3_S4_21rocsparse_index_base_PKT1_PKT2_PKS4_S4_S5_PS6_PS9_PS4_,"axG",@progbits,_ZN9rocsparseL32bsr2csr_block_per_row_2_7_kernelILj256ELj5E21rocsparse_complex_numIdEilEEv20rocsparse_direction_T3_S4_21rocsparse_index_base_PKT1_PKT2_PKS4_S4_S5_PS6_PS9_PS4_,comdat
	.globl	_ZN9rocsparseL32bsr2csr_block_per_row_2_7_kernelILj256ELj5E21rocsparse_complex_numIdEilEEv20rocsparse_direction_T3_S4_21rocsparse_index_base_PKT1_PKT2_PKS4_S4_S5_PS6_PS9_PS4_ ; -- Begin function _ZN9rocsparseL32bsr2csr_block_per_row_2_7_kernelILj256ELj5E21rocsparse_complex_numIdEilEEv20rocsparse_direction_T3_S4_21rocsparse_index_base_PKT1_PKT2_PKS4_S4_S5_PS6_PS9_PS4_
	.p2align	8
	.type	_ZN9rocsparseL32bsr2csr_block_per_row_2_7_kernelILj256ELj5E21rocsparse_complex_numIdEilEEv20rocsparse_direction_T3_S4_21rocsparse_index_base_PKT1_PKT2_PKS4_S4_S5_PS6_PS9_PS4_,@function
_ZN9rocsparseL32bsr2csr_block_per_row_2_7_kernelILj256ELj5E21rocsparse_complex_numIdEilEEv20rocsparse_direction_T3_S4_21rocsparse_index_base_PKT1_PKT2_PKS4_S4_S5_PS6_PS9_PS4_: ; @_ZN9rocsparseL32bsr2csr_block_per_row_2_7_kernelILj256ELj5E21rocsparse_complex_numIdEilEEv20rocsparse_direction_T3_S4_21rocsparse_index_base_PKT1_PKT2_PKS4_S4_S5_PS6_PS9_PS4_
; %bb.0:
	s_clause 0x1
	s_load_b32 s2, s[0:1], 0x40
	s_load_b64 s[6:7], s[0:1], 0x50
	s_bfe_u32 s3, ttmp6, 0x4000c
	s_and_b32 s4, ttmp6, 15
	s_add_co_i32 s3, s3, 1
	s_getreg_b32 s5, hwreg(HW_REG_IB_STS2, 6, 4)
	s_mul_i32 s3, ttmp9, s3
	s_mov_b32 s9, 0
	s_add_co_i32 s4, s4, s3
	s_cmp_eq_u32 s5, 0
	s_mov_b32 s3, exec_lo
	s_cselect_b32 s8, ttmp9, s4
	s_delay_alu instid0(SALU_CYCLE_1) | instskip(NEXT) | instid1(VALU_DEP_1)
	v_or_b32_e32 v1, s8, v0
	v_cmpx_eq_u32_e32 0, v1
	s_cbranch_execz .LBB290_2
; %bb.1:
	s_wait_kmcnt 0x0
	v_dual_mov_b32 v1, 0 :: v_dual_mov_b32 v2, s2
	global_store_b32 v1, v2, s[6:7]
.LBB290_2:
	s_wait_xcnt 0x0
	s_or_b32 exec_lo, exec_lo, s3
	v_and_b32_e32 v4, 7, v0
	s_mov_b32 s3, exec_lo
	s_delay_alu instid0(VALU_DEP_1)
	v_cmpx_gt_u32_e32 5, v4
	s_cbranch_execz .LBB290_6
; %bb.3:
	s_clause 0x1
	s_load_b64 s[10:11], s[0:1], 0x28
	s_load_b32 s4, s[0:1], 0x18
	s_lshl_b64 s[12:13], s[8:9], 2
	v_lshrrev_b32_e32 v5, 3, v0
	s_mul_u64 s[8:9], s[8:9], 20
	s_wait_kmcnt 0x0
	s_add_nc_u64 s[6:7], s[6:7], s[8:9]
	s_add_nc_u64 s[10:11], s[10:11], s[12:13]
	s_load_b64 s[12:13], s[10:11], 0x0
	s_wait_kmcnt 0x0
	s_sub_co_i32 s3, s12, s4
	s_sub_co_i32 s13, s13, s4
	v_add_nc_u32_e32 v8, s3, v5
	s_sub_co_i32 s5, s13, s3
	s_mul_i32 s10, s3, 25
	s_mul_i32 s5, s5, 5
	s_delay_alu instid0(SALU_CYCLE_1) | instskip(SKIP_2) | instid1(VALU_DEP_2)
	v_mul_lo_u32 v6, s5, v4
	s_add_co_i32 s5, s5, s2
	v_cmp_gt_i32_e32 vcc_lo, s13, v8
	v_add3_u32 v0, s5, s10, v6
	global_store_b32 v4, v0, s[6:7] offset:4 scale_offset
	s_wait_xcnt 0x0
	s_and_b32 exec_lo, exec_lo, vcc_lo
	s_cbranch_execz .LBB290_6
; %bb.4:
	s_clause 0x2
	s_load_b64 s[6:7], s[0:1], 0x48
	s_load_b64 s[14:15], s[0:1], 0x20
	s_load_b32 s3, s[0:1], 0x0
	v_dual_mov_b32 v1, 0 :: v_dual_lshlrev_b32 v0, 4, v4
	s_clause 0x1
	s_load_b64 s[8:9], s[0:1], 0x30
	s_load_b64 s[10:11], s[0:1], 0x58
	v_mul_u32_u24_e32 v7, 5, v5
	s_wait_xcnt 0x0
	s_mul_i32 s0, s12, 25
	s_mov_b32 s5, 0
	s_delay_alu instid0(SALU_CYCLE_1)
	s_mov_b32 s1, s5
	v_add3_u32 v6, v6, s0, v7
	s_mul_i32 s0, s4, 25
	s_delay_alu instid0(VALU_DEP_1) | instid1(SALU_CYCLE_1)
	v_subrev_nc_u32_e32 v6, s0, v6
	s_wait_kmcnt 0x0
	v_add_nc_u64_e32 v[2:3], s[14:15], v[0:1]
	v_lshlrev_b32_e32 v0, 6, v4
	s_cmp_eq_u32 s3, 0
	s_mov_b32 s3, s5
	s_cselect_b32 vcc_lo, -1, 0
	s_delay_alu instid0(VALU_DEP_1)
	v_add_nc_u64_e32 v[4:5], v[2:3], v[0:1]
	v_mul_lo_u32 v0, v8, 25
.LBB290_5:                              ; =>This Inner Loop Header: Depth=1
	global_load_b64 v[30:31], v8, s[8:9] scale_offset
	v_lshlrev_b64_e32 v[10:11], 4, v[0:1]
	s_wait_xcnt 0x0
	v_dual_ashrrev_i32 v7, 31, v6 :: v_dual_add_nc_u32 v8, 32, v8
	v_add_nc_u32_e32 v0, 0x320, v0
	s_delay_alu instid0(VALU_DEP_2) | instskip(NEXT) | instid1(VALU_DEP_4)
	v_cmp_le_i32_e64 s0, s13, v8
	v_add_nc_u64_e32 v[12:13], v[2:3], v[10:11]
	v_add_nc_u64_e32 v[10:11], v[4:5], v[10:11]
	s_or_b32 s1, s0, s1
	s_delay_alu instid0(VALU_DEP_2) | instskip(NEXT) | instid1(VALU_DEP_2)
	v_add_nc_u64_e32 v[18:19], 0x50, v[12:13]
	v_add_nc_u64_e32 v[16:17], 16, v[10:11]
	;; [unrolled: 1-line block ×8, first 2 shown]
	v_dual_cndmask_b32 v15, v13, v11 :: v_dual_cndmask_b32 v14, v12, v10
	v_dual_cndmask_b32 v35, v19, v17 :: v_dual_cndmask_b32 v34, v18, v16
	;; [unrolled: 1-line block ×4, first 2 shown]
	global_load_b128 v[10:13], v[14:15], off
	v_dual_cndmask_b32 v33, v33, v29 :: v_dual_cndmask_b32 v32, v32, v28
	global_load_b128 v[14:17], v[34:35], off
	global_load_b128 v[18:21], v[36:37], off
	global_load_b128 v[22:25], v[38:39], off
	global_load_b128 v[26:29], v[32:33], off
	s_wait_xcnt 0x3
	v_lshl_add_u64 v[34:35], v[6:7], 3, s[10:11]
	s_wait_loadcnt 0x4
	global_store_b128 v6, v[10:13], s[6:7] scale_offset
	s_wait_loadcnt 0x3
	global_store_b128 v6, v[14:17], s[6:7] offset:16 scale_offset
	s_wait_loadcnt 0x2
	global_store_b128 v6, v[18:21], s[6:7] offset:32 scale_offset
	s_wait_xcnt 0x3
	v_sub_nc_u64_e64 v[32:33], v[30:31], s[4:5]
	s_wait_loadcnt 0x1
	global_store_b128 v6, v[22:25], s[6:7] offset:48 scale_offset
	v_mad_nc_u64_u32 v[30:31], v32, 5, s[2:3]
	s_delay_alu instid0(VALU_DEP_1) | instskip(SKIP_1) | instid1(VALU_DEP_1)
	v_mad_u32 v31, v33, 5, v31
	s_wait_xcnt 0x2
	v_add_nc_u64_e32 v[14:15], 4, v[30:31]
	v_add_nc_u64_e32 v[32:33], 1, v[30:31]
	;; [unrolled: 1-line block ×4, first 2 shown]
	global_store_b64 v6, v[14:15], s[10:11] offset:32 scale_offset
	s_wait_loadcnt 0x0
	global_store_b128 v6, v[26:29], s[6:7] offset:64 scale_offset
	s_wait_xcnt 0x0
	v_add_nc_u32_e32 v6, 0xa0, v6
	s_clause 0x1
	global_store_b128 v[34:35], v[30:33], off
	global_store_b128 v[34:35], v[10:13], off offset:16
	s_wait_xcnt 0x0
	s_and_not1_b32 exec_lo, exec_lo, s1
	s_cbranch_execnz .LBB290_5
.LBB290_6:
	s_endpgm
	.section	.rodata,"a",@progbits
	.p2align	6, 0x0
	.amdhsa_kernel _ZN9rocsparseL32bsr2csr_block_per_row_2_7_kernelILj256ELj5E21rocsparse_complex_numIdEilEEv20rocsparse_direction_T3_S4_21rocsparse_index_base_PKT1_PKT2_PKS4_S4_S5_PS6_PS9_PS4_
		.amdhsa_group_segment_fixed_size 0
		.amdhsa_private_segment_fixed_size 0
		.amdhsa_kernarg_size 96
		.amdhsa_user_sgpr_count 2
		.amdhsa_user_sgpr_dispatch_ptr 0
		.amdhsa_user_sgpr_queue_ptr 0
		.amdhsa_user_sgpr_kernarg_segment_ptr 1
		.amdhsa_user_sgpr_dispatch_id 0
		.amdhsa_user_sgpr_kernarg_preload_length 0
		.amdhsa_user_sgpr_kernarg_preload_offset 0
		.amdhsa_user_sgpr_private_segment_size 0
		.amdhsa_wavefront_size32 1
		.amdhsa_uses_dynamic_stack 0
		.amdhsa_enable_private_segment 0
		.amdhsa_system_sgpr_workgroup_id_x 1
		.amdhsa_system_sgpr_workgroup_id_y 0
		.amdhsa_system_sgpr_workgroup_id_z 0
		.amdhsa_system_sgpr_workgroup_info 0
		.amdhsa_system_vgpr_workitem_id 0
		.amdhsa_next_free_vgpr 40
		.amdhsa_next_free_sgpr 16
		.amdhsa_named_barrier_count 0
		.amdhsa_reserve_vcc 1
		.amdhsa_float_round_mode_32 0
		.amdhsa_float_round_mode_16_64 0
		.amdhsa_float_denorm_mode_32 3
		.amdhsa_float_denorm_mode_16_64 3
		.amdhsa_fp16_overflow 0
		.amdhsa_memory_ordered 1
		.amdhsa_forward_progress 1
		.amdhsa_inst_pref_size 7
		.amdhsa_round_robin_scheduling 0
		.amdhsa_exception_fp_ieee_invalid_op 0
		.amdhsa_exception_fp_denorm_src 0
		.amdhsa_exception_fp_ieee_div_zero 0
		.amdhsa_exception_fp_ieee_overflow 0
		.amdhsa_exception_fp_ieee_underflow 0
		.amdhsa_exception_fp_ieee_inexact 0
		.amdhsa_exception_int_div_zero 0
	.end_amdhsa_kernel
	.section	.text._ZN9rocsparseL32bsr2csr_block_per_row_2_7_kernelILj256ELj5E21rocsparse_complex_numIdEilEEv20rocsparse_direction_T3_S4_21rocsparse_index_base_PKT1_PKT2_PKS4_S4_S5_PS6_PS9_PS4_,"axG",@progbits,_ZN9rocsparseL32bsr2csr_block_per_row_2_7_kernelILj256ELj5E21rocsparse_complex_numIdEilEEv20rocsparse_direction_T3_S4_21rocsparse_index_base_PKT1_PKT2_PKS4_S4_S5_PS6_PS9_PS4_,comdat
.Lfunc_end290:
	.size	_ZN9rocsparseL32bsr2csr_block_per_row_2_7_kernelILj256ELj5E21rocsparse_complex_numIdEilEEv20rocsparse_direction_T3_S4_21rocsparse_index_base_PKT1_PKT2_PKS4_S4_S5_PS6_PS9_PS4_, .Lfunc_end290-_ZN9rocsparseL32bsr2csr_block_per_row_2_7_kernelILj256ELj5E21rocsparse_complex_numIdEilEEv20rocsparse_direction_T3_S4_21rocsparse_index_base_PKT1_PKT2_PKS4_S4_S5_PS6_PS9_PS4_
                                        ; -- End function
	.set _ZN9rocsparseL32bsr2csr_block_per_row_2_7_kernelILj256ELj5E21rocsparse_complex_numIdEilEEv20rocsparse_direction_T3_S4_21rocsparse_index_base_PKT1_PKT2_PKS4_S4_S5_PS6_PS9_PS4_.num_vgpr, 40
	.set _ZN9rocsparseL32bsr2csr_block_per_row_2_7_kernelILj256ELj5E21rocsparse_complex_numIdEilEEv20rocsparse_direction_T3_S4_21rocsparse_index_base_PKT1_PKT2_PKS4_S4_S5_PS6_PS9_PS4_.num_agpr, 0
	.set _ZN9rocsparseL32bsr2csr_block_per_row_2_7_kernelILj256ELj5E21rocsparse_complex_numIdEilEEv20rocsparse_direction_T3_S4_21rocsparse_index_base_PKT1_PKT2_PKS4_S4_S5_PS6_PS9_PS4_.numbered_sgpr, 16
	.set _ZN9rocsparseL32bsr2csr_block_per_row_2_7_kernelILj256ELj5E21rocsparse_complex_numIdEilEEv20rocsparse_direction_T3_S4_21rocsparse_index_base_PKT1_PKT2_PKS4_S4_S5_PS6_PS9_PS4_.num_named_barrier, 0
	.set _ZN9rocsparseL32bsr2csr_block_per_row_2_7_kernelILj256ELj5E21rocsparse_complex_numIdEilEEv20rocsparse_direction_T3_S4_21rocsparse_index_base_PKT1_PKT2_PKS4_S4_S5_PS6_PS9_PS4_.private_seg_size, 0
	.set _ZN9rocsparseL32bsr2csr_block_per_row_2_7_kernelILj256ELj5E21rocsparse_complex_numIdEilEEv20rocsparse_direction_T3_S4_21rocsparse_index_base_PKT1_PKT2_PKS4_S4_S5_PS6_PS9_PS4_.uses_vcc, 1
	.set _ZN9rocsparseL32bsr2csr_block_per_row_2_7_kernelILj256ELj5E21rocsparse_complex_numIdEilEEv20rocsparse_direction_T3_S4_21rocsparse_index_base_PKT1_PKT2_PKS4_S4_S5_PS6_PS9_PS4_.uses_flat_scratch, 0
	.set _ZN9rocsparseL32bsr2csr_block_per_row_2_7_kernelILj256ELj5E21rocsparse_complex_numIdEilEEv20rocsparse_direction_T3_S4_21rocsparse_index_base_PKT1_PKT2_PKS4_S4_S5_PS6_PS9_PS4_.has_dyn_sized_stack, 0
	.set _ZN9rocsparseL32bsr2csr_block_per_row_2_7_kernelILj256ELj5E21rocsparse_complex_numIdEilEEv20rocsparse_direction_T3_S4_21rocsparse_index_base_PKT1_PKT2_PKS4_S4_S5_PS6_PS9_PS4_.has_recursion, 0
	.set _ZN9rocsparseL32bsr2csr_block_per_row_2_7_kernelILj256ELj5E21rocsparse_complex_numIdEilEEv20rocsparse_direction_T3_S4_21rocsparse_index_base_PKT1_PKT2_PKS4_S4_S5_PS6_PS9_PS4_.has_indirect_call, 0
	.section	.AMDGPU.csdata,"",@progbits
; Kernel info:
; codeLenInByte = 832
; TotalNumSgprs: 18
; NumVgprs: 40
; ScratchSize: 0
; MemoryBound: 0
; FloatMode: 240
; IeeeMode: 1
; LDSByteSize: 0 bytes/workgroup (compile time only)
; SGPRBlocks: 0
; VGPRBlocks: 2
; NumSGPRsForWavesPerEU: 18
; NumVGPRsForWavesPerEU: 40
; NamedBarCnt: 0
; Occupancy: 16
; WaveLimiterHint : 0
; COMPUTE_PGM_RSRC2:SCRATCH_EN: 0
; COMPUTE_PGM_RSRC2:USER_SGPR: 2
; COMPUTE_PGM_RSRC2:TRAP_HANDLER: 0
; COMPUTE_PGM_RSRC2:TGID_X_EN: 1
; COMPUTE_PGM_RSRC2:TGID_Y_EN: 0
; COMPUTE_PGM_RSRC2:TGID_Z_EN: 0
; COMPUTE_PGM_RSRC2:TIDIG_COMP_CNT: 0
	.section	.text._ZN9rocsparseL32bsr2csr_block_per_row_2_7_kernelILj256ELj6E21rocsparse_complex_numIdEilEEv20rocsparse_direction_T3_S4_21rocsparse_index_base_PKT1_PKT2_PKS4_S4_S5_PS6_PS9_PS4_,"axG",@progbits,_ZN9rocsparseL32bsr2csr_block_per_row_2_7_kernelILj256ELj6E21rocsparse_complex_numIdEilEEv20rocsparse_direction_T3_S4_21rocsparse_index_base_PKT1_PKT2_PKS4_S4_S5_PS6_PS9_PS4_,comdat
	.globl	_ZN9rocsparseL32bsr2csr_block_per_row_2_7_kernelILj256ELj6E21rocsparse_complex_numIdEilEEv20rocsparse_direction_T3_S4_21rocsparse_index_base_PKT1_PKT2_PKS4_S4_S5_PS6_PS9_PS4_ ; -- Begin function _ZN9rocsparseL32bsr2csr_block_per_row_2_7_kernelILj256ELj6E21rocsparse_complex_numIdEilEEv20rocsparse_direction_T3_S4_21rocsparse_index_base_PKT1_PKT2_PKS4_S4_S5_PS6_PS9_PS4_
	.p2align	8
	.type	_ZN9rocsparseL32bsr2csr_block_per_row_2_7_kernelILj256ELj6E21rocsparse_complex_numIdEilEEv20rocsparse_direction_T3_S4_21rocsparse_index_base_PKT1_PKT2_PKS4_S4_S5_PS6_PS9_PS4_,@function
_ZN9rocsparseL32bsr2csr_block_per_row_2_7_kernelILj256ELj6E21rocsparse_complex_numIdEilEEv20rocsparse_direction_T3_S4_21rocsparse_index_base_PKT1_PKT2_PKS4_S4_S5_PS6_PS9_PS4_: ; @_ZN9rocsparseL32bsr2csr_block_per_row_2_7_kernelILj256ELj6E21rocsparse_complex_numIdEilEEv20rocsparse_direction_T3_S4_21rocsparse_index_base_PKT1_PKT2_PKS4_S4_S5_PS6_PS9_PS4_
; %bb.0:
	s_clause 0x1
	s_load_b32 s2, s[0:1], 0x40
	s_load_b64 s[6:7], s[0:1], 0x50
	s_bfe_u32 s3, ttmp6, 0x4000c
	s_and_b32 s4, ttmp6, 15
	s_add_co_i32 s3, s3, 1
	s_getreg_b32 s5, hwreg(HW_REG_IB_STS2, 6, 4)
	s_mul_i32 s3, ttmp9, s3
	s_mov_b32 s9, 0
	s_add_co_i32 s4, s4, s3
	s_cmp_eq_u32 s5, 0
	s_mov_b32 s3, exec_lo
	s_cselect_b32 s8, ttmp9, s4
	s_delay_alu instid0(SALU_CYCLE_1) | instskip(NEXT) | instid1(VALU_DEP_1)
	v_or_b32_e32 v1, s8, v0
	v_cmpx_eq_u32_e32 0, v1
	s_cbranch_execz .LBB291_2
; %bb.1:
	s_wait_kmcnt 0x0
	v_dual_mov_b32 v1, 0 :: v_dual_mov_b32 v2, s2
	global_store_b32 v1, v2, s[6:7]
.LBB291_2:
	s_wait_xcnt 0x0
	s_or_b32 exec_lo, exec_lo, s3
	v_and_b32_e32 v4, 7, v0
	s_mov_b32 s3, exec_lo
	s_delay_alu instid0(VALU_DEP_1)
	v_cmpx_gt_u32_e32 6, v4
	s_cbranch_execz .LBB291_6
; %bb.3:
	s_clause 0x1
	s_load_b64 s[10:11], s[0:1], 0x28
	s_load_b32 s4, s[0:1], 0x18
	s_lshl_b64 s[12:13], s[8:9], 2
	v_lshrrev_b32_e32 v5, 3, v0
	s_mul_u64 s[8:9], s[8:9], 24
	s_wait_kmcnt 0x0
	s_add_nc_u64 s[6:7], s[6:7], s[8:9]
	s_add_nc_u64 s[10:11], s[10:11], s[12:13]
	s_load_b64 s[12:13], s[10:11], 0x0
	s_wait_kmcnt 0x0
	s_sub_co_i32 s3, s12, s4
	s_sub_co_i32 s13, s13, s4
	v_add_nc_u32_e32 v8, s3, v5
	s_sub_co_i32 s5, s13, s3
	s_mul_i32 s10, s3, 36
	s_mul_i32 s5, s5, 6
	s_delay_alu instid0(SALU_CYCLE_1) | instskip(SKIP_2) | instid1(VALU_DEP_2)
	v_mul_lo_u32 v6, s5, v4
	s_add_co_i32 s5, s5, s2
	v_cmp_gt_i32_e32 vcc_lo, s13, v8
	v_add3_u32 v0, s5, s10, v6
	global_store_b32 v4, v0, s[6:7] offset:4 scale_offset
	s_wait_xcnt 0x0
	s_and_b32 exec_lo, exec_lo, vcc_lo
	s_cbranch_execz .LBB291_6
; %bb.4:
	s_clause 0x2
	s_load_b64 s[6:7], s[0:1], 0x48
	s_load_b64 s[14:15], s[0:1], 0x20
	s_load_b32 s3, s[0:1], 0x0
	v_dual_mov_b32 v1, 0 :: v_dual_lshlrev_b32 v0, 4, v4
	s_clause 0x1
	s_load_b64 s[8:9], s[0:1], 0x30
	s_load_b64 s[10:11], s[0:1], 0x58
	v_mul_u32_u24_e32 v7, 6, v5
	s_wait_xcnt 0x0
	s_mul_i32 s0, s12, 36
	s_mov_b32 s5, 0
	s_delay_alu instid0(SALU_CYCLE_1)
	s_mov_b32 s1, s5
	v_add3_u32 v6, v6, s0, v7
	s_mul_i32 s0, s4, 36
	s_delay_alu instid0(VALU_DEP_1) | instid1(SALU_CYCLE_1)
	v_subrev_nc_u32_e32 v6, s0, v6
	s_wait_kmcnt 0x0
	v_add_nc_u64_e32 v[2:3], s[14:15], v[0:1]
	v_mul_lo_u32 v0, v8, 36
	s_cmp_eq_u32 s3, 0
	s_mov_b32 s3, s5
	s_cselect_b32 vcc_lo, -1, 0
	s_delay_alu instid0(VALU_DEP_2)
	v_mad_co_u64_u32 v[4:5], null, 0x50, v4, v[2:3]
.LBB291_5:                              ; =>This Inner Loop Header: Depth=1
	global_load_b64 v[34:35], v8, s[8:9] scale_offset
	v_lshlrev_b64_e32 v[10:11], 4, v[0:1]
	s_wait_xcnt 0x0
	v_dual_ashrrev_i32 v7, 31, v6 :: v_dual_add_nc_u32 v8, 32, v8
	v_add_nc_u32_e32 v0, 0x480, v0
	s_delay_alu instid0(VALU_DEP_2) | instskip(NEXT) | instid1(VALU_DEP_4)
	v_cmp_le_i32_e64 s0, s13, v8
	v_add_nc_u64_e32 v[12:13], v[2:3], v[10:11]
	v_add_nc_u64_e32 v[10:11], v[4:5], v[10:11]
	s_or_b32 s1, s0, s1
	s_delay_alu instid0(VALU_DEP_2) | instskip(NEXT) | instid1(VALU_DEP_2)
	v_add_nc_u64_e32 v[18:19], 0x60, v[12:13]
	v_add_nc_u64_e32 v[16:17], 16, v[10:11]
	;; [unrolled: 1-line block ×10, first 2 shown]
	v_dual_cndmask_b32 v15, v13, v11 :: v_dual_cndmask_b32 v14, v12, v10
	v_dual_cndmask_b32 v39, v19, v17 :: v_dual_cndmask_b32 v38, v18, v16
	;; [unrolled: 1-line block ×5, first 2 shown]
	global_load_b128 v[10:13], v[14:15], off
	v_dual_cndmask_b32 v37, v37, v33 :: v_dual_cndmask_b32 v36, v36, v32
	global_load_b128 v[14:17], v[38:39], off
	global_load_b128 v[18:21], v[40:41], off
	;; [unrolled: 1-line block ×5, first 2 shown]
	s_wait_xcnt 0x4
	v_lshl_add_u64 v[38:39], v[6:7], 3, s[10:11]
	s_wait_loadcnt 0x5
	global_store_b128 v6, v[10:13], s[6:7] scale_offset
	s_wait_loadcnt 0x4
	global_store_b128 v6, v[14:17], s[6:7] offset:16 scale_offset
	s_wait_loadcnt 0x3
	global_store_b128 v6, v[18:21], s[6:7] offset:32 scale_offset
	;; [unrolled: 2-line block ×3, first 2 shown]
	s_wait_xcnt 0x4
	v_sub_nc_u64_e64 v[36:37], v[34:35], s[4:5]
	s_wait_loadcnt 0x1
	global_store_b128 v6, v[26:29], s[6:7] offset:64 scale_offset
	s_wait_loadcnt 0x0
	global_store_b128 v6, v[30:33], s[6:7] offset:80 scale_offset
	s_wait_xcnt 0x0
	v_add_nc_u32_e32 v6, 0xc0, v6
	v_mad_nc_u64_u32 v[34:35], v36, 6, s[2:3]
	s_delay_alu instid0(VALU_DEP_1) | instskip(NEXT) | instid1(VALU_DEP_1)
	v_mad_u32 v35, v37, 6, v35
	v_add_nc_u64_e32 v[36:37], 1, v[34:35]
	v_add_nc_u64_e32 v[10:11], 2, v[34:35]
	;; [unrolled: 1-line block ×5, first 2 shown]
	s_clause 0x2
	global_store_b128 v[38:39], v[34:37], off
	global_store_b128 v[38:39], v[10:13], off offset:16
	global_store_b128 v[38:39], v[14:17], off offset:32
	s_wait_xcnt 0x0
	s_and_not1_b32 exec_lo, exec_lo, s1
	s_cbranch_execnz .LBB291_5
.LBB291_6:
	s_endpgm
	.section	.rodata,"a",@progbits
	.p2align	6, 0x0
	.amdhsa_kernel _ZN9rocsparseL32bsr2csr_block_per_row_2_7_kernelILj256ELj6E21rocsparse_complex_numIdEilEEv20rocsparse_direction_T3_S4_21rocsparse_index_base_PKT1_PKT2_PKS4_S4_S5_PS6_PS9_PS4_
		.amdhsa_group_segment_fixed_size 0
		.amdhsa_private_segment_fixed_size 0
		.amdhsa_kernarg_size 96
		.amdhsa_user_sgpr_count 2
		.amdhsa_user_sgpr_dispatch_ptr 0
		.amdhsa_user_sgpr_queue_ptr 0
		.amdhsa_user_sgpr_kernarg_segment_ptr 1
		.amdhsa_user_sgpr_dispatch_id 0
		.amdhsa_user_sgpr_kernarg_preload_length 0
		.amdhsa_user_sgpr_kernarg_preload_offset 0
		.amdhsa_user_sgpr_private_segment_size 0
		.amdhsa_wavefront_size32 1
		.amdhsa_uses_dynamic_stack 0
		.amdhsa_enable_private_segment 0
		.amdhsa_system_sgpr_workgroup_id_x 1
		.amdhsa_system_sgpr_workgroup_id_y 0
		.amdhsa_system_sgpr_workgroup_id_z 0
		.amdhsa_system_sgpr_workgroup_info 0
		.amdhsa_system_vgpr_workitem_id 0
		.amdhsa_next_free_vgpr 46
		.amdhsa_next_free_sgpr 16
		.amdhsa_named_barrier_count 0
		.amdhsa_reserve_vcc 1
		.amdhsa_float_round_mode_32 0
		.amdhsa_float_round_mode_16_64 0
		.amdhsa_float_denorm_mode_32 3
		.amdhsa_float_denorm_mode_16_64 3
		.amdhsa_fp16_overflow 0
		.amdhsa_memory_ordered 1
		.amdhsa_forward_progress 1
		.amdhsa_inst_pref_size 7
		.amdhsa_round_robin_scheduling 0
		.amdhsa_exception_fp_ieee_invalid_op 0
		.amdhsa_exception_fp_denorm_src 0
		.amdhsa_exception_fp_ieee_div_zero 0
		.amdhsa_exception_fp_ieee_overflow 0
		.amdhsa_exception_fp_ieee_underflow 0
		.amdhsa_exception_fp_ieee_inexact 0
		.amdhsa_exception_int_div_zero 0
	.end_amdhsa_kernel
	.section	.text._ZN9rocsparseL32bsr2csr_block_per_row_2_7_kernelILj256ELj6E21rocsparse_complex_numIdEilEEv20rocsparse_direction_T3_S4_21rocsparse_index_base_PKT1_PKT2_PKS4_S4_S5_PS6_PS9_PS4_,"axG",@progbits,_ZN9rocsparseL32bsr2csr_block_per_row_2_7_kernelILj256ELj6E21rocsparse_complex_numIdEilEEv20rocsparse_direction_T3_S4_21rocsparse_index_base_PKT1_PKT2_PKS4_S4_S5_PS6_PS9_PS4_,comdat
.Lfunc_end291:
	.size	_ZN9rocsparseL32bsr2csr_block_per_row_2_7_kernelILj256ELj6E21rocsparse_complex_numIdEilEEv20rocsparse_direction_T3_S4_21rocsparse_index_base_PKT1_PKT2_PKS4_S4_S5_PS6_PS9_PS4_, .Lfunc_end291-_ZN9rocsparseL32bsr2csr_block_per_row_2_7_kernelILj256ELj6E21rocsparse_complex_numIdEilEEv20rocsparse_direction_T3_S4_21rocsparse_index_base_PKT1_PKT2_PKS4_S4_S5_PS6_PS9_PS4_
                                        ; -- End function
	.set _ZN9rocsparseL32bsr2csr_block_per_row_2_7_kernelILj256ELj6E21rocsparse_complex_numIdEilEEv20rocsparse_direction_T3_S4_21rocsparse_index_base_PKT1_PKT2_PKS4_S4_S5_PS6_PS9_PS4_.num_vgpr, 46
	.set _ZN9rocsparseL32bsr2csr_block_per_row_2_7_kernelILj256ELj6E21rocsparse_complex_numIdEilEEv20rocsparse_direction_T3_S4_21rocsparse_index_base_PKT1_PKT2_PKS4_S4_S5_PS6_PS9_PS4_.num_agpr, 0
	.set _ZN9rocsparseL32bsr2csr_block_per_row_2_7_kernelILj256ELj6E21rocsparse_complex_numIdEilEEv20rocsparse_direction_T3_S4_21rocsparse_index_base_PKT1_PKT2_PKS4_S4_S5_PS6_PS9_PS4_.numbered_sgpr, 16
	.set _ZN9rocsparseL32bsr2csr_block_per_row_2_7_kernelILj256ELj6E21rocsparse_complex_numIdEilEEv20rocsparse_direction_T3_S4_21rocsparse_index_base_PKT1_PKT2_PKS4_S4_S5_PS6_PS9_PS4_.num_named_barrier, 0
	.set _ZN9rocsparseL32bsr2csr_block_per_row_2_7_kernelILj256ELj6E21rocsparse_complex_numIdEilEEv20rocsparse_direction_T3_S4_21rocsparse_index_base_PKT1_PKT2_PKS4_S4_S5_PS6_PS9_PS4_.private_seg_size, 0
	.set _ZN9rocsparseL32bsr2csr_block_per_row_2_7_kernelILj256ELj6E21rocsparse_complex_numIdEilEEv20rocsparse_direction_T3_S4_21rocsparse_index_base_PKT1_PKT2_PKS4_S4_S5_PS6_PS9_PS4_.uses_vcc, 1
	.set _ZN9rocsparseL32bsr2csr_block_per_row_2_7_kernelILj256ELj6E21rocsparse_complex_numIdEilEEv20rocsparse_direction_T3_S4_21rocsparse_index_base_PKT1_PKT2_PKS4_S4_S5_PS6_PS9_PS4_.uses_flat_scratch, 0
	.set _ZN9rocsparseL32bsr2csr_block_per_row_2_7_kernelILj256ELj6E21rocsparse_complex_numIdEilEEv20rocsparse_direction_T3_S4_21rocsparse_index_base_PKT1_PKT2_PKS4_S4_S5_PS6_PS9_PS4_.has_dyn_sized_stack, 0
	.set _ZN9rocsparseL32bsr2csr_block_per_row_2_7_kernelILj256ELj6E21rocsparse_complex_numIdEilEEv20rocsparse_direction_T3_S4_21rocsparse_index_base_PKT1_PKT2_PKS4_S4_S5_PS6_PS9_PS4_.has_recursion, 0
	.set _ZN9rocsparseL32bsr2csr_block_per_row_2_7_kernelILj256ELj6E21rocsparse_complex_numIdEilEEv20rocsparse_direction_T3_S4_21rocsparse_index_base_PKT1_PKT2_PKS4_S4_S5_PS6_PS9_PS4_.has_indirect_call, 0
	.section	.AMDGPU.csdata,"",@progbits
; Kernel info:
; codeLenInByte = 888
; TotalNumSgprs: 18
; NumVgprs: 46
; ScratchSize: 0
; MemoryBound: 0
; FloatMode: 240
; IeeeMode: 1
; LDSByteSize: 0 bytes/workgroup (compile time only)
; SGPRBlocks: 0
; VGPRBlocks: 2
; NumSGPRsForWavesPerEU: 18
; NumVGPRsForWavesPerEU: 46
; NamedBarCnt: 0
; Occupancy: 16
; WaveLimiterHint : 0
; COMPUTE_PGM_RSRC2:SCRATCH_EN: 0
; COMPUTE_PGM_RSRC2:USER_SGPR: 2
; COMPUTE_PGM_RSRC2:TRAP_HANDLER: 0
; COMPUTE_PGM_RSRC2:TGID_X_EN: 1
; COMPUTE_PGM_RSRC2:TGID_Y_EN: 0
; COMPUTE_PGM_RSRC2:TGID_Z_EN: 0
; COMPUTE_PGM_RSRC2:TIDIG_COMP_CNT: 0
	.section	.text._ZN9rocsparseL32bsr2csr_block_per_row_2_7_kernelILj256ELj7E21rocsparse_complex_numIdEilEEv20rocsparse_direction_T3_S4_21rocsparse_index_base_PKT1_PKT2_PKS4_S4_S5_PS6_PS9_PS4_,"axG",@progbits,_ZN9rocsparseL32bsr2csr_block_per_row_2_7_kernelILj256ELj7E21rocsparse_complex_numIdEilEEv20rocsparse_direction_T3_S4_21rocsparse_index_base_PKT1_PKT2_PKS4_S4_S5_PS6_PS9_PS4_,comdat
	.globl	_ZN9rocsparseL32bsr2csr_block_per_row_2_7_kernelILj256ELj7E21rocsparse_complex_numIdEilEEv20rocsparse_direction_T3_S4_21rocsparse_index_base_PKT1_PKT2_PKS4_S4_S5_PS6_PS9_PS4_ ; -- Begin function _ZN9rocsparseL32bsr2csr_block_per_row_2_7_kernelILj256ELj7E21rocsparse_complex_numIdEilEEv20rocsparse_direction_T3_S4_21rocsparse_index_base_PKT1_PKT2_PKS4_S4_S5_PS6_PS9_PS4_
	.p2align	8
	.type	_ZN9rocsparseL32bsr2csr_block_per_row_2_7_kernelILj256ELj7E21rocsparse_complex_numIdEilEEv20rocsparse_direction_T3_S4_21rocsparse_index_base_PKT1_PKT2_PKS4_S4_S5_PS6_PS9_PS4_,@function
_ZN9rocsparseL32bsr2csr_block_per_row_2_7_kernelILj256ELj7E21rocsparse_complex_numIdEilEEv20rocsparse_direction_T3_S4_21rocsparse_index_base_PKT1_PKT2_PKS4_S4_S5_PS6_PS9_PS4_: ; @_ZN9rocsparseL32bsr2csr_block_per_row_2_7_kernelILj256ELj7E21rocsparse_complex_numIdEilEEv20rocsparse_direction_T3_S4_21rocsparse_index_base_PKT1_PKT2_PKS4_S4_S5_PS6_PS9_PS4_
; %bb.0:
	s_clause 0x1
	s_load_b32 s2, s[0:1], 0x40
	s_load_b64 s[6:7], s[0:1], 0x50
	s_bfe_u32 s3, ttmp6, 0x4000c
	s_and_b32 s4, ttmp6, 15
	s_add_co_i32 s3, s3, 1
	s_getreg_b32 s5, hwreg(HW_REG_IB_STS2, 6, 4)
	s_mul_i32 s3, ttmp9, s3
	s_mov_b32 s9, 0
	s_add_co_i32 s4, s4, s3
	s_cmp_eq_u32 s5, 0
	s_mov_b32 s3, exec_lo
	s_cselect_b32 s8, ttmp9, s4
	s_delay_alu instid0(SALU_CYCLE_1) | instskip(NEXT) | instid1(VALU_DEP_1)
	v_or_b32_e32 v1, s8, v0
	v_cmpx_eq_u32_e32 0, v1
	s_cbranch_execz .LBB292_2
; %bb.1:
	s_wait_kmcnt 0x0
	v_dual_mov_b32 v1, 0 :: v_dual_mov_b32 v2, s2
	global_store_b32 v1, v2, s[6:7]
.LBB292_2:
	s_wait_xcnt 0x0
	s_or_b32 exec_lo, exec_lo, s3
	v_and_b32_e32 v4, 7, v0
	s_mov_b32 s3, exec_lo
	s_delay_alu instid0(VALU_DEP_1)
	v_cmpx_ne_u32_e32 7, v4
	s_cbranch_execz .LBB292_6
; %bb.3:
	s_clause 0x1
	s_load_b64 s[10:11], s[0:1], 0x28
	s_load_b32 s4, s[0:1], 0x18
	s_lshl_b64 s[12:13], s[8:9], 2
	v_lshrrev_b32_e32 v5, 3, v0
	s_mul_u64 s[8:9], s[8:9], 28
	s_wait_kmcnt 0x0
	s_add_nc_u64 s[6:7], s[6:7], s[8:9]
	s_add_nc_u64 s[10:11], s[10:11], s[12:13]
	s_load_b64 s[12:13], s[10:11], 0x0
	s_wait_kmcnt 0x0
	s_sub_co_i32 s3, s12, s4
	s_sub_co_i32 s13, s13, s4
	v_add_nc_u32_e32 v8, s3, v5
	s_sub_co_i32 s5, s13, s3
	s_mul_i32 s10, s3, 49
	s_mul_i32 s5, s5, 7
	s_delay_alu instid0(SALU_CYCLE_1) | instskip(SKIP_2) | instid1(VALU_DEP_2)
	v_mul_lo_u32 v6, s5, v4
	s_add_co_i32 s5, s5, s2
	v_cmp_gt_i32_e32 vcc_lo, s13, v8
	v_add3_u32 v0, s5, s10, v6
	global_store_b32 v4, v0, s[6:7] offset:4 scale_offset
	s_wait_xcnt 0x0
	s_and_b32 exec_lo, exec_lo, vcc_lo
	s_cbranch_execz .LBB292_6
; %bb.4:
	s_clause 0x2
	s_load_b64 s[6:7], s[0:1], 0x48
	s_load_b64 s[14:15], s[0:1], 0x20
	s_load_b32 s3, s[0:1], 0x0
	v_dual_mov_b32 v1, 0 :: v_dual_lshlrev_b32 v0, 4, v4
	s_clause 0x1
	s_load_b64 s[8:9], s[0:1], 0x30
	s_load_b64 s[10:11], s[0:1], 0x58
	v_mul_u32_u24_e32 v7, 7, v5
	s_wait_xcnt 0x0
	s_mul_i32 s0, s12, 49
	s_mov_b32 s5, 0
	s_delay_alu instid0(SALU_CYCLE_1)
	s_mov_b32 s1, s5
	v_add3_u32 v6, v6, s0, v7
	s_mul_i32 s0, s4, 49
	s_delay_alu instid0(VALU_DEP_1) | instid1(SALU_CYCLE_1)
	v_subrev_nc_u32_e32 v6, s0, v6
	s_wait_kmcnt 0x0
	v_add_nc_u64_e32 v[2:3], s[14:15], v[0:1]
	v_mul_lo_u32 v0, v8, 49
	s_cmp_eq_u32 s3, 0
	s_mov_b32 s3, s5
	s_cselect_b32 vcc_lo, -1, 0
	s_delay_alu instid0(VALU_DEP_2)
	v_mad_co_u64_u32 v[4:5], null, 0x60, v4, v[2:3]
.LBB292_5:                              ; =>This Inner Loop Header: Depth=1
	global_load_b64 v[38:39], v8, s[8:9] scale_offset
	v_lshlrev_b64_e32 v[10:11], 4, v[0:1]
	s_wait_xcnt 0x0
	v_dual_ashrrev_i32 v7, 31, v6 :: v_dual_add_nc_u32 v8, 32, v8
	v_add_nc_u32_e32 v0, 0x620, v0
	s_delay_alu instid0(VALU_DEP_2) | instskip(NEXT) | instid1(VALU_DEP_4)
	v_cmp_le_i32_e64 s0, s13, v8
	v_add_nc_u64_e32 v[12:13], v[2:3], v[10:11]
	v_add_nc_u64_e32 v[10:11], v[4:5], v[10:11]
	s_or_b32 s1, s0, s1
	s_delay_alu instid0(VALU_DEP_2) | instskip(NEXT) | instid1(VALU_DEP_2)
	v_add_nc_u64_e32 v[18:19], 0x70, v[12:13]
	v_add_nc_u64_e32 v[16:17], 16, v[10:11]
	;; [unrolled: 1-line block ×12, first 2 shown]
	v_dual_cndmask_b32 v15, v13, v11 :: v_dual_cndmask_b32 v14, v12, v10
	v_dual_cndmask_b32 v43, v19, v17 :: v_dual_cndmask_b32 v42, v18, v16
	;; [unrolled: 1-line block ×5, first 2 shown]
	global_load_b128 v[10:13], v[14:15], off
	v_dual_cndmask_b32 v51, v35, v33 :: v_dual_cndmask_b32 v50, v34, v32
	v_dual_cndmask_b32 v41, v41, v37 :: v_dual_cndmask_b32 v40, v40, v36
	global_load_b128 v[14:17], v[42:43], off
	global_load_b128 v[18:21], v[44:45], off
	;; [unrolled: 1-line block ×6, first 2 shown]
	s_wait_xcnt 0x5
	v_lshl_add_u64 v[42:43], v[6:7], 3, s[10:11]
	s_wait_loadcnt 0x6
	global_store_b128 v6, v[10:13], s[6:7] scale_offset
	s_wait_loadcnt 0x5
	global_store_b128 v6, v[14:17], s[6:7] offset:16 scale_offset
	s_wait_loadcnt 0x4
	global_store_b128 v6, v[18:21], s[6:7] offset:32 scale_offset
	;; [unrolled: 2-line block ×5, first 2 shown]
	s_wait_xcnt 0x6
	v_sub_nc_u64_e64 v[40:41], v[38:39], s[4:5]
	s_delay_alu instid0(VALU_DEP_1) | instskip(NEXT) | instid1(VALU_DEP_1)
	v_mad_nc_u64_u32 v[38:39], v40, 7, s[2:3]
	v_mad_u32 v39, v41, 7, v39
	s_wait_xcnt 0x3
	s_delay_alu instid0(VALU_DEP_1)
	v_add_nc_u64_e32 v[18:19], 6, v[38:39]
	v_add_nc_u64_e32 v[40:41], 1, v[38:39]
	;; [unrolled: 1-line block ×6, first 2 shown]
	global_store_b64 v6, v[18:19], s[10:11] offset:48 scale_offset
	s_wait_loadcnt 0x0
	global_store_b128 v6, v[34:37], s[6:7] offset:96 scale_offset
	s_wait_xcnt 0x0
	v_add_nc_u32_e32 v6, 0xe0, v6
	s_clause 0x2
	global_store_b128 v[42:43], v[38:41], off
	global_store_b128 v[42:43], v[10:13], off offset:16
	global_store_b128 v[42:43], v[14:17], off offset:32
	s_wait_xcnt 0x0
	s_and_not1_b32 exec_lo, exec_lo, s1
	s_cbranch_execnz .LBB292_5
.LBB292_6:
	s_endpgm
	.section	.rodata,"a",@progbits
	.p2align	6, 0x0
	.amdhsa_kernel _ZN9rocsparseL32bsr2csr_block_per_row_2_7_kernelILj256ELj7E21rocsparse_complex_numIdEilEEv20rocsparse_direction_T3_S4_21rocsparse_index_base_PKT1_PKT2_PKS4_S4_S5_PS6_PS9_PS4_
		.amdhsa_group_segment_fixed_size 0
		.amdhsa_private_segment_fixed_size 0
		.amdhsa_kernarg_size 96
		.amdhsa_user_sgpr_count 2
		.amdhsa_user_sgpr_dispatch_ptr 0
		.amdhsa_user_sgpr_queue_ptr 0
		.amdhsa_user_sgpr_kernarg_segment_ptr 1
		.amdhsa_user_sgpr_dispatch_id 0
		.amdhsa_user_sgpr_kernarg_preload_length 0
		.amdhsa_user_sgpr_kernarg_preload_offset 0
		.amdhsa_user_sgpr_private_segment_size 0
		.amdhsa_wavefront_size32 1
		.amdhsa_uses_dynamic_stack 0
		.amdhsa_enable_private_segment 0
		.amdhsa_system_sgpr_workgroup_id_x 1
		.amdhsa_system_sgpr_workgroup_id_y 0
		.amdhsa_system_sgpr_workgroup_id_z 0
		.amdhsa_system_sgpr_workgroup_info 0
		.amdhsa_system_vgpr_workitem_id 0
		.amdhsa_next_free_vgpr 52
		.amdhsa_next_free_sgpr 16
		.amdhsa_named_barrier_count 0
		.amdhsa_reserve_vcc 1
		.amdhsa_float_round_mode_32 0
		.amdhsa_float_round_mode_16_64 0
		.amdhsa_float_denorm_mode_32 3
		.amdhsa_float_denorm_mode_16_64 3
		.amdhsa_fp16_overflow 0
		.amdhsa_memory_ordered 1
		.amdhsa_forward_progress 1
		.amdhsa_inst_pref_size 8
		.amdhsa_round_robin_scheduling 0
		.amdhsa_exception_fp_ieee_invalid_op 0
		.amdhsa_exception_fp_denorm_src 0
		.amdhsa_exception_fp_ieee_div_zero 0
		.amdhsa_exception_fp_ieee_overflow 0
		.amdhsa_exception_fp_ieee_underflow 0
		.amdhsa_exception_fp_ieee_inexact 0
		.amdhsa_exception_int_div_zero 0
	.end_amdhsa_kernel
	.section	.text._ZN9rocsparseL32bsr2csr_block_per_row_2_7_kernelILj256ELj7E21rocsparse_complex_numIdEilEEv20rocsparse_direction_T3_S4_21rocsparse_index_base_PKT1_PKT2_PKS4_S4_S5_PS6_PS9_PS4_,"axG",@progbits,_ZN9rocsparseL32bsr2csr_block_per_row_2_7_kernelILj256ELj7E21rocsparse_complex_numIdEilEEv20rocsparse_direction_T3_S4_21rocsparse_index_base_PKT1_PKT2_PKS4_S4_S5_PS6_PS9_PS4_,comdat
.Lfunc_end292:
	.size	_ZN9rocsparseL32bsr2csr_block_per_row_2_7_kernelILj256ELj7E21rocsparse_complex_numIdEilEEv20rocsparse_direction_T3_S4_21rocsparse_index_base_PKT1_PKT2_PKS4_S4_S5_PS6_PS9_PS4_, .Lfunc_end292-_ZN9rocsparseL32bsr2csr_block_per_row_2_7_kernelILj256ELj7E21rocsparse_complex_numIdEilEEv20rocsparse_direction_T3_S4_21rocsparse_index_base_PKT1_PKT2_PKS4_S4_S5_PS6_PS9_PS4_
                                        ; -- End function
	.set _ZN9rocsparseL32bsr2csr_block_per_row_2_7_kernelILj256ELj7E21rocsparse_complex_numIdEilEEv20rocsparse_direction_T3_S4_21rocsparse_index_base_PKT1_PKT2_PKS4_S4_S5_PS6_PS9_PS4_.num_vgpr, 52
	.set _ZN9rocsparseL32bsr2csr_block_per_row_2_7_kernelILj256ELj7E21rocsparse_complex_numIdEilEEv20rocsparse_direction_T3_S4_21rocsparse_index_base_PKT1_PKT2_PKS4_S4_S5_PS6_PS9_PS4_.num_agpr, 0
	.set _ZN9rocsparseL32bsr2csr_block_per_row_2_7_kernelILj256ELj7E21rocsparse_complex_numIdEilEEv20rocsparse_direction_T3_S4_21rocsparse_index_base_PKT1_PKT2_PKS4_S4_S5_PS6_PS9_PS4_.numbered_sgpr, 16
	.set _ZN9rocsparseL32bsr2csr_block_per_row_2_7_kernelILj256ELj7E21rocsparse_complex_numIdEilEEv20rocsparse_direction_T3_S4_21rocsparse_index_base_PKT1_PKT2_PKS4_S4_S5_PS6_PS9_PS4_.num_named_barrier, 0
	.set _ZN9rocsparseL32bsr2csr_block_per_row_2_7_kernelILj256ELj7E21rocsparse_complex_numIdEilEEv20rocsparse_direction_T3_S4_21rocsparse_index_base_PKT1_PKT2_PKS4_S4_S5_PS6_PS9_PS4_.private_seg_size, 0
	.set _ZN9rocsparseL32bsr2csr_block_per_row_2_7_kernelILj256ELj7E21rocsparse_complex_numIdEilEEv20rocsparse_direction_T3_S4_21rocsparse_index_base_PKT1_PKT2_PKS4_S4_S5_PS6_PS9_PS4_.uses_vcc, 1
	.set _ZN9rocsparseL32bsr2csr_block_per_row_2_7_kernelILj256ELj7E21rocsparse_complex_numIdEilEEv20rocsparse_direction_T3_S4_21rocsparse_index_base_PKT1_PKT2_PKS4_S4_S5_PS6_PS9_PS4_.uses_flat_scratch, 0
	.set _ZN9rocsparseL32bsr2csr_block_per_row_2_7_kernelILj256ELj7E21rocsparse_complex_numIdEilEEv20rocsparse_direction_T3_S4_21rocsparse_index_base_PKT1_PKT2_PKS4_S4_S5_PS6_PS9_PS4_.has_dyn_sized_stack, 0
	.set _ZN9rocsparseL32bsr2csr_block_per_row_2_7_kernelILj256ELj7E21rocsparse_complex_numIdEilEEv20rocsparse_direction_T3_S4_21rocsparse_index_base_PKT1_PKT2_PKS4_S4_S5_PS6_PS9_PS4_.has_recursion, 0
	.set _ZN9rocsparseL32bsr2csr_block_per_row_2_7_kernelILj256ELj7E21rocsparse_complex_numIdEilEEv20rocsparse_direction_T3_S4_21rocsparse_index_base_PKT1_PKT2_PKS4_S4_S5_PS6_PS9_PS4_.has_indirect_call, 0
	.section	.AMDGPU.csdata,"",@progbits
; Kernel info:
; codeLenInByte = 964
; TotalNumSgprs: 18
; NumVgprs: 52
; ScratchSize: 0
; MemoryBound: 0
; FloatMode: 240
; IeeeMode: 1
; LDSByteSize: 0 bytes/workgroup (compile time only)
; SGPRBlocks: 0
; VGPRBlocks: 3
; NumSGPRsForWavesPerEU: 18
; NumVGPRsForWavesPerEU: 52
; NamedBarCnt: 0
; Occupancy: 16
; WaveLimiterHint : 0
; COMPUTE_PGM_RSRC2:SCRATCH_EN: 0
; COMPUTE_PGM_RSRC2:USER_SGPR: 2
; COMPUTE_PGM_RSRC2:TRAP_HANDLER: 0
; COMPUTE_PGM_RSRC2:TGID_X_EN: 1
; COMPUTE_PGM_RSRC2:TGID_Y_EN: 0
; COMPUTE_PGM_RSRC2:TGID_Z_EN: 0
; COMPUTE_PGM_RSRC2:TIDIG_COMP_CNT: 0
	.section	.text._ZN9rocsparseL33bsr2csr_block_per_row_8_32_kernelILj1024ELj8E21rocsparse_complex_numIdEilEEv20rocsparse_direction_T3_S4_21rocsparse_index_base_PKT1_PKT2_PKS4_S4_S5_PS6_PS9_PS4_,"axG",@progbits,_ZN9rocsparseL33bsr2csr_block_per_row_8_32_kernelILj1024ELj8E21rocsparse_complex_numIdEilEEv20rocsparse_direction_T3_S4_21rocsparse_index_base_PKT1_PKT2_PKS4_S4_S5_PS6_PS9_PS4_,comdat
	.globl	_ZN9rocsparseL33bsr2csr_block_per_row_8_32_kernelILj1024ELj8E21rocsparse_complex_numIdEilEEv20rocsparse_direction_T3_S4_21rocsparse_index_base_PKT1_PKT2_PKS4_S4_S5_PS6_PS9_PS4_ ; -- Begin function _ZN9rocsparseL33bsr2csr_block_per_row_8_32_kernelILj1024ELj8E21rocsparse_complex_numIdEilEEv20rocsparse_direction_T3_S4_21rocsparse_index_base_PKT1_PKT2_PKS4_S4_S5_PS6_PS9_PS4_
	.p2align	8
	.type	_ZN9rocsparseL33bsr2csr_block_per_row_8_32_kernelILj1024ELj8E21rocsparse_complex_numIdEilEEv20rocsparse_direction_T3_S4_21rocsparse_index_base_PKT1_PKT2_PKS4_S4_S5_PS6_PS9_PS4_,@function
_ZN9rocsparseL33bsr2csr_block_per_row_8_32_kernelILj1024ELj8E21rocsparse_complex_numIdEilEEv20rocsparse_direction_T3_S4_21rocsparse_index_base_PKT1_PKT2_PKS4_S4_S5_PS6_PS9_PS4_: ; @_ZN9rocsparseL33bsr2csr_block_per_row_8_32_kernelILj1024ELj8E21rocsparse_complex_numIdEilEEv20rocsparse_direction_T3_S4_21rocsparse_index_base_PKT1_PKT2_PKS4_S4_S5_PS6_PS9_PS4_
; %bb.0:
	s_clause 0x1
	s_load_b32 s8, s[0:1], 0x40
	s_load_b64 s[10:11], s[0:1], 0x50
	s_bfe_u32 s2, ttmp6, 0x4000c
	s_and_b32 s3, ttmp6, 15
	s_add_co_i32 s2, s2, 1
	s_getreg_b32 s4, hwreg(HW_REG_IB_STS2, 6, 4)
	s_mul_i32 s2, ttmp9, s2
	s_mov_b32 s13, 0
	s_add_co_i32 s3, s3, s2
	s_cmp_eq_u32 s4, 0
	s_mov_b32 s2, exec_lo
	s_cselect_b32 s12, ttmp9, s3
	s_delay_alu instid0(SALU_CYCLE_1) | instskip(NEXT) | instid1(VALU_DEP_1)
	v_or_b32_e32 v1, s12, v0
	v_cmpx_eq_u32_e32 0, v1
	s_cbranch_execz .LBB293_2
; %bb.1:
	s_wait_kmcnt 0x0
	v_dual_mov_b32 v1, 0 :: v_dual_mov_b32 v2, s8
	global_store_b32 v1, v2, s[10:11]
.LBB293_2:
	s_wait_xcnt 0x0
	s_or_b32 exec_lo, exec_lo, s2
	v_dual_mov_b32 v3, 0 :: v_dual_bitop2_b32 v2, 7, v0 bitop3:0x40
	v_bfe_u32 v4, v0, 3, 3
	s_load_b64 s[2:3], s[0:1], 0x38
	s_mov_b32 s4, exec_lo
	s_delay_alu instid0(VALU_DEP_2) | instskip(NEXT) | instid1(VALU_DEP_1)
	v_mov_b32_e32 v5, v3
	v_max_i64 v[6:7], v[4:5], v[2:3]
	s_wait_kmcnt 0x0
	s_delay_alu instid0(VALU_DEP_1)
	v_cmpx_gt_i64_e64 s[2:3], v[6:7]
	s_cbranch_execz .LBB293_6
; %bb.3:
	s_clause 0x1
	s_load_b64 s[6:7], s[0:1], 0x28
	s_load_b32 s4, s[0:1], 0x18
	s_lshl_b64 s[14:15], s[12:13], 2
	v_lshrrev_b32_e32 v1, 6, v0
	s_mul_u64 s[12:13], s[2:3], s[12:13]
	s_delay_alu instid0(SALU_CYCLE_1) | instskip(NEXT) | instid1(SALU_CYCLE_1)
	s_lshl_b64 s[12:13], s[12:13], 2
	s_add_nc_u64 s[10:11], s[10:11], s[12:13]
	s_wait_kmcnt 0x0
	s_add_nc_u64 s[6:7], s[6:7], s[14:15]
	s_load_b64 s[14:15], s[6:7], 0x0
	s_wait_xcnt 0x0
	s_mul_u64 s[6:7], s[2:3], s[2:3]
	s_wait_kmcnt 0x0
	s_sub_co_i32 s9, s14, s4
	s_sub_co_i32 s16, s15, s4
	s_mul_i32 s15, s6, s9
	s_sub_co_i32 s5, s16, s9
	v_add_nc_u32_e32 v0, s9, v1
	s_mul_i32 s14, s2, s5
	s_delay_alu instid0(SALU_CYCLE_1) | instskip(NEXT) | instid1(SALU_CYCLE_1)
	s_add_co_i32 s17, s8, s14
	s_add_co_i32 s17, s17, s15
	s_delay_alu instid0(VALU_DEP_1)
	v_cmp_gt_i32_e32 vcc_lo, s16, v0
	v_mad_u32 v6, s14, v4, s17
	global_store_b32 v4, v6, s[10:11] offset:4 scale_offset
	s_wait_xcnt 0x0
	s_and_b32 exec_lo, exec_lo, vcc_lo
	s_cbranch_execz .LBB293_6
; %bb.4:
	v_mul_u64_e32 v[6:7], s[2:3], v[2:3]
	v_mul_u64_e32 v[8:9], s[2:3], v[4:5]
	s_clause 0x2
	s_load_b64 s[10:11], s[0:1], 0x48
	s_load_b64 s[18:19], s[0:1], 0x20
	s_load_b32 s17, s[0:1], 0x0
	v_mad_u32 v1, s2, s9, v1
	v_dual_mov_b32 v11, 0 :: v_dual_lshlrev_b32 v10, 4, v4
	s_clause 0x1
	s_load_b64 s[12:13], s[0:1], 0x30
	s_load_b64 s[14:15], s[0:1], 0x58
	s_delay_alu instid0(VALU_DEP_2) | instskip(SKIP_1) | instid1(SALU_CYCLE_1)
	v_mad_u32 v1, s5, v4, v1
	s_mov_b32 s5, 0
	s_mov_b32 s9, s5
	s_wait_xcnt 0x0
	s_mov_b32 s0, s5
	s_wait_kmcnt 0x0
	s_cmp_eq_u32 s17, 0
	s_cselect_b32 vcc_lo, -1, 0
	s_lshl_b32 s1, s2, 4
	v_lshl_add_u64 v[6:7], v[6:7], 4, s[18:19]
	v_lshl_add_u64 v[4:5], v[8:9], 4, s[18:19]
	s_delay_alu instid0(VALU_DEP_2) | instskip(SKIP_1) | instid1(VALU_DEP_1)
	v_add_nc_u64_e32 v[6:7], v[6:7], v[10:11]
	v_lshlrev_b32_e32 v10, 4, v2
	v_add_nc_u64_e32 v[8:9], v[4:5], v[10:11]
	v_mad_u32 v5, s2, v1, v2
	v_add_nc_u64_e32 v[2:3], s[8:9], v[2:3]
	s_mov_b32 s8, s5
	s_delay_alu instid0(VALU_DEP_3) | instskip(NEXT) | instid1(VALU_DEP_4)
	v_dual_mov_b32 v4, v11 :: v_dual_cndmask_b32 v6, v6, v8, vcc_lo
	v_cndmask_b32_e32 v7, v7, v9, vcc_lo
.LBB293_5:                              ; =>This Inner Loop Header: Depth=1
	v_ashrrev_i32_e32 v1, 31, v0
	global_load_b64 v[12:13], v0, s[12:13] scale_offset
	v_ashrrev_i64 v[16:17], 29, v[4:5]
	v_ashrrev_i64 v[18:19], 28, v[4:5]
	v_add_nc_u64_e32 v[4:5], s[0:1], v[4:5]
	v_mul_u64_e32 v[8:9], s[6:7], v[0:1]
	s_wait_xcnt 0x0
	v_add_nc_u32_e32 v0, 16, v0
	s_delay_alu instid0(VALU_DEP_1) | instskip(SKIP_1) | instid1(VALU_DEP_3)
	v_cmp_le_i32_e32 vcc_lo, s16, v0
	s_or_b32 s8, vcc_lo, s8
	v_lshl_add_u64 v[8:9], v[8:9], 4, v[6:7]
	global_load_b128 v[8:11], v[8:9], off
	s_wait_loadcnt 0x1
	v_sub_nc_u64_e64 v[12:13], v[12:13], s[4:5]
	s_delay_alu instid0(VALU_DEP_1) | instskip(NEXT) | instid1(VALU_DEP_1)
	v_mad_nc_u64_u32 v[14:15], v12, s2, v[2:3]
	v_mad_u32 v1, v13, s2, v15
	s_delay_alu instid0(VALU_DEP_1)
	v_mad_u32 v15, v12, s3, v1
	v_add_nc_u64_e32 v[12:13], s[14:15], v[16:17]
	v_add_nc_u64_e32 v[16:17], s[10:11], v[18:19]
	global_store_b64 v[12:13], v[14:15], off
	s_wait_loadcnt 0x0
	global_store_b128 v[16:17], v[8:11], off
	s_wait_xcnt 0x0
	s_and_not1_b32 exec_lo, exec_lo, s8
	s_cbranch_execnz .LBB293_5
.LBB293_6:
	s_endpgm
	.section	.rodata,"a",@progbits
	.p2align	6, 0x0
	.amdhsa_kernel _ZN9rocsparseL33bsr2csr_block_per_row_8_32_kernelILj1024ELj8E21rocsparse_complex_numIdEilEEv20rocsparse_direction_T3_S4_21rocsparse_index_base_PKT1_PKT2_PKS4_S4_S5_PS6_PS9_PS4_
		.amdhsa_group_segment_fixed_size 0
		.amdhsa_private_segment_fixed_size 0
		.amdhsa_kernarg_size 96
		.amdhsa_user_sgpr_count 2
		.amdhsa_user_sgpr_dispatch_ptr 0
		.amdhsa_user_sgpr_queue_ptr 0
		.amdhsa_user_sgpr_kernarg_segment_ptr 1
		.amdhsa_user_sgpr_dispatch_id 0
		.amdhsa_user_sgpr_kernarg_preload_length 0
		.amdhsa_user_sgpr_kernarg_preload_offset 0
		.amdhsa_user_sgpr_private_segment_size 0
		.amdhsa_wavefront_size32 1
		.amdhsa_uses_dynamic_stack 0
		.amdhsa_enable_private_segment 0
		.amdhsa_system_sgpr_workgroup_id_x 1
		.amdhsa_system_sgpr_workgroup_id_y 0
		.amdhsa_system_sgpr_workgroup_id_z 0
		.amdhsa_system_sgpr_workgroup_info 0
		.amdhsa_system_vgpr_workitem_id 0
		.amdhsa_next_free_vgpr 20
		.amdhsa_next_free_sgpr 20
		.amdhsa_named_barrier_count 0
		.amdhsa_reserve_vcc 1
		.amdhsa_float_round_mode_32 0
		.amdhsa_float_round_mode_16_64 0
		.amdhsa_float_denorm_mode_32 3
		.amdhsa_float_denorm_mode_16_64 3
		.amdhsa_fp16_overflow 0
		.amdhsa_memory_ordered 1
		.amdhsa_forward_progress 1
		.amdhsa_inst_pref_size 6
		.amdhsa_round_robin_scheduling 0
		.amdhsa_exception_fp_ieee_invalid_op 0
		.amdhsa_exception_fp_denorm_src 0
		.amdhsa_exception_fp_ieee_div_zero 0
		.amdhsa_exception_fp_ieee_overflow 0
		.amdhsa_exception_fp_ieee_underflow 0
		.amdhsa_exception_fp_ieee_inexact 0
		.amdhsa_exception_int_div_zero 0
	.end_amdhsa_kernel
	.section	.text._ZN9rocsparseL33bsr2csr_block_per_row_8_32_kernelILj1024ELj8E21rocsparse_complex_numIdEilEEv20rocsparse_direction_T3_S4_21rocsparse_index_base_PKT1_PKT2_PKS4_S4_S5_PS6_PS9_PS4_,"axG",@progbits,_ZN9rocsparseL33bsr2csr_block_per_row_8_32_kernelILj1024ELj8E21rocsparse_complex_numIdEilEEv20rocsparse_direction_T3_S4_21rocsparse_index_base_PKT1_PKT2_PKS4_S4_S5_PS6_PS9_PS4_,comdat
.Lfunc_end293:
	.size	_ZN9rocsparseL33bsr2csr_block_per_row_8_32_kernelILj1024ELj8E21rocsparse_complex_numIdEilEEv20rocsparse_direction_T3_S4_21rocsparse_index_base_PKT1_PKT2_PKS4_S4_S5_PS6_PS9_PS4_, .Lfunc_end293-_ZN9rocsparseL33bsr2csr_block_per_row_8_32_kernelILj1024ELj8E21rocsparse_complex_numIdEilEEv20rocsparse_direction_T3_S4_21rocsparse_index_base_PKT1_PKT2_PKS4_S4_S5_PS6_PS9_PS4_
                                        ; -- End function
	.set _ZN9rocsparseL33bsr2csr_block_per_row_8_32_kernelILj1024ELj8E21rocsparse_complex_numIdEilEEv20rocsparse_direction_T3_S4_21rocsparse_index_base_PKT1_PKT2_PKS4_S4_S5_PS6_PS9_PS4_.num_vgpr, 20
	.set _ZN9rocsparseL33bsr2csr_block_per_row_8_32_kernelILj1024ELj8E21rocsparse_complex_numIdEilEEv20rocsparse_direction_T3_S4_21rocsparse_index_base_PKT1_PKT2_PKS4_S4_S5_PS6_PS9_PS4_.num_agpr, 0
	.set _ZN9rocsparseL33bsr2csr_block_per_row_8_32_kernelILj1024ELj8E21rocsparse_complex_numIdEilEEv20rocsparse_direction_T3_S4_21rocsparse_index_base_PKT1_PKT2_PKS4_S4_S5_PS6_PS9_PS4_.numbered_sgpr, 20
	.set _ZN9rocsparseL33bsr2csr_block_per_row_8_32_kernelILj1024ELj8E21rocsparse_complex_numIdEilEEv20rocsparse_direction_T3_S4_21rocsparse_index_base_PKT1_PKT2_PKS4_S4_S5_PS6_PS9_PS4_.num_named_barrier, 0
	.set _ZN9rocsparseL33bsr2csr_block_per_row_8_32_kernelILj1024ELj8E21rocsparse_complex_numIdEilEEv20rocsparse_direction_T3_S4_21rocsparse_index_base_PKT1_PKT2_PKS4_S4_S5_PS6_PS9_PS4_.private_seg_size, 0
	.set _ZN9rocsparseL33bsr2csr_block_per_row_8_32_kernelILj1024ELj8E21rocsparse_complex_numIdEilEEv20rocsparse_direction_T3_S4_21rocsparse_index_base_PKT1_PKT2_PKS4_S4_S5_PS6_PS9_PS4_.uses_vcc, 1
	.set _ZN9rocsparseL33bsr2csr_block_per_row_8_32_kernelILj1024ELj8E21rocsparse_complex_numIdEilEEv20rocsparse_direction_T3_S4_21rocsparse_index_base_PKT1_PKT2_PKS4_S4_S5_PS6_PS9_PS4_.uses_flat_scratch, 0
	.set _ZN9rocsparseL33bsr2csr_block_per_row_8_32_kernelILj1024ELj8E21rocsparse_complex_numIdEilEEv20rocsparse_direction_T3_S4_21rocsparse_index_base_PKT1_PKT2_PKS4_S4_S5_PS6_PS9_PS4_.has_dyn_sized_stack, 0
	.set _ZN9rocsparseL33bsr2csr_block_per_row_8_32_kernelILj1024ELj8E21rocsparse_complex_numIdEilEEv20rocsparse_direction_T3_S4_21rocsparse_index_base_PKT1_PKT2_PKS4_S4_S5_PS6_PS9_PS4_.has_recursion, 0
	.set _ZN9rocsparseL33bsr2csr_block_per_row_8_32_kernelILj1024ELj8E21rocsparse_complex_numIdEilEEv20rocsparse_direction_T3_S4_21rocsparse_index_base_PKT1_PKT2_PKS4_S4_S5_PS6_PS9_PS4_.has_indirect_call, 0
	.section	.AMDGPU.csdata,"",@progbits
; Kernel info:
; codeLenInByte = 688
; TotalNumSgprs: 22
; NumVgprs: 20
; ScratchSize: 0
; MemoryBound: 0
; FloatMode: 240
; IeeeMode: 1
; LDSByteSize: 0 bytes/workgroup (compile time only)
; SGPRBlocks: 0
; VGPRBlocks: 1
; NumSGPRsForWavesPerEU: 22
; NumVGPRsForWavesPerEU: 20
; NamedBarCnt: 0
; Occupancy: 16
; WaveLimiterHint : 0
; COMPUTE_PGM_RSRC2:SCRATCH_EN: 0
; COMPUTE_PGM_RSRC2:USER_SGPR: 2
; COMPUTE_PGM_RSRC2:TRAP_HANDLER: 0
; COMPUTE_PGM_RSRC2:TGID_X_EN: 1
; COMPUTE_PGM_RSRC2:TGID_Y_EN: 0
; COMPUTE_PGM_RSRC2:TGID_Z_EN: 0
; COMPUTE_PGM_RSRC2:TIDIG_COMP_CNT: 0
	.section	.text._ZN9rocsparseL33bsr2csr_block_per_row_8_32_kernelILj1024ELj16E21rocsparse_complex_numIdEilEEv20rocsparse_direction_T3_S4_21rocsparse_index_base_PKT1_PKT2_PKS4_S4_S5_PS6_PS9_PS4_,"axG",@progbits,_ZN9rocsparseL33bsr2csr_block_per_row_8_32_kernelILj1024ELj16E21rocsparse_complex_numIdEilEEv20rocsparse_direction_T3_S4_21rocsparse_index_base_PKT1_PKT2_PKS4_S4_S5_PS6_PS9_PS4_,comdat
	.globl	_ZN9rocsparseL33bsr2csr_block_per_row_8_32_kernelILj1024ELj16E21rocsparse_complex_numIdEilEEv20rocsparse_direction_T3_S4_21rocsparse_index_base_PKT1_PKT2_PKS4_S4_S5_PS6_PS9_PS4_ ; -- Begin function _ZN9rocsparseL33bsr2csr_block_per_row_8_32_kernelILj1024ELj16E21rocsparse_complex_numIdEilEEv20rocsparse_direction_T3_S4_21rocsparse_index_base_PKT1_PKT2_PKS4_S4_S5_PS6_PS9_PS4_
	.p2align	8
	.type	_ZN9rocsparseL33bsr2csr_block_per_row_8_32_kernelILj1024ELj16E21rocsparse_complex_numIdEilEEv20rocsparse_direction_T3_S4_21rocsparse_index_base_PKT1_PKT2_PKS4_S4_S5_PS6_PS9_PS4_,@function
_ZN9rocsparseL33bsr2csr_block_per_row_8_32_kernelILj1024ELj16E21rocsparse_complex_numIdEilEEv20rocsparse_direction_T3_S4_21rocsparse_index_base_PKT1_PKT2_PKS4_S4_S5_PS6_PS9_PS4_: ; @_ZN9rocsparseL33bsr2csr_block_per_row_8_32_kernelILj1024ELj16E21rocsparse_complex_numIdEilEEv20rocsparse_direction_T3_S4_21rocsparse_index_base_PKT1_PKT2_PKS4_S4_S5_PS6_PS9_PS4_
; %bb.0:
	s_clause 0x1
	s_load_b32 s8, s[0:1], 0x40
	s_load_b64 s[10:11], s[0:1], 0x50
	s_bfe_u32 s2, ttmp6, 0x4000c
	s_and_b32 s3, ttmp6, 15
	s_add_co_i32 s2, s2, 1
	s_getreg_b32 s4, hwreg(HW_REG_IB_STS2, 6, 4)
	s_mul_i32 s2, ttmp9, s2
	s_mov_b32 s13, 0
	s_add_co_i32 s3, s3, s2
	s_cmp_eq_u32 s4, 0
	s_mov_b32 s2, exec_lo
	s_cselect_b32 s12, ttmp9, s3
	s_delay_alu instid0(SALU_CYCLE_1) | instskip(NEXT) | instid1(VALU_DEP_1)
	v_or_b32_e32 v1, s12, v0
	v_cmpx_eq_u32_e32 0, v1
	s_cbranch_execz .LBB294_2
; %bb.1:
	s_wait_kmcnt 0x0
	v_dual_mov_b32 v1, 0 :: v_dual_mov_b32 v2, s8
	global_store_b32 v1, v2, s[10:11]
.LBB294_2:
	s_wait_xcnt 0x0
	s_or_b32 exec_lo, exec_lo, s2
	v_dual_mov_b32 v3, 0 :: v_dual_bitop2_b32 v2, 15, v0 bitop3:0x40
	v_bfe_u32 v4, v0, 4, 4
	s_load_b64 s[2:3], s[0:1], 0x38
	s_mov_b32 s4, exec_lo
	s_delay_alu instid0(VALU_DEP_2) | instskip(NEXT) | instid1(VALU_DEP_1)
	v_mov_b32_e32 v5, v3
	v_max_i64 v[6:7], v[4:5], v[2:3]
	s_wait_kmcnt 0x0
	s_delay_alu instid0(VALU_DEP_1)
	v_cmpx_gt_i64_e64 s[2:3], v[6:7]
	s_cbranch_execz .LBB294_6
; %bb.3:
	s_clause 0x1
	s_load_b64 s[6:7], s[0:1], 0x28
	s_load_b32 s4, s[0:1], 0x18
	s_lshl_b64 s[14:15], s[12:13], 2
	v_lshrrev_b32_e32 v1, 8, v0
	s_mul_u64 s[12:13], s[2:3], s[12:13]
	s_delay_alu instid0(SALU_CYCLE_1) | instskip(NEXT) | instid1(SALU_CYCLE_1)
	s_lshl_b64 s[12:13], s[12:13], 2
	s_add_nc_u64 s[10:11], s[10:11], s[12:13]
	s_wait_kmcnt 0x0
	s_add_nc_u64 s[6:7], s[6:7], s[14:15]
	s_load_b64 s[14:15], s[6:7], 0x0
	s_wait_xcnt 0x0
	s_mul_u64 s[6:7], s[2:3], s[2:3]
	s_wait_kmcnt 0x0
	s_sub_co_i32 s9, s14, s4
	s_sub_co_i32 s16, s15, s4
	s_mul_i32 s15, s6, s9
	s_sub_co_i32 s5, s16, s9
	v_add_nc_u32_e32 v0, s9, v1
	s_mul_i32 s14, s2, s5
	s_delay_alu instid0(SALU_CYCLE_1) | instskip(NEXT) | instid1(SALU_CYCLE_1)
	s_add_co_i32 s17, s8, s14
	s_add_co_i32 s17, s17, s15
	s_delay_alu instid0(VALU_DEP_1)
	v_cmp_gt_i32_e32 vcc_lo, s16, v0
	v_mad_u32 v6, s14, v4, s17
	global_store_b32 v4, v6, s[10:11] offset:4 scale_offset
	s_wait_xcnt 0x0
	s_and_b32 exec_lo, exec_lo, vcc_lo
	s_cbranch_execz .LBB294_6
; %bb.4:
	v_mul_u64_e32 v[6:7], s[2:3], v[2:3]
	v_mul_u64_e32 v[8:9], s[2:3], v[4:5]
	s_clause 0x2
	s_load_b64 s[10:11], s[0:1], 0x48
	s_load_b64 s[18:19], s[0:1], 0x20
	s_load_b32 s17, s[0:1], 0x0
	v_mad_u32 v1, s2, s9, v1
	v_dual_mov_b32 v11, 0 :: v_dual_lshlrev_b32 v10, 4, v4
	s_clause 0x1
	s_load_b64 s[12:13], s[0:1], 0x30
	s_load_b64 s[14:15], s[0:1], 0x58
	s_delay_alu instid0(VALU_DEP_2) | instskip(SKIP_1) | instid1(SALU_CYCLE_1)
	v_mad_u32 v1, s5, v4, v1
	s_mov_b32 s5, 0
	s_mov_b32 s9, s5
	s_wait_xcnt 0x0
	s_mov_b32 s0, s5
	s_wait_kmcnt 0x0
	s_cmp_eq_u32 s17, 0
	s_cselect_b32 vcc_lo, -1, 0
	s_lshl_b32 s1, s2, 2
	v_lshl_add_u64 v[6:7], v[6:7], 4, s[18:19]
	v_lshl_add_u64 v[4:5], v[8:9], 4, s[18:19]
	s_delay_alu instid0(VALU_DEP_2) | instskip(SKIP_1) | instid1(VALU_DEP_1)
	v_add_nc_u64_e32 v[6:7], v[6:7], v[10:11]
	v_lshlrev_b32_e32 v10, 4, v2
	v_add_nc_u64_e32 v[8:9], v[4:5], v[10:11]
	v_mad_u32 v5, s2, v1, v2
	v_add_nc_u64_e32 v[2:3], s[8:9], v[2:3]
	s_mov_b32 s8, s5
	s_delay_alu instid0(VALU_DEP_3) | instskip(NEXT) | instid1(VALU_DEP_4)
	v_dual_mov_b32 v4, v11 :: v_dual_cndmask_b32 v6, v6, v8, vcc_lo
	v_cndmask_b32_e32 v7, v7, v9, vcc_lo
.LBB294_5:                              ; =>This Inner Loop Header: Depth=1
	v_ashrrev_i32_e32 v1, 31, v0
	global_load_b64 v[12:13], v0, s[12:13] scale_offset
	v_ashrrev_i64 v[16:17], 29, v[4:5]
	v_ashrrev_i64 v[18:19], 28, v[4:5]
	v_add_nc_u64_e32 v[4:5], s[0:1], v[4:5]
	v_mul_u64_e32 v[8:9], s[6:7], v[0:1]
	s_wait_xcnt 0x0
	v_add_nc_u32_e32 v0, 4, v0
	s_delay_alu instid0(VALU_DEP_1) | instskip(SKIP_1) | instid1(VALU_DEP_3)
	v_cmp_le_i32_e32 vcc_lo, s16, v0
	s_or_b32 s8, vcc_lo, s8
	v_lshl_add_u64 v[8:9], v[8:9], 4, v[6:7]
	global_load_b128 v[8:11], v[8:9], off
	s_wait_loadcnt 0x1
	v_sub_nc_u64_e64 v[12:13], v[12:13], s[4:5]
	s_delay_alu instid0(VALU_DEP_1) | instskip(NEXT) | instid1(VALU_DEP_1)
	v_mad_nc_u64_u32 v[14:15], v12, s2, v[2:3]
	v_mad_u32 v1, v13, s2, v15
	s_delay_alu instid0(VALU_DEP_1)
	v_mad_u32 v15, v12, s3, v1
	v_add_nc_u64_e32 v[12:13], s[14:15], v[16:17]
	v_add_nc_u64_e32 v[16:17], s[10:11], v[18:19]
	global_store_b64 v[12:13], v[14:15], off
	s_wait_loadcnt 0x0
	global_store_b128 v[16:17], v[8:11], off
	s_wait_xcnt 0x0
	s_and_not1_b32 exec_lo, exec_lo, s8
	s_cbranch_execnz .LBB294_5
.LBB294_6:
	s_endpgm
	.section	.rodata,"a",@progbits
	.p2align	6, 0x0
	.amdhsa_kernel _ZN9rocsparseL33bsr2csr_block_per_row_8_32_kernelILj1024ELj16E21rocsparse_complex_numIdEilEEv20rocsparse_direction_T3_S4_21rocsparse_index_base_PKT1_PKT2_PKS4_S4_S5_PS6_PS9_PS4_
		.amdhsa_group_segment_fixed_size 0
		.amdhsa_private_segment_fixed_size 0
		.amdhsa_kernarg_size 96
		.amdhsa_user_sgpr_count 2
		.amdhsa_user_sgpr_dispatch_ptr 0
		.amdhsa_user_sgpr_queue_ptr 0
		.amdhsa_user_sgpr_kernarg_segment_ptr 1
		.amdhsa_user_sgpr_dispatch_id 0
		.amdhsa_user_sgpr_kernarg_preload_length 0
		.amdhsa_user_sgpr_kernarg_preload_offset 0
		.amdhsa_user_sgpr_private_segment_size 0
		.amdhsa_wavefront_size32 1
		.amdhsa_uses_dynamic_stack 0
		.amdhsa_enable_private_segment 0
		.amdhsa_system_sgpr_workgroup_id_x 1
		.amdhsa_system_sgpr_workgroup_id_y 0
		.amdhsa_system_sgpr_workgroup_id_z 0
		.amdhsa_system_sgpr_workgroup_info 0
		.amdhsa_system_vgpr_workitem_id 0
		.amdhsa_next_free_vgpr 20
		.amdhsa_next_free_sgpr 20
		.amdhsa_named_barrier_count 0
		.amdhsa_reserve_vcc 1
		.amdhsa_float_round_mode_32 0
		.amdhsa_float_round_mode_16_64 0
		.amdhsa_float_denorm_mode_32 3
		.amdhsa_float_denorm_mode_16_64 3
		.amdhsa_fp16_overflow 0
		.amdhsa_memory_ordered 1
		.amdhsa_forward_progress 1
		.amdhsa_inst_pref_size 6
		.amdhsa_round_robin_scheduling 0
		.amdhsa_exception_fp_ieee_invalid_op 0
		.amdhsa_exception_fp_denorm_src 0
		.amdhsa_exception_fp_ieee_div_zero 0
		.amdhsa_exception_fp_ieee_overflow 0
		.amdhsa_exception_fp_ieee_underflow 0
		.amdhsa_exception_fp_ieee_inexact 0
		.amdhsa_exception_int_div_zero 0
	.end_amdhsa_kernel
	.section	.text._ZN9rocsparseL33bsr2csr_block_per_row_8_32_kernelILj1024ELj16E21rocsparse_complex_numIdEilEEv20rocsparse_direction_T3_S4_21rocsparse_index_base_PKT1_PKT2_PKS4_S4_S5_PS6_PS9_PS4_,"axG",@progbits,_ZN9rocsparseL33bsr2csr_block_per_row_8_32_kernelILj1024ELj16E21rocsparse_complex_numIdEilEEv20rocsparse_direction_T3_S4_21rocsparse_index_base_PKT1_PKT2_PKS4_S4_S5_PS6_PS9_PS4_,comdat
.Lfunc_end294:
	.size	_ZN9rocsparseL33bsr2csr_block_per_row_8_32_kernelILj1024ELj16E21rocsparse_complex_numIdEilEEv20rocsparse_direction_T3_S4_21rocsparse_index_base_PKT1_PKT2_PKS4_S4_S5_PS6_PS9_PS4_, .Lfunc_end294-_ZN9rocsparseL33bsr2csr_block_per_row_8_32_kernelILj1024ELj16E21rocsparse_complex_numIdEilEEv20rocsparse_direction_T3_S4_21rocsparse_index_base_PKT1_PKT2_PKS4_S4_S5_PS6_PS9_PS4_
                                        ; -- End function
	.set _ZN9rocsparseL33bsr2csr_block_per_row_8_32_kernelILj1024ELj16E21rocsparse_complex_numIdEilEEv20rocsparse_direction_T3_S4_21rocsparse_index_base_PKT1_PKT2_PKS4_S4_S5_PS6_PS9_PS4_.num_vgpr, 20
	.set _ZN9rocsparseL33bsr2csr_block_per_row_8_32_kernelILj1024ELj16E21rocsparse_complex_numIdEilEEv20rocsparse_direction_T3_S4_21rocsparse_index_base_PKT1_PKT2_PKS4_S4_S5_PS6_PS9_PS4_.num_agpr, 0
	.set _ZN9rocsparseL33bsr2csr_block_per_row_8_32_kernelILj1024ELj16E21rocsparse_complex_numIdEilEEv20rocsparse_direction_T3_S4_21rocsparse_index_base_PKT1_PKT2_PKS4_S4_S5_PS6_PS9_PS4_.numbered_sgpr, 20
	.set _ZN9rocsparseL33bsr2csr_block_per_row_8_32_kernelILj1024ELj16E21rocsparse_complex_numIdEilEEv20rocsparse_direction_T3_S4_21rocsparse_index_base_PKT1_PKT2_PKS4_S4_S5_PS6_PS9_PS4_.num_named_barrier, 0
	.set _ZN9rocsparseL33bsr2csr_block_per_row_8_32_kernelILj1024ELj16E21rocsparse_complex_numIdEilEEv20rocsparse_direction_T3_S4_21rocsparse_index_base_PKT1_PKT2_PKS4_S4_S5_PS6_PS9_PS4_.private_seg_size, 0
	.set _ZN9rocsparseL33bsr2csr_block_per_row_8_32_kernelILj1024ELj16E21rocsparse_complex_numIdEilEEv20rocsparse_direction_T3_S4_21rocsparse_index_base_PKT1_PKT2_PKS4_S4_S5_PS6_PS9_PS4_.uses_vcc, 1
	.set _ZN9rocsparseL33bsr2csr_block_per_row_8_32_kernelILj1024ELj16E21rocsparse_complex_numIdEilEEv20rocsparse_direction_T3_S4_21rocsparse_index_base_PKT1_PKT2_PKS4_S4_S5_PS6_PS9_PS4_.uses_flat_scratch, 0
	.set _ZN9rocsparseL33bsr2csr_block_per_row_8_32_kernelILj1024ELj16E21rocsparse_complex_numIdEilEEv20rocsparse_direction_T3_S4_21rocsparse_index_base_PKT1_PKT2_PKS4_S4_S5_PS6_PS9_PS4_.has_dyn_sized_stack, 0
	.set _ZN9rocsparseL33bsr2csr_block_per_row_8_32_kernelILj1024ELj16E21rocsparse_complex_numIdEilEEv20rocsparse_direction_T3_S4_21rocsparse_index_base_PKT1_PKT2_PKS4_S4_S5_PS6_PS9_PS4_.has_recursion, 0
	.set _ZN9rocsparseL33bsr2csr_block_per_row_8_32_kernelILj1024ELj16E21rocsparse_complex_numIdEilEEv20rocsparse_direction_T3_S4_21rocsparse_index_base_PKT1_PKT2_PKS4_S4_S5_PS6_PS9_PS4_.has_indirect_call, 0
	.section	.AMDGPU.csdata,"",@progbits
; Kernel info:
; codeLenInByte = 688
; TotalNumSgprs: 22
; NumVgprs: 20
; ScratchSize: 0
; MemoryBound: 0
; FloatMode: 240
; IeeeMode: 1
; LDSByteSize: 0 bytes/workgroup (compile time only)
; SGPRBlocks: 0
; VGPRBlocks: 1
; NumSGPRsForWavesPerEU: 22
; NumVGPRsForWavesPerEU: 20
; NamedBarCnt: 0
; Occupancy: 16
; WaveLimiterHint : 0
; COMPUTE_PGM_RSRC2:SCRATCH_EN: 0
; COMPUTE_PGM_RSRC2:USER_SGPR: 2
; COMPUTE_PGM_RSRC2:TRAP_HANDLER: 0
; COMPUTE_PGM_RSRC2:TGID_X_EN: 1
; COMPUTE_PGM_RSRC2:TGID_Y_EN: 0
; COMPUTE_PGM_RSRC2:TGID_Z_EN: 0
; COMPUTE_PGM_RSRC2:TIDIG_COMP_CNT: 0
	.section	.text._ZN9rocsparseL33bsr2csr_block_per_row_8_32_kernelILj1024ELj32E21rocsparse_complex_numIdEilEEv20rocsparse_direction_T3_S4_21rocsparse_index_base_PKT1_PKT2_PKS4_S4_S5_PS6_PS9_PS4_,"axG",@progbits,_ZN9rocsparseL33bsr2csr_block_per_row_8_32_kernelILj1024ELj32E21rocsparse_complex_numIdEilEEv20rocsparse_direction_T3_S4_21rocsparse_index_base_PKT1_PKT2_PKS4_S4_S5_PS6_PS9_PS4_,comdat
	.globl	_ZN9rocsparseL33bsr2csr_block_per_row_8_32_kernelILj1024ELj32E21rocsparse_complex_numIdEilEEv20rocsparse_direction_T3_S4_21rocsparse_index_base_PKT1_PKT2_PKS4_S4_S5_PS6_PS9_PS4_ ; -- Begin function _ZN9rocsparseL33bsr2csr_block_per_row_8_32_kernelILj1024ELj32E21rocsparse_complex_numIdEilEEv20rocsparse_direction_T3_S4_21rocsparse_index_base_PKT1_PKT2_PKS4_S4_S5_PS6_PS9_PS4_
	.p2align	8
	.type	_ZN9rocsparseL33bsr2csr_block_per_row_8_32_kernelILj1024ELj32E21rocsparse_complex_numIdEilEEv20rocsparse_direction_T3_S4_21rocsparse_index_base_PKT1_PKT2_PKS4_S4_S5_PS6_PS9_PS4_,@function
_ZN9rocsparseL33bsr2csr_block_per_row_8_32_kernelILj1024ELj32E21rocsparse_complex_numIdEilEEv20rocsparse_direction_T3_S4_21rocsparse_index_base_PKT1_PKT2_PKS4_S4_S5_PS6_PS9_PS4_: ; @_ZN9rocsparseL33bsr2csr_block_per_row_8_32_kernelILj1024ELj32E21rocsparse_complex_numIdEilEEv20rocsparse_direction_T3_S4_21rocsparse_index_base_PKT1_PKT2_PKS4_S4_S5_PS6_PS9_PS4_
; %bb.0:
	s_clause 0x1
	s_load_b32 s8, s[0:1], 0x40
	s_load_b64 s[10:11], s[0:1], 0x50
	s_bfe_u32 s2, ttmp6, 0x4000c
	s_and_b32 s3, ttmp6, 15
	s_add_co_i32 s2, s2, 1
	s_getreg_b32 s4, hwreg(HW_REG_IB_STS2, 6, 4)
	s_mul_i32 s2, ttmp9, s2
	s_mov_b32 s15, 0
	s_add_co_i32 s3, s3, s2
	s_cmp_eq_u32 s4, 0
	s_mov_b32 s2, exec_lo
	s_cselect_b32 s14, ttmp9, s3
	s_delay_alu instid0(SALU_CYCLE_1) | instskip(NEXT) | instid1(VALU_DEP_1)
	v_or_b32_e32 v1, s14, v0
	v_cmpx_eq_u32_e32 0, v1
	s_cbranch_execz .LBB295_2
; %bb.1:
	s_wait_kmcnt 0x0
	v_dual_mov_b32 v1, 0 :: v_dual_mov_b32 v2, s8
	global_store_b32 v1, v2, s[10:11]
.LBB295_2:
	s_wait_xcnt 0x0
	s_or_b32 exec_lo, exec_lo, s2
	v_dual_mov_b32 v3, 0 :: v_dual_bitop2_b32 v2, 31, v0 bitop3:0x40
	v_lshrrev_b32_e32 v0, 5, v0
	s_load_b64 s[2:3], s[0:1], 0x38
	s_mov_b32 s4, exec_lo
	s_delay_alu instid0(VALU_DEP_2) | instskip(NEXT) | instid1(VALU_DEP_1)
	v_mov_b32_e32 v1, v3
	v_max_i64 v[4:5], v[0:1], v[2:3]
	s_wait_kmcnt 0x0
	s_delay_alu instid0(VALU_DEP_1)
	v_cmpx_gt_i64_e64 s[2:3], v[4:5]
	s_cbranch_execz .LBB295_6
; %bb.3:
	s_clause 0x1
	s_load_b64 s[6:7], s[0:1], 0x28
	s_load_b32 s4, s[0:1], 0x18
	s_lshl_b64 s[12:13], s[14:15], 2
	s_mul_u64 s[14:15], s[2:3], s[14:15]
	s_delay_alu instid0(SALU_CYCLE_1) | instskip(NEXT) | instid1(SALU_CYCLE_1)
	s_lshl_b64 s[14:15], s[14:15], 2
	s_add_nc_u64 s[10:11], s[10:11], s[14:15]
	s_wait_kmcnt 0x0
	s_add_nc_u64 s[6:7], s[6:7], s[12:13]
	s_mul_u64 s[12:13], s[2:3], s[2:3]
	s_load_b64 s[18:19], s[6:7], 0x0
	s_wait_kmcnt 0x0
	s_sub_co_i32 s6, s18, s4
	s_sub_co_i32 s16, s19, s4
	s_mul_i32 s9, s12, s6
	s_sub_co_i32 s5, s16, s6
	s_delay_alu instid0(SALU_CYCLE_1) | instskip(NEXT) | instid1(SALU_CYCLE_1)
	s_mul_i32 s7, s2, s5
	s_add_co_i32 s17, s8, s7
	s_delay_alu instid0(SALU_CYCLE_1)
	s_add_co_i32 s17, s17, s9
	s_cmp_ge_i32 s18, s19
	v_mad_u32 v4, s7, v0, s17
	global_store_b32 v0, v4, s[10:11] offset:4 scale_offset
	s_cbranch_scc1 .LBB295_6
; %bb.4:
	s_wait_xcnt 0x0
	v_mul_u64_e32 v[4:5], s[2:3], v[2:3]
	v_mul_u64_e32 v[6:7], s[2:3], v[0:1]
	s_clause 0x3
	s_load_b64 s[14:15], s[0:1], 0x20
	s_load_b64 s[18:19], s[0:1], 0x30
	;; [unrolled: 1-line block ×3, first 2 shown]
	s_load_b32 s7, s[0:1], 0x0
	v_mul_lo_u32 v10, v0, s5
	v_dual_mov_b32 v9, 0 :: v_dual_lshlrev_b32 v8, 4, v0
	s_wait_xcnt 0x0
	s_load_b64 s[0:1], s[0:1], 0x58
	s_mov_b32 s5, 0
	s_delay_alu instid0(SALU_CYCLE_1) | instskip(NEXT) | instid1(VALU_DEP_2)
	s_mov_b32 s9, s5
	v_mad_u32 v10, s2, s6, v10
	s_wait_kmcnt 0x0
	s_cmp_eq_u32 s7, 0
	s_cselect_b32 vcc_lo, -1, 0
	s_ashr_i32 s7, s6, 31
	s_delay_alu instid0(SALU_CYCLE_1) | instskip(SKIP_4) | instid1(VALU_DEP_2)
	s_lshl_b64 s[20:21], s[6:7], 3
	v_lshl_add_u64 v[0:1], v[4:5], 4, s[14:15]
	v_lshl_add_u64 v[4:5], v[6:7], 4, s[14:15]
	s_mul_u64 s[14:15], s[12:13], s[6:7]
	s_lshl_b64 s[12:13], s[12:13], 4
	v_add_nc_u64_e32 v[6:7], v[0:1], v[8:9]
	v_lshlrev_b32_e32 v8, 4, v2
	v_add_nc_u64_e32 v[0:1], s[8:9], v[2:3]
	v_mad_u32 v3, s2, v10, v2
	s_mov_b32 s8, s5
	s_mov_b32 s9, s2
	v_add_nc_u64_e32 v[4:5], v[4:5], v[8:9]
	s_delay_alu instid0(VALU_DEP_1) | instskip(NEXT) | instid1(VALU_DEP_2)
	v_dual_mov_b32 v2, v9 :: v_dual_cndmask_b32 v4, v6, v4, vcc_lo
	v_cndmask_b32_e32 v5, v7, v5, vcc_lo
	s_delay_alu instid0(VALU_DEP_1)
	v_lshl_add_u64 v[4:5], s[14:15], 4, v[4:5]
	s_add_nc_u64 s[14:15], s[18:19], s[20:21]
.LBB295_5:                              ; =>This Inner Loop Header: Depth=1
	global_load_b128 v[6:9], v[4:5], off
	s_load_b64 s[18:19], s[14:15], 0x0
	v_ashrrev_i64 v[10:11], 29, v[2:3]
	v_ashrrev_i64 v[14:15], 28, v[2:3]
	v_add_nc_u64_e32 v[2:3], s[8:9], v[2:3]
	v_add_nc_u64_e32 v[4:5], s[12:13], v[4:5]
	s_add_co_i32 s6, s6, 1
	s_wait_xcnt 0x0
	s_add_nc_u64 s[14:15], s[14:15], 8
	s_cmp_lt_i32 s6, s16
	v_add_nc_u64_e32 v[10:11], s[0:1], v[10:11]
	v_add_nc_u64_e32 v[14:15], s[10:11], v[14:15]
	s_wait_kmcnt 0x0
	s_sub_nc_u64 s[18:19], s[18:19], s[4:5]
	s_delay_alu instid0(SALU_CYCLE_1)
	v_mad_nc_u64_u32 v[12:13], s18, s2, v[0:1]
	s_mul_i32 s7, s19, s2
	s_mul_i32 s17, s18, s3
	s_delay_alu instid0(VALU_DEP_1) | instid1(SALU_CYCLE_1)
	v_add3_u32 v13, s17, s7, v13
	global_store_b64 v[10:11], v[12:13], off
	s_wait_loadcnt 0x0
	global_store_b128 v[14:15], v[6:9], off
	s_cbranch_scc1 .LBB295_5
.LBB295_6:
	s_endpgm
	.section	.rodata,"a",@progbits
	.p2align	6, 0x0
	.amdhsa_kernel _ZN9rocsparseL33bsr2csr_block_per_row_8_32_kernelILj1024ELj32E21rocsparse_complex_numIdEilEEv20rocsparse_direction_T3_S4_21rocsparse_index_base_PKT1_PKT2_PKS4_S4_S5_PS6_PS9_PS4_
		.amdhsa_group_segment_fixed_size 0
		.amdhsa_private_segment_fixed_size 0
		.amdhsa_kernarg_size 96
		.amdhsa_user_sgpr_count 2
		.amdhsa_user_sgpr_dispatch_ptr 0
		.amdhsa_user_sgpr_queue_ptr 0
		.amdhsa_user_sgpr_kernarg_segment_ptr 1
		.amdhsa_user_sgpr_dispatch_id 0
		.amdhsa_user_sgpr_kernarg_preload_length 0
		.amdhsa_user_sgpr_kernarg_preload_offset 0
		.amdhsa_user_sgpr_private_segment_size 0
		.amdhsa_wavefront_size32 1
		.amdhsa_uses_dynamic_stack 0
		.amdhsa_enable_private_segment 0
		.amdhsa_system_sgpr_workgroup_id_x 1
		.amdhsa_system_sgpr_workgroup_id_y 0
		.amdhsa_system_sgpr_workgroup_id_z 0
		.amdhsa_system_sgpr_workgroup_info 0
		.amdhsa_system_vgpr_workitem_id 0
		.amdhsa_next_free_vgpr 16
		.amdhsa_next_free_sgpr 22
		.amdhsa_named_barrier_count 0
		.amdhsa_reserve_vcc 1
		.amdhsa_float_round_mode_32 0
		.amdhsa_float_round_mode_16_64 0
		.amdhsa_float_denorm_mode_32 3
		.amdhsa_float_denorm_mode_16_64 3
		.amdhsa_fp16_overflow 0
		.amdhsa_memory_ordered 1
		.amdhsa_forward_progress 1
		.amdhsa_inst_pref_size 6
		.amdhsa_round_robin_scheduling 0
		.amdhsa_exception_fp_ieee_invalid_op 0
		.amdhsa_exception_fp_denorm_src 0
		.amdhsa_exception_fp_ieee_div_zero 0
		.amdhsa_exception_fp_ieee_overflow 0
		.amdhsa_exception_fp_ieee_underflow 0
		.amdhsa_exception_fp_ieee_inexact 0
		.amdhsa_exception_int_div_zero 0
	.end_amdhsa_kernel
	.section	.text._ZN9rocsparseL33bsr2csr_block_per_row_8_32_kernelILj1024ELj32E21rocsparse_complex_numIdEilEEv20rocsparse_direction_T3_S4_21rocsparse_index_base_PKT1_PKT2_PKS4_S4_S5_PS6_PS9_PS4_,"axG",@progbits,_ZN9rocsparseL33bsr2csr_block_per_row_8_32_kernelILj1024ELj32E21rocsparse_complex_numIdEilEEv20rocsparse_direction_T3_S4_21rocsparse_index_base_PKT1_PKT2_PKS4_S4_S5_PS6_PS9_PS4_,comdat
.Lfunc_end295:
	.size	_ZN9rocsparseL33bsr2csr_block_per_row_8_32_kernelILj1024ELj32E21rocsparse_complex_numIdEilEEv20rocsparse_direction_T3_S4_21rocsparse_index_base_PKT1_PKT2_PKS4_S4_S5_PS6_PS9_PS4_, .Lfunc_end295-_ZN9rocsparseL33bsr2csr_block_per_row_8_32_kernelILj1024ELj32E21rocsparse_complex_numIdEilEEv20rocsparse_direction_T3_S4_21rocsparse_index_base_PKT1_PKT2_PKS4_S4_S5_PS6_PS9_PS4_
                                        ; -- End function
	.set _ZN9rocsparseL33bsr2csr_block_per_row_8_32_kernelILj1024ELj32E21rocsparse_complex_numIdEilEEv20rocsparse_direction_T3_S4_21rocsparse_index_base_PKT1_PKT2_PKS4_S4_S5_PS6_PS9_PS4_.num_vgpr, 16
	.set _ZN9rocsparseL33bsr2csr_block_per_row_8_32_kernelILj1024ELj32E21rocsparse_complex_numIdEilEEv20rocsparse_direction_T3_S4_21rocsparse_index_base_PKT1_PKT2_PKS4_S4_S5_PS6_PS9_PS4_.num_agpr, 0
	.set _ZN9rocsparseL33bsr2csr_block_per_row_8_32_kernelILj1024ELj32E21rocsparse_complex_numIdEilEEv20rocsparse_direction_T3_S4_21rocsparse_index_base_PKT1_PKT2_PKS4_S4_S5_PS6_PS9_PS4_.numbered_sgpr, 22
	.set _ZN9rocsparseL33bsr2csr_block_per_row_8_32_kernelILj1024ELj32E21rocsparse_complex_numIdEilEEv20rocsparse_direction_T3_S4_21rocsparse_index_base_PKT1_PKT2_PKS4_S4_S5_PS6_PS9_PS4_.num_named_barrier, 0
	.set _ZN9rocsparseL33bsr2csr_block_per_row_8_32_kernelILj1024ELj32E21rocsparse_complex_numIdEilEEv20rocsparse_direction_T3_S4_21rocsparse_index_base_PKT1_PKT2_PKS4_S4_S5_PS6_PS9_PS4_.private_seg_size, 0
	.set _ZN9rocsparseL33bsr2csr_block_per_row_8_32_kernelILj1024ELj32E21rocsparse_complex_numIdEilEEv20rocsparse_direction_T3_S4_21rocsparse_index_base_PKT1_PKT2_PKS4_S4_S5_PS6_PS9_PS4_.uses_vcc, 1
	.set _ZN9rocsparseL33bsr2csr_block_per_row_8_32_kernelILj1024ELj32E21rocsparse_complex_numIdEilEEv20rocsparse_direction_T3_S4_21rocsparse_index_base_PKT1_PKT2_PKS4_S4_S5_PS6_PS9_PS4_.uses_flat_scratch, 0
	.set _ZN9rocsparseL33bsr2csr_block_per_row_8_32_kernelILj1024ELj32E21rocsparse_complex_numIdEilEEv20rocsparse_direction_T3_S4_21rocsparse_index_base_PKT1_PKT2_PKS4_S4_S5_PS6_PS9_PS4_.has_dyn_sized_stack, 0
	.set _ZN9rocsparseL33bsr2csr_block_per_row_8_32_kernelILj1024ELj32E21rocsparse_complex_numIdEilEEv20rocsparse_direction_T3_S4_21rocsparse_index_base_PKT1_PKT2_PKS4_S4_S5_PS6_PS9_PS4_.has_recursion, 0
	.set _ZN9rocsparseL33bsr2csr_block_per_row_8_32_kernelILj1024ELj32E21rocsparse_complex_numIdEilEEv20rocsparse_direction_T3_S4_21rocsparse_index_base_PKT1_PKT2_PKS4_S4_S5_PS6_PS9_PS4_.has_indirect_call, 0
	.section	.AMDGPU.csdata,"",@progbits
; Kernel info:
; codeLenInByte = 660
; TotalNumSgprs: 24
; NumVgprs: 16
; ScratchSize: 0
; MemoryBound: 0
; FloatMode: 240
; IeeeMode: 1
; LDSByteSize: 0 bytes/workgroup (compile time only)
; SGPRBlocks: 0
; VGPRBlocks: 0
; NumSGPRsForWavesPerEU: 24
; NumVGPRsForWavesPerEU: 16
; NamedBarCnt: 0
; Occupancy: 16
; WaveLimiterHint : 0
; COMPUTE_PGM_RSRC2:SCRATCH_EN: 0
; COMPUTE_PGM_RSRC2:USER_SGPR: 2
; COMPUTE_PGM_RSRC2:TRAP_HANDLER: 0
; COMPUTE_PGM_RSRC2:TGID_X_EN: 1
; COMPUTE_PGM_RSRC2:TGID_Y_EN: 0
; COMPUTE_PGM_RSRC2:TGID_Z_EN: 0
; COMPUTE_PGM_RSRC2:TIDIG_COMP_CNT: 0
	.section	.text._ZN9rocsparseL35bsr2csr_block_per_row_33_256_kernelILj1024ELj64ELj32E21rocsparse_complex_numIdEilEEv20rocsparse_direction_T4_S4_21rocsparse_index_base_PKT2_PKT3_PKS4_S4_S5_PS6_PS9_PS4_,"axG",@progbits,_ZN9rocsparseL35bsr2csr_block_per_row_33_256_kernelILj1024ELj64ELj32E21rocsparse_complex_numIdEilEEv20rocsparse_direction_T4_S4_21rocsparse_index_base_PKT2_PKT3_PKS4_S4_S5_PS6_PS9_PS4_,comdat
	.globl	_ZN9rocsparseL35bsr2csr_block_per_row_33_256_kernelILj1024ELj64ELj32E21rocsparse_complex_numIdEilEEv20rocsparse_direction_T4_S4_21rocsparse_index_base_PKT2_PKT3_PKS4_S4_S5_PS6_PS9_PS4_ ; -- Begin function _ZN9rocsparseL35bsr2csr_block_per_row_33_256_kernelILj1024ELj64ELj32E21rocsparse_complex_numIdEilEEv20rocsparse_direction_T4_S4_21rocsparse_index_base_PKT2_PKT3_PKS4_S4_S5_PS6_PS9_PS4_
	.p2align	8
	.type	_ZN9rocsparseL35bsr2csr_block_per_row_33_256_kernelILj1024ELj64ELj32E21rocsparse_complex_numIdEilEEv20rocsparse_direction_T4_S4_21rocsparse_index_base_PKT2_PKT3_PKS4_S4_S5_PS6_PS9_PS4_,@function
_ZN9rocsparseL35bsr2csr_block_per_row_33_256_kernelILj1024ELj64ELj32E21rocsparse_complex_numIdEilEEv20rocsparse_direction_T4_S4_21rocsparse_index_base_PKT2_PKT3_PKS4_S4_S5_PS6_PS9_PS4_: ; @_ZN9rocsparseL35bsr2csr_block_per_row_33_256_kernelILj1024ELj64ELj32E21rocsparse_complex_numIdEilEEv20rocsparse_direction_T4_S4_21rocsparse_index_base_PKT2_PKT3_PKS4_S4_S5_PS6_PS9_PS4_
; %bb.0:
	s_load_b64 s[8:9], s[0:1], 0x28
	s_bfe_u32 s2, ttmp6, 0x4000c
	s_and_b32 s3, ttmp6, 15
	s_add_co_i32 s2, s2, 1
	s_getreg_b32 s4, hwreg(HW_REG_IB_STS2, 6, 4)
	s_mul_i32 s2, ttmp9, s2
	s_mov_b32 s5, 0
	s_add_co_i32 s3, s3, s2
	s_cmp_eq_u32 s4, 0
	s_clause 0x1
	s_load_b32 s6, s[0:1], 0x40
	s_load_b64 s[14:15], s[0:1], 0x50
	s_cselect_b32 s2, ttmp9, s3
	s_mov_b32 s3, s5
	v_or_b32_e32 v1, s2, v0
	s_lshl_b64 s[10:11], s[2:3], 2
	s_mov_b32 s4, exec_lo
	s_wait_kmcnt 0x0
	s_add_nc_u64 s[8:9], s[8:9], s[10:11]
	s_load_b64 s[12:13], s[8:9], 0x0
	v_cmpx_eq_u32_e32 0, v1
	s_cbranch_execz .LBB296_2
; %bb.1:
	v_dual_mov_b32 v1, 0 :: v_dual_mov_b32 v2, s6
	global_store_b32 v1, v2, s[14:15]
.LBB296_2:
	s_wait_xcnt 0x0
	s_or_b32 exec_lo, exec_lo, s4
	s_clause 0x1
	s_load_b32 s8, s[0:1], 0x18
	s_load_b64 s[10:11], s[0:1], 0x38
	v_dual_mov_b32 v13, 0 :: v_dual_lshrrev_b32 v12, 5, v0
	s_mov_b32 s17, s5
	s_wait_kmcnt 0x0
	s_sub_co_i32 s4, s12, s8
	s_sub_co_i32 s24, s13, s8
	s_mul_u64 s[26:27], s[10:11], s[2:3]
	v_cmp_gt_i64_e64 s2, s[10:11], v[12:13]
	s_sub_co_i32 s16, s24, s4
	s_mul_u64 s[18:19], s[10:11], s[10:11]
	s_mul_u64 s[22:23], s[10:11], s[16:17]
	s_lshl_b64 s[26:27], s[26:27], 2
	s_mul_u64 s[20:21], s[18:19], s[4:5]
	s_add_co_i32 s5, s6, s22
	s_add_nc_u64 s[14:15], s[14:15], s[26:27]
	s_and_saveexec_b32 s3, s2
	s_cbranch_execz .LBB296_4
; %bb.3:
	s_add_co_i32 s7, s5, s20
	s_delay_alu instid0(SALU_CYCLE_1)
	v_mad_u32 v1, v12, s22, s7
	global_store_b32 v12, v1, s[14:15] offset:4 scale_offset
.LBB296_4:
	s_wait_xcnt 0x0
	s_or_b32 exec_lo, exec_lo, s3
	v_dual_mov_b32 v3, v13 :: v_dual_bitop2_b32 v2, 32, v12 bitop3:0x54
	s_delay_alu instid0(VALU_DEP_1)
	v_cmp_gt_i64_e64 s3, s[10:11], v[2:3]
	s_and_saveexec_b32 s7, s3
	s_cbranch_execz .LBB296_6
; %bb.5:
	s_add_co_i32 s5, s5, s20
	s_delay_alu instid0(SALU_CYCLE_1)
	v_mad_u32 v1, v2, s22, s5
	global_store_b32 v12, v1, s[14:15] offset:132 scale_offset
.LBB296_6:
	s_wait_xcnt 0x0
	s_or_b32 exec_lo, exec_lo, s7
	s_cmp_lt_i32 s12, s13
	s_cbranch_scc0 .LBB296_17
; %bb.7:
	s_clause 0x2
	s_load_b64 s[20:21], s[0:1], 0x30
	s_load_b64 s[12:13], s[0:1], 0x48
	s_load_b32 s5, s[0:1], 0x0
	v_dual_mov_b32 v1, 0 :: v_dual_bitop2_b32 v0, 31, v0 bitop3:0x40
	v_lshlrev_b32_e32 v8, 4, v12
	s_mul_i32 s7, s10, s4
	s_mov_b32 s9, 0
	s_delay_alu instid0(VALU_DEP_2)
	v_dual_mov_b32 v9, v1 :: v_dual_lshlrev_b32 v4, 4, v0
	v_mov_b32_e32 v5, v1
	v_mad_u32 v13, v2, s16, s7
	v_mad_u32 v12, v12, s16, s7
	v_dual_mov_b32 v11, v1 :: v_dual_bitop2_b32 v10, 32, v0 bitop3:0x54
	s_mov_b32 s7, s9
	s_load_b64 s[16:17], s[0:1], 0x58
	v_mov_b32_e32 v14, v1
	s_wait_kmcnt 0x0
	s_cmp_eq_u32 s5, 0
	s_delay_alu instid0(VALU_DEP_4) | instskip(SKIP_2) | instid1(VALU_DEP_4)
	v_mul_lo_u32 v13, s10, v13
	s_cselect_b32 vcc_lo, -1, 0
	s_ashr_i32 s5, s4, 31
	v_mul_lo_u32 v15, s10, v12
	s_mul_u64 s[14:15], s[10:11], s[4:5]
	v_mov_b32_e32 v12, v1
	s_lshl_b64 s[14:15], s[14:15], 4
	s_lshl_b64 s[18:19], s[18:19], 4
	v_add_nc_u64_e32 v[16:17], s[14:15], v[8:9]
	v_add_nc_u64_e32 v[18:19], s[14:15], v[4:5]
	s_load_b64 s[14:15], s[0:1], 0x20
	s_wait_xcnt 0x0
	v_cmp_gt_i64_e64 s0, s[10:11], v[0:1]
	v_cmp_gt_i64_e64 s1, s[10:11], v[10:11]
	s_delay_alu instid0(VALU_DEP_4) | instskip(NEXT) | instid1(VALU_DEP_4)
	v_add_nc_u64_e32 v[20:21], 0x200, v[16:17]
	v_add_nc_u64_e32 v[22:23], 0x200, v[18:19]
	v_mad_nc_u64_u32 v[2:3], s10, v16, v[4:5]
	s_and_b32 s22, s2, s0
	s_and_b32 s23, s2, s1
	;; [unrolled: 1-line block ×4, first 2 shown]
	v_mad_nc_u64_u32 v[4:5], s10, v20, v[4:5]
	v_mad_nc_u64_u32 v[6:7], s10, v22, v[8:9]
	;; [unrolled: 1-line block ×3, first 2 shown]
	s_lshl_b64 s[2:3], s[4:5], 3
	s_mov_b32 s0, s9
	s_mov_b32 s1, s10
	v_mad_u32 v3, s11, v16, v3
	v_mov_b32_e32 v16, v1
	s_add_nc_u64 s[2:3], s[20:21], s[2:3]
	v_mad_u32 v5, s11, v20, v5
	v_mad_u32 v7, s11, v22, v7
	;; [unrolled: 1-line block ×4, first 2 shown]
	v_mov_b32_e32 v17, v0
	v_mad_u32 v5, s10, v21, v5
	v_mad_u32 v7, s10, v23, v7
	;; [unrolled: 1-line block ×3, first 2 shown]
	s_branch .LBB296_9
.LBB296_8:                              ;   in Loop: Header=BB296_9 Depth=1
	s_wait_xcnt 0x0
	s_or_b32 exec_lo, exec_lo, s5
	v_add_nc_u64_e32 v[16:17], s[0:1], v[16:17]
	s_add_co_i32 s4, s4, 1
	s_add_nc_u64 s[2:3], s[2:3], 8
	s_cmp_ge_i32 s4, s24
	s_add_nc_u64 s[14:15], s[14:15], s[18:19]
	s_cbranch_scc1 .LBB296_17
.LBB296_9:                              ; =>This Inner Loop Header: Depth=1
	s_load_b64 s[20:21], s[2:3], 0x0
	v_add_nc_u64_e32 v[26:27], v[14:15], v[16:17]
	s_wait_kmcnt 0x0
	v_add_nc_u64_e32 v[28:29], s[14:15], v[2:3]
	s_delay_alu instid0(VALU_DEP_3) | instskip(SKIP_1) | instid1(SALU_CYCLE_1)
	v_add_nc_u64_e32 v[24:25], s[14:15], v[8:9]
	s_sub_nc_u64 s[20:21], s[20:21], s[8:9]
	s_mul_u64 s[20:21], s[20:21], s[10:11]
	s_delay_alu instid0(SALU_CYCLE_1) | instskip(NEXT) | instid1(SALU_CYCLE_1)
	s_add_nc_u64 s[20:21], s[20:21], s[6:7]
	v_add_nc_u64_e32 v[20:21], s[20:21], v[0:1]
	s_and_saveexec_b32 s5, s22
	s_cbranch_execz .LBB296_11
; %bb.10:                               ;   in Loop: Header=BB296_9 Depth=1
	v_dual_cndmask_b32 v19, v25, v29 :: v_dual_cndmask_b32 v18, v24, v28
	v_ashrrev_i64 v[22:23], 28, v[26:27]
	global_load_b128 v[30:33], v[18:19], off
	s_wait_xcnt 0x0
	v_ashrrev_i64 v[18:19], 29, v[26:27]
	v_add_nc_u64_e32 v[22:23], s[12:13], v[22:23]
	s_delay_alu instid0(VALU_DEP_2)
	v_add_nc_u64_e32 v[18:19], s[16:17], v[18:19]
	global_store_b64 v[18:19], v[20:21], off
	s_wait_loadcnt 0x0
	global_store_b128 v[22:23], v[30:33], off
.LBB296_11:                             ;   in Loop: Header=BB296_9 Depth=1
	s_wait_xcnt 0x0
	s_or_b32 exec_lo, exec_lo, s5
	v_add_nc_u64_e32 v[18:19], s[20:21], v[10:11]
	v_add_nc_u64_e32 v[22:23], s[14:15], v[6:7]
	s_and_saveexec_b32 s5, s23
	s_cbranch_execz .LBB296_13
; %bb.12:                               ;   in Loop: Header=BB296_9 Depth=1
	v_add_nc_u64_e32 v[28:29], 0x200, v[28:29]
	v_add_nc_u32_e32 v27, 32, v27
	s_delay_alu instid0(VALU_DEP_1) | instskip(NEXT) | instid1(VALU_DEP_3)
	v_ashrrev_i64 v[32:33], 29, v[26:27]
	v_dual_cndmask_b32 v29, v23, v29 :: v_dual_cndmask_b32 v28, v22, v28
	v_ashrrev_i64 v[26:27], 28, v[26:27]
	global_load_b128 v[28:31], v[28:29], off
	v_add_nc_u64_e32 v[32:33], s[16:17], v[32:33]
	v_add_nc_u64_e32 v[26:27], s[12:13], v[26:27]
	global_store_b64 v[32:33], v[18:19], off
	s_wait_loadcnt 0x0
	global_store_b128 v[26:27], v[28:31], off
.LBB296_13:                             ;   in Loop: Header=BB296_9 Depth=1
	s_wait_xcnt 0x0
	s_or_b32 exec_lo, exec_lo, s5
	v_add_nc_u64_e32 v[26:27], v[12:13], v[16:17]
	v_add_nc_u64_e32 v[28:29], s[14:15], v[4:5]
	s_and_saveexec_b32 s5, s25
	s_cbranch_execz .LBB296_15
; %bb.14:                               ;   in Loop: Header=BB296_9 Depth=1
	v_add_nc_u64_e32 v[24:25], 0x200, v[24:25]
	s_delay_alu instid0(VALU_DEP_3) | instskip(NEXT) | instid1(VALU_DEP_2)
	v_ashrrev_i64 v[34:35], 28, v[26:27]
	v_dual_cndmask_b32 v25, v25, v29 :: v_dual_cndmask_b32 v24, v24, v28
	s_delay_alu instid0(VALU_DEP_2) | instskip(SKIP_3) | instid1(VALU_DEP_1)
	v_add_nc_u64_e32 v[34:35], s[12:13], v[34:35]
	global_load_b128 v[30:33], v[24:25], off
	s_wait_xcnt 0x0
	v_ashrrev_i64 v[24:25], 29, v[26:27]
	v_add_nc_u64_e32 v[24:25], s[16:17], v[24:25]
	global_store_b64 v[24:25], v[20:21], off
	s_wait_loadcnt 0x0
	global_store_b128 v[34:35], v[30:33], off
.LBB296_15:                             ;   in Loop: Header=BB296_9 Depth=1
	s_wait_xcnt 0x0
	s_or_b32 exec_lo, exec_lo, s5
	s_and_saveexec_b32 s5, s26
	s_cbranch_execz .LBB296_8
; %bb.16:                               ;   in Loop: Header=BB296_9 Depth=1
	v_add_nc_u64_e32 v[20:21], 0x200, v[28:29]
	v_add_nc_u64_e32 v[22:23], 0x200, v[22:23]
	v_add_nc_u32_e32 v27, 32, v27
	s_delay_alu instid0(VALU_DEP_1) | instskip(NEXT) | instid1(VALU_DEP_3)
	v_ashrrev_i64 v[24:25], 29, v[26:27]
	v_dual_cndmask_b32 v21, v23, v21 :: v_dual_cndmask_b32 v20, v22, v20
	v_ashrrev_i64 v[26:27], 28, v[26:27]
	global_load_b128 v[20:23], v[20:21], off
	v_add_nc_u64_e32 v[24:25], s[16:17], v[24:25]
	v_add_nc_u64_e32 v[26:27], s[12:13], v[26:27]
	global_store_b64 v[24:25], v[18:19], off
	s_wait_loadcnt 0x0
	global_store_b128 v[26:27], v[20:23], off
	s_branch .LBB296_8
.LBB296_17:
	s_endpgm
	.section	.rodata,"a",@progbits
	.p2align	6, 0x0
	.amdhsa_kernel _ZN9rocsparseL35bsr2csr_block_per_row_33_256_kernelILj1024ELj64ELj32E21rocsparse_complex_numIdEilEEv20rocsparse_direction_T4_S4_21rocsparse_index_base_PKT2_PKT3_PKS4_S4_S5_PS6_PS9_PS4_
		.amdhsa_group_segment_fixed_size 0
		.amdhsa_private_segment_fixed_size 0
		.amdhsa_kernarg_size 96
		.amdhsa_user_sgpr_count 2
		.amdhsa_user_sgpr_dispatch_ptr 0
		.amdhsa_user_sgpr_queue_ptr 0
		.amdhsa_user_sgpr_kernarg_segment_ptr 1
		.amdhsa_user_sgpr_dispatch_id 0
		.amdhsa_user_sgpr_kernarg_preload_length 0
		.amdhsa_user_sgpr_kernarg_preload_offset 0
		.amdhsa_user_sgpr_private_segment_size 0
		.amdhsa_wavefront_size32 1
		.amdhsa_uses_dynamic_stack 0
		.amdhsa_enable_private_segment 0
		.amdhsa_system_sgpr_workgroup_id_x 1
		.amdhsa_system_sgpr_workgroup_id_y 0
		.amdhsa_system_sgpr_workgroup_id_z 0
		.amdhsa_system_sgpr_workgroup_info 0
		.amdhsa_system_vgpr_workitem_id 0
		.amdhsa_next_free_vgpr 36
		.amdhsa_next_free_sgpr 28
		.amdhsa_named_barrier_count 0
		.amdhsa_reserve_vcc 1
		.amdhsa_float_round_mode_32 0
		.amdhsa_float_round_mode_16_64 0
		.amdhsa_float_denorm_mode_32 3
		.amdhsa_float_denorm_mode_16_64 3
		.amdhsa_fp16_overflow 0
		.amdhsa_memory_ordered 1
		.amdhsa_forward_progress 1
		.amdhsa_inst_pref_size 10
		.amdhsa_round_robin_scheduling 0
		.amdhsa_exception_fp_ieee_invalid_op 0
		.amdhsa_exception_fp_denorm_src 0
		.amdhsa_exception_fp_ieee_div_zero 0
		.amdhsa_exception_fp_ieee_overflow 0
		.amdhsa_exception_fp_ieee_underflow 0
		.amdhsa_exception_fp_ieee_inexact 0
		.amdhsa_exception_int_div_zero 0
	.end_amdhsa_kernel
	.section	.text._ZN9rocsparseL35bsr2csr_block_per_row_33_256_kernelILj1024ELj64ELj32E21rocsparse_complex_numIdEilEEv20rocsparse_direction_T4_S4_21rocsparse_index_base_PKT2_PKT3_PKS4_S4_S5_PS6_PS9_PS4_,"axG",@progbits,_ZN9rocsparseL35bsr2csr_block_per_row_33_256_kernelILj1024ELj64ELj32E21rocsparse_complex_numIdEilEEv20rocsparse_direction_T4_S4_21rocsparse_index_base_PKT2_PKT3_PKS4_S4_S5_PS6_PS9_PS4_,comdat
.Lfunc_end296:
	.size	_ZN9rocsparseL35bsr2csr_block_per_row_33_256_kernelILj1024ELj64ELj32E21rocsparse_complex_numIdEilEEv20rocsparse_direction_T4_S4_21rocsparse_index_base_PKT2_PKT3_PKS4_S4_S5_PS6_PS9_PS4_, .Lfunc_end296-_ZN9rocsparseL35bsr2csr_block_per_row_33_256_kernelILj1024ELj64ELj32E21rocsparse_complex_numIdEilEEv20rocsparse_direction_T4_S4_21rocsparse_index_base_PKT2_PKT3_PKS4_S4_S5_PS6_PS9_PS4_
                                        ; -- End function
	.set _ZN9rocsparseL35bsr2csr_block_per_row_33_256_kernelILj1024ELj64ELj32E21rocsparse_complex_numIdEilEEv20rocsparse_direction_T4_S4_21rocsparse_index_base_PKT2_PKT3_PKS4_S4_S5_PS6_PS9_PS4_.num_vgpr, 36
	.set _ZN9rocsparseL35bsr2csr_block_per_row_33_256_kernelILj1024ELj64ELj32E21rocsparse_complex_numIdEilEEv20rocsparse_direction_T4_S4_21rocsparse_index_base_PKT2_PKT3_PKS4_S4_S5_PS6_PS9_PS4_.num_agpr, 0
	.set _ZN9rocsparseL35bsr2csr_block_per_row_33_256_kernelILj1024ELj64ELj32E21rocsparse_complex_numIdEilEEv20rocsparse_direction_T4_S4_21rocsparse_index_base_PKT2_PKT3_PKS4_S4_S5_PS6_PS9_PS4_.numbered_sgpr, 28
	.set _ZN9rocsparseL35bsr2csr_block_per_row_33_256_kernelILj1024ELj64ELj32E21rocsparse_complex_numIdEilEEv20rocsparse_direction_T4_S4_21rocsparse_index_base_PKT2_PKT3_PKS4_S4_S5_PS6_PS9_PS4_.num_named_barrier, 0
	.set _ZN9rocsparseL35bsr2csr_block_per_row_33_256_kernelILj1024ELj64ELj32E21rocsparse_complex_numIdEilEEv20rocsparse_direction_T4_S4_21rocsparse_index_base_PKT2_PKT3_PKS4_S4_S5_PS6_PS9_PS4_.private_seg_size, 0
	.set _ZN9rocsparseL35bsr2csr_block_per_row_33_256_kernelILj1024ELj64ELj32E21rocsparse_complex_numIdEilEEv20rocsparse_direction_T4_S4_21rocsparse_index_base_PKT2_PKT3_PKS4_S4_S5_PS6_PS9_PS4_.uses_vcc, 1
	.set _ZN9rocsparseL35bsr2csr_block_per_row_33_256_kernelILj1024ELj64ELj32E21rocsparse_complex_numIdEilEEv20rocsparse_direction_T4_S4_21rocsparse_index_base_PKT2_PKT3_PKS4_S4_S5_PS6_PS9_PS4_.uses_flat_scratch, 0
	.set _ZN9rocsparseL35bsr2csr_block_per_row_33_256_kernelILj1024ELj64ELj32E21rocsparse_complex_numIdEilEEv20rocsparse_direction_T4_S4_21rocsparse_index_base_PKT2_PKT3_PKS4_S4_S5_PS6_PS9_PS4_.has_dyn_sized_stack, 0
	.set _ZN9rocsparseL35bsr2csr_block_per_row_33_256_kernelILj1024ELj64ELj32E21rocsparse_complex_numIdEilEEv20rocsparse_direction_T4_S4_21rocsparse_index_base_PKT2_PKT3_PKS4_S4_S5_PS6_PS9_PS4_.has_recursion, 0
	.set _ZN9rocsparseL35bsr2csr_block_per_row_33_256_kernelILj1024ELj64ELj32E21rocsparse_complex_numIdEilEEv20rocsparse_direction_T4_S4_21rocsparse_index_base_PKT2_PKT3_PKS4_S4_S5_PS6_PS9_PS4_.has_indirect_call, 0
	.section	.AMDGPU.csdata,"",@progbits
; Kernel info:
; codeLenInByte = 1216
; TotalNumSgprs: 30
; NumVgprs: 36
; ScratchSize: 0
; MemoryBound: 0
; FloatMode: 240
; IeeeMode: 1
; LDSByteSize: 0 bytes/workgroup (compile time only)
; SGPRBlocks: 0
; VGPRBlocks: 2
; NumSGPRsForWavesPerEU: 30
; NumVGPRsForWavesPerEU: 36
; NamedBarCnt: 0
; Occupancy: 16
; WaveLimiterHint : 1
; COMPUTE_PGM_RSRC2:SCRATCH_EN: 0
; COMPUTE_PGM_RSRC2:USER_SGPR: 2
; COMPUTE_PGM_RSRC2:TRAP_HANDLER: 0
; COMPUTE_PGM_RSRC2:TGID_X_EN: 1
; COMPUTE_PGM_RSRC2:TGID_Y_EN: 0
; COMPUTE_PGM_RSRC2:TGID_Z_EN: 0
; COMPUTE_PGM_RSRC2:TIDIG_COMP_CNT: 0
	.section	.text._ZN9rocsparseL35bsr2csr_block_per_row_33_256_kernelILj1024ELj128ELj32E21rocsparse_complex_numIdEilEEv20rocsparse_direction_T4_S4_21rocsparse_index_base_PKT2_PKT3_PKS4_S4_S5_PS6_PS9_PS4_,"axG",@progbits,_ZN9rocsparseL35bsr2csr_block_per_row_33_256_kernelILj1024ELj128ELj32E21rocsparse_complex_numIdEilEEv20rocsparse_direction_T4_S4_21rocsparse_index_base_PKT2_PKT3_PKS4_S4_S5_PS6_PS9_PS4_,comdat
	.globl	_ZN9rocsparseL35bsr2csr_block_per_row_33_256_kernelILj1024ELj128ELj32E21rocsparse_complex_numIdEilEEv20rocsparse_direction_T4_S4_21rocsparse_index_base_PKT2_PKT3_PKS4_S4_S5_PS6_PS9_PS4_ ; -- Begin function _ZN9rocsparseL35bsr2csr_block_per_row_33_256_kernelILj1024ELj128ELj32E21rocsparse_complex_numIdEilEEv20rocsparse_direction_T4_S4_21rocsparse_index_base_PKT2_PKT3_PKS4_S4_S5_PS6_PS9_PS4_
	.p2align	8
	.type	_ZN9rocsparseL35bsr2csr_block_per_row_33_256_kernelILj1024ELj128ELj32E21rocsparse_complex_numIdEilEEv20rocsparse_direction_T4_S4_21rocsparse_index_base_PKT2_PKT3_PKS4_S4_S5_PS6_PS9_PS4_,@function
_ZN9rocsparseL35bsr2csr_block_per_row_33_256_kernelILj1024ELj128ELj32E21rocsparse_complex_numIdEilEEv20rocsparse_direction_T4_S4_21rocsparse_index_base_PKT2_PKT3_PKS4_S4_S5_PS6_PS9_PS4_: ; @_ZN9rocsparseL35bsr2csr_block_per_row_33_256_kernelILj1024ELj128ELj32E21rocsparse_complex_numIdEilEEv20rocsparse_direction_T4_S4_21rocsparse_index_base_PKT2_PKT3_PKS4_S4_S5_PS6_PS9_PS4_
; %bb.0:
	s_load_b64 s[6:7], s[0:1], 0x28
	s_bfe_u32 s2, ttmp6, 0x4000c
	s_and_b32 s3, ttmp6, 15
	s_add_co_i32 s2, s2, 1
	s_getreg_b32 s4, hwreg(HW_REG_IB_STS2, 6, 4)
	s_mul_i32 s2, ttmp9, s2
	s_mov_b32 s9, 0
	s_add_co_i32 s3, s3, s2
	s_cmp_eq_u32 s4, 0
	s_clause 0x1
	s_load_b32 s10, s[0:1], 0x40
	s_load_b64 s[4:5], s[0:1], 0x50
	s_cselect_b32 s2, ttmp9, s3
	s_mov_b32 s3, s9
	v_or_b32_e32 v1, s2, v0
	s_lshl_b64 s[12:13], s[2:3], 2
	s_mov_b32 s8, exec_lo
	s_wait_kmcnt 0x0
	s_add_nc_u64 s[12:13], s[6:7], s[12:13]
	s_load_b64 s[6:7], s[12:13], 0x0
	v_cmpx_eq_u32_e32 0, v1
	s_cbranch_execz .LBB297_2
; %bb.1:
	v_dual_mov_b32 v1, 0 :: v_dual_mov_b32 v2, s10
	global_store_b32 v1, v2, s[4:5]
.LBB297_2:
	s_wait_xcnt 0x0
	s_or_b32 exec_lo, exec_lo, s8
	s_clause 0x1
	s_load_b32 s12, s[0:1], 0x18
	s_load_b64 s[14:15], s[0:1], 0x38
	v_dual_mov_b32 v11, 0 :: v_dual_lshrrev_b32 v10, 5, v0
	s_mov_b32 s25, s9
	s_wait_kmcnt 0x0
	s_sub_co_i32 s8, s6, s12
	s_sub_co_i32 s28, s7, s12
	s_mul_u64 s[20:21], s[14:15], s[2:3]
	v_cmp_gt_i64_e64 s3, s[14:15], v[10:11]
	s_sub_co_i32 s24, s28, s8
	s_mul_u64 s[22:23], s[14:15], s[14:15]
	s_mul_u64 s[18:19], s[14:15], s[24:25]
	s_lshl_b64 s[20:21], s[20:21], 2
	s_mul_u64 s[16:17], s[22:23], s[8:9]
	s_add_co_i32 s9, s10, s18
	s_add_nc_u64 s[20:21], s[4:5], s[20:21]
	s_and_saveexec_b32 s2, s3
	s_cbranch_execz .LBB297_4
; %bb.3:
	s_add_co_i32 s4, s9, s16
	s_delay_alu instid0(SALU_CYCLE_1)
	v_mad_u32 v1, v10, s18, s4
	global_store_b32 v10, v1, s[20:21] offset:4 scale_offset
.LBB297_4:
	s_wait_xcnt 0x0
	s_or_b32 exec_lo, exec_lo, s2
	v_dual_mov_b32 v29, v11 :: v_dual_bitop2_b32 v28, 32, v10 bitop3:0x54
	s_delay_alu instid0(VALU_DEP_1)
	v_cmp_gt_i64_e64 s4, s[14:15], v[28:29]
	s_and_saveexec_b32 s2, s4
	s_cbranch_execz .LBB297_6
; %bb.5:
	s_add_co_i32 s5, s9, s16
	s_delay_alu instid0(SALU_CYCLE_1)
	v_mad_u32 v1, v28, s18, s5
	global_store_b32 v10, v1, s[20:21] offset:132 scale_offset
.LBB297_6:
	s_wait_xcnt 0x0
	s_or_b32 exec_lo, exec_lo, s2
	v_dual_mov_b32 v31, v11 :: v_dual_bitop2_b32 v30, 64, v10 bitop3:0x54
	s_delay_alu instid0(VALU_DEP_1)
	v_cmp_gt_i64_e64 s5, s[14:15], v[30:31]
	s_and_saveexec_b32 s2, s5
	s_cbranch_execz .LBB297_8
; %bb.7:
	s_add_co_i32 s11, s9, s16
	s_delay_alu instid0(SALU_CYCLE_1)
	v_mad_u32 v1, v30, s18, s11
	global_store_b32 v10, v1, s[20:21] offset:260 scale_offset
.LBB297_8:
	s_wait_xcnt 0x0
	s_or_b32 exec_lo, exec_lo, s2
	v_or_b32_e32 v8, 0x60, v10
	v_mov_b32_e32 v9, v11
	s_delay_alu instid0(VALU_DEP_1)
	v_cmp_gt_i64_e64 s2, s[14:15], v[8:9]
	s_and_saveexec_b32 s11, s2
	s_cbranch_execz .LBB297_10
; %bb.9:
	s_add_co_i32 s9, s9, s16
	s_delay_alu instid0(SALU_CYCLE_1)
	v_mad_u32 v1, v8, s18, s9
	global_store_b32 v10, v1, s[20:21] offset:388 scale_offset
.LBB297_10:
	s_wait_xcnt 0x0
	s_or_b32 exec_lo, exec_lo, s11
	s_cmp_lt_i32 s6, s7
	s_cbranch_scc0 .LBB297_45
; %bb.11:
	s_clause 0x2
	s_load_b64 s[26:27], s[0:1], 0x30
	s_load_b64 s[16:17], s[0:1], 0x48
	s_load_b32 s9, s[0:1], 0x0
	v_dual_mov_b32 v1, 0 :: v_dual_bitop2_b32 v0, 31, v0 bitop3:0x40
	s_clause 0x1
	s_load_b64 s[18:19], s[0:1], 0x20
	s_load_b64 s[20:21], s[0:1], 0x58
	s_mov_b32 s13, 0
	v_dual_lshlrev_b32 v26, 4, v10 :: v_dual_bitop2_b32 v2, 32, v0 bitop3:0x54
	v_dual_mov_b32 v3, v1 :: v_dual_bitop2_b32 v4, 64, v0 bitop3:0x54
	v_mov_b32_e32 v5, v1
	v_or_b32_e32 v6, 0x60, v0
	v_mov_b32_e32 v7, v1
	s_wait_xcnt 0x0
	v_cmp_gt_i64_e64 s0, s[14:15], v[0:1]
	v_cmp_gt_i64_e64 s1, s[14:15], v[2:3]
	;; [unrolled: 1-line block ×3, first 2 shown]
	v_dual_mov_b32 v27, v1 :: v_dual_lshlrev_b32 v18, 4, v0
	v_cmp_gt_i64_e64 s7, s[14:15], v[6:7]
	v_dual_mov_b32 v19, v1 :: v_dual_mov_b32 v9, v0
	s_wait_kmcnt 0x0
	s_cmp_eq_u32 s9, 0
	v_mov_b32_e32 v32, v1
	s_cselect_b32 vcc_lo, -1, 0
	s_ashr_i32 s9, s8, 31
	s_and_b32 s33, s4, s0
	s_and_b32 s34, s4, s1
	s_and_b32 s35, s4, s6
	s_and_b32 s36, s4, s7
	s_and_b32 s37, s5, s0
	s_and_b32 s38, s5, s1
	s_and_b32 s39, s5, s6
	s_and_b32 s40, s5, s7
	s_mul_u64 s[4:5], s[14:15], s[8:9]
	s_and_b32 s25, s3, s0
	s_and_b32 s41, s2, s0
	s_mul_i32 s0, s14, s8
	s_lshl_b64 s[4:5], s[4:5], 4
	v_mad_u32 v11, v8, s24, s0
	v_add_nc_u64_e32 v[34:35], s[4:5], v[26:27]
	v_mov_b32_e32 v8, v1
	v_add_nc_u64_e32 v[36:37], s[4:5], v[18:19]
	v_mad_u32 v29, v30, s24, s0
	v_mad_u32 v28, v28, s24, s0
	v_mad_u32 v10, v10, s24, s0
	v_mov_b32_e32 v30, v1
	v_add_nc_u64_e32 v[38:39], 0x600, v[34:35]
	v_add_nc_u64_e32 v[40:41], 0x400, v[34:35]
	;; [unrolled: 1-line block ×6, first 2 shown]
	v_mad_u32 v11, s14, v11, 0x60
	v_mad_nc_u64_u32 v[12:13], s14, v38, v[18:19]
	v_mad_nc_u64_u32 v[14:15], s14, v40, v[18:19]
	;; [unrolled: 1-line block ×8, first 2 shown]
	v_mul_lo_u32 v29, s14, v29
	v_mul_lo_u32 v31, s14, v28
	;; [unrolled: 1-line block ×3, first 2 shown]
	v_mad_u32 v13, s15, v38, v13
	v_mad_u32 v15, s15, v40, v15
	v_mad_u32 v17, s15, v42, v17
	v_mad_u32 v19, s15, v34, v19
	v_mad_u32 v21, s15, v44, v21
	v_mad_u32 v23, s15, v46, v23
	v_mad_u32 v25, s15, v48, v25
	v_mad_u32 v27, s15, v36, v27
	v_dual_mov_b32 v10, v1 :: v_dual_mov_b32 v28, v1
	s_and_b32 s29, s3, s1
	v_mad_u32 v13, s14, v39, v13
	v_mad_u32 v15, s14, v41, v15
	;; [unrolled: 1-line block ×8, first 2 shown]
	s_and_b32 s30, s3, s6
	s_and_b32 s31, s3, s7
	;; [unrolled: 1-line block ×5, first 2 shown]
	s_lshl_b64 s[2:3], s[8:9], 3
	s_mov_b32 s11, s13
	s_mov_b32 s0, s13
	;; [unrolled: 1-line block ×3, first 2 shown]
	s_add_nc_u64 s[2:3], s[26:27], s[2:3]
	s_lshl_b64 s[4:5], s[22:23], 4
	s_branch .LBB297_13
.LBB297_12:                             ;   in Loop: Header=BB297_13 Depth=1
	s_wait_xcnt 0x0
	s_or_b32 exec_lo, exec_lo, s6
	v_add_nc_u64_e32 v[10:11], s[0:1], v[10:11]
	v_add_nc_u64_e32 v[28:29], s[0:1], v[28:29]
	;; [unrolled: 1-line block ×4, first 2 shown]
	s_add_co_i32 s8, s8, 1
	s_add_nc_u64 s[2:3], s[2:3], 8
	s_cmp_ge_i32 s8, s28
	s_add_nc_u64 s[18:19], s[18:19], s[4:5]
	s_cbranch_scc1 .LBB297_45
.LBB297_13:                             ; =>This Inner Loop Header: Depth=1
	s_load_b64 s[6:7], s[2:3], 0x0
	v_add_nc_u64_e32 v[50:51], v[8:9], v[32:33]
	v_add_nc_u64_e32 v[52:53], s[18:19], v[18:19]
	;; [unrolled: 1-line block ×3, first 2 shown]
	s_wait_kmcnt 0x0
	s_sub_nc_u64 s[6:7], s[6:7], s[12:13]
	s_delay_alu instid0(SALU_CYCLE_1) | instskip(NEXT) | instid1(SALU_CYCLE_1)
	s_mul_u64 s[6:7], s[6:7], s[14:15]
	s_add_nc_u64 s[6:7], s[6:7], s[10:11]
	s_delay_alu instid0(SALU_CYCLE_1)
	v_add_nc_u64_e32 v[38:39], s[6:7], v[0:1]
	s_and_saveexec_b32 s9, s25
	s_cbranch_execz .LBB297_15
; %bb.14:                               ;   in Loop: Header=BB297_13 Depth=1
	v_dual_cndmask_b32 v35, v49, v53 :: v_dual_cndmask_b32 v34, v48, v52
	v_ashrrev_i64 v[40:41], 29, v[50:51]
	v_ashrrev_i64 v[42:43], 28, v[50:51]
	global_load_b128 v[34:37], v[34:35], off
	v_add_nc_u64_e32 v[40:41], s[20:21], v[40:41]
	v_add_nc_u64_e32 v[42:43], s[16:17], v[42:43]
	global_store_b64 v[40:41], v[38:39], off
	s_wait_loadcnt 0x0
	global_store_b128 v[42:43], v[34:37], off
.LBB297_15:                             ;   in Loop: Header=BB297_13 Depth=1
	s_wait_xcnt 0x0
	s_or_b32 exec_lo, exec_lo, s9
	v_add_nc_u64_e32 v[34:35], s[6:7], v[2:3]
	v_add_nc_u64_e32 v[42:43], s[18:19], v[24:25]
	s_and_saveexec_b32 s9, s29
	s_cbranch_execz .LBB297_17
; %bb.16:                               ;   in Loop: Header=BB297_13 Depth=1
	v_add_nc_u64_e32 v[36:37], 0x200, v[52:53]
	s_delay_alu instid0(VALU_DEP_1) | instskip(SKIP_3) | instid1(VALU_DEP_1)
	v_dual_cndmask_b32 v37, v43, v37 :: v_dual_cndmask_b32 v36, v42, v36
	global_load_b128 v[44:47], v[36:37], off
	s_wait_xcnt 0x0
	v_dual_mov_b32 v36, v50 :: v_dual_add_nc_u32 v37, 32, v51
	v_ashrrev_i64 v[40:41], 29, v[36:37]
	v_ashrrev_i64 v[36:37], 28, v[36:37]
	s_delay_alu instid0(VALU_DEP_2) | instskip(NEXT) | instid1(VALU_DEP_2)
	v_add_nc_u64_e32 v[40:41], s[20:21], v[40:41]
	v_add_nc_u64_e32 v[36:37], s[16:17], v[36:37]
	global_store_b64 v[40:41], v[34:35], off
	s_wait_loadcnt 0x0
	global_store_b128 v[36:37], v[44:47], off
.LBB297_17:                             ;   in Loop: Header=BB297_13 Depth=1
	s_wait_xcnt 0x0
	s_or_b32 exec_lo, exec_lo, s9
	v_add_nc_u64_e32 v[36:37], s[6:7], v[4:5]
	v_add_nc_u64_e32 v[44:45], s[18:19], v[22:23]
	s_and_saveexec_b32 s9, s30
	s_cbranch_execz .LBB297_19
; %bb.18:                               ;   in Loop: Header=BB297_13 Depth=1
	v_add_nc_u64_e32 v[40:41], 0x400, v[52:53]
	s_delay_alu instid0(VALU_DEP_1) | instskip(SKIP_3) | instid1(VALU_DEP_1)
	v_dual_cndmask_b32 v41, v45, v41 :: v_dual_cndmask_b32 v40, v44, v40
	global_load_b128 v[54:57], v[40:41], off
	s_wait_xcnt 0x0
	v_dual_mov_b32 v40, v50 :: v_dual_add_nc_u32 v41, 64, v51
	v_ashrrev_i64 v[46:47], 29, v[40:41]
	v_ashrrev_i64 v[40:41], 28, v[40:41]
	s_delay_alu instid0(VALU_DEP_2) | instskip(NEXT) | instid1(VALU_DEP_2)
	v_add_nc_u64_e32 v[46:47], s[20:21], v[46:47]
	v_add_nc_u64_e32 v[40:41], s[16:17], v[40:41]
	global_store_b64 v[46:47], v[36:37], off
	s_wait_loadcnt 0x0
	global_store_b128 v[40:41], v[54:57], off
.LBB297_19:                             ;   in Loop: Header=BB297_13 Depth=1
	s_wait_xcnt 0x0
	s_or_b32 exec_lo, exec_lo, s9
	v_add_nc_u64_e32 v[40:41], s[6:7], v[6:7]
	v_add_nc_u64_e32 v[46:47], s[18:19], v[20:21]
	s_and_saveexec_b32 s6, s31
	s_cbranch_execz .LBB297_21
; %bb.20:                               ;   in Loop: Header=BB297_13 Depth=1
	v_add_nc_u64_e32 v[52:53], 0x600, v[52:53]
	v_add_nc_u32_e32 v51, 0x60, v51
	s_delay_alu instid0(VALU_DEP_1) | instskip(NEXT) | instid1(VALU_DEP_3)
	v_ashrrev_i64 v[56:57], 29, v[50:51]
	v_dual_cndmask_b32 v53, v47, v53 :: v_dual_cndmask_b32 v52, v46, v52
	v_ashrrev_i64 v[50:51], 28, v[50:51]
	global_load_b128 v[52:55], v[52:53], off
	v_add_nc_u64_e32 v[56:57], s[20:21], v[56:57]
	v_add_nc_u64_e32 v[50:51], s[16:17], v[50:51]
	global_store_b64 v[56:57], v[40:41], off
	s_wait_loadcnt 0x0
	global_store_b128 v[50:51], v[52:55], off
.LBB297_21:                             ;   in Loop: Header=BB297_13 Depth=1
	s_wait_xcnt 0x0
	s_or_b32 exec_lo, exec_lo, s6
	v_add_nc_u64_e32 v[50:51], v[8:9], v[30:31]
	v_add_nc_u64_e32 v[52:53], s[18:19], v[16:17]
	s_and_saveexec_b32 s6, s33
	s_cbranch_execnz .LBB297_35
; %bb.22:                               ;   in Loop: Header=BB297_13 Depth=1
	s_or_b32 exec_lo, exec_lo, s6
	s_and_saveexec_b32 s6, s34
	s_cbranch_execnz .LBB297_36
.LBB297_23:                             ;   in Loop: Header=BB297_13 Depth=1
	s_or_b32 exec_lo, exec_lo, s6
	s_and_saveexec_b32 s6, s35
	s_cbranch_execnz .LBB297_37
.LBB297_24:                             ;   in Loop: Header=BB297_13 Depth=1
	s_or_b32 exec_lo, exec_lo, s6
	s_and_saveexec_b32 s6, s36
	s_cbranch_execz .LBB297_26
.LBB297_25:                             ;   in Loop: Header=BB297_13 Depth=1
	v_add_nc_u64_e32 v[52:53], 0x600, v[52:53]
	v_add_nc_u64_e32 v[54:55], 0x200, v[46:47]
	v_add_nc_u32_e32 v51, 0x60, v51
	s_delay_alu instid0(VALU_DEP_1) | instskip(NEXT) | instid1(VALU_DEP_3)
	v_ashrrev_i64 v[56:57], 29, v[50:51]
	v_dual_cndmask_b32 v53, v55, v53 :: v_dual_cndmask_b32 v52, v54, v52
	v_ashrrev_i64 v[50:51], 28, v[50:51]
	global_load_b128 v[52:55], v[52:53], off
	v_add_nc_u64_e32 v[56:57], s[20:21], v[56:57]
	v_add_nc_u64_e32 v[50:51], s[16:17], v[50:51]
	global_store_b64 v[56:57], v[40:41], off
	s_wait_loadcnt 0x0
	global_store_b128 v[50:51], v[52:55], off
.LBB297_26:                             ;   in Loop: Header=BB297_13 Depth=1
	s_wait_xcnt 0x0
	s_or_b32 exec_lo, exec_lo, s6
	v_add_nc_u64_e32 v[50:51], v[8:9], v[28:29]
	v_add_nc_u64_e32 v[52:53], s[18:19], v[14:15]
	s_and_saveexec_b32 s6, s37
	s_cbranch_execnz .LBB297_38
; %bb.27:                               ;   in Loop: Header=BB297_13 Depth=1
	s_or_b32 exec_lo, exec_lo, s6
	s_and_saveexec_b32 s6, s38
	s_cbranch_execnz .LBB297_39
.LBB297_28:                             ;   in Loop: Header=BB297_13 Depth=1
	s_or_b32 exec_lo, exec_lo, s6
	s_and_saveexec_b32 s6, s39
	s_cbranch_execnz .LBB297_40
.LBB297_29:                             ;   in Loop: Header=BB297_13 Depth=1
	s_or_b32 exec_lo, exec_lo, s6
	s_and_saveexec_b32 s6, s40
	s_cbranch_execz .LBB297_31
.LBB297_30:                             ;   in Loop: Header=BB297_13 Depth=1
	v_add_nc_u64_e32 v[52:53], 0x600, v[52:53]
	v_add_nc_u64_e32 v[54:55], 0x400, v[46:47]
	v_add_nc_u32_e32 v51, 0x60, v51
	s_delay_alu instid0(VALU_DEP_1) | instskip(NEXT) | instid1(VALU_DEP_3)
	v_ashrrev_i64 v[56:57], 29, v[50:51]
	v_dual_cndmask_b32 v53, v55, v53 :: v_dual_cndmask_b32 v52, v54, v52
	v_ashrrev_i64 v[50:51], 28, v[50:51]
	global_load_b128 v[52:55], v[52:53], off
	v_add_nc_u64_e32 v[56:57], s[20:21], v[56:57]
	v_add_nc_u64_e32 v[50:51], s[16:17], v[50:51]
	global_store_b64 v[56:57], v[40:41], off
	s_wait_loadcnt 0x0
	global_store_b128 v[50:51], v[52:55], off
.LBB297_31:                             ;   in Loop: Header=BB297_13 Depth=1
	s_wait_xcnt 0x0
	s_or_b32 exec_lo, exec_lo, s6
	v_add_nc_u64_e32 v[50:51], v[8:9], v[10:11]
	v_add_nc_u64_e32 v[52:53], s[18:19], v[12:13]
	s_and_saveexec_b32 s6, s41
	s_cbranch_execnz .LBB297_41
; %bb.32:                               ;   in Loop: Header=BB297_13 Depth=1
	s_or_b32 exec_lo, exec_lo, s6
	s_and_saveexec_b32 s6, s42
	s_cbranch_execnz .LBB297_42
.LBB297_33:                             ;   in Loop: Header=BB297_13 Depth=1
	s_or_b32 exec_lo, exec_lo, s6
	s_and_saveexec_b32 s6, s43
	s_cbranch_execnz .LBB297_43
.LBB297_34:                             ;   in Loop: Header=BB297_13 Depth=1
	s_or_b32 exec_lo, exec_lo, s6
	s_and_saveexec_b32 s6, s44
	s_cbranch_execz .LBB297_12
	s_branch .LBB297_44
.LBB297_35:                             ;   in Loop: Header=BB297_13 Depth=1
	v_add_nc_u64_e32 v[54:55], 0x200, v[48:49]
	s_delay_alu instid0(VALU_DEP_3) | instskip(SKIP_1) | instid1(VALU_DEP_3)
	v_ashrrev_i64 v[58:59], 29, v[50:51]
	v_ashrrev_i64 v[60:61], 28, v[50:51]
	v_dual_cndmask_b32 v55, v55, v53 :: v_dual_cndmask_b32 v54, v54, v52
	s_delay_alu instid0(VALU_DEP_3) | instskip(NEXT) | instid1(VALU_DEP_3)
	v_add_nc_u64_e32 v[58:59], s[20:21], v[58:59]
	v_add_nc_u64_e32 v[60:61], s[16:17], v[60:61]
	global_load_b128 v[54:57], v[54:55], off
	global_store_b64 v[58:59], v[38:39], off
	s_wait_loadcnt 0x0
	global_store_b128 v[60:61], v[54:57], off
	s_wait_xcnt 0x0
	s_or_b32 exec_lo, exec_lo, s6
	s_and_saveexec_b32 s6, s34
	s_cbranch_execz .LBB297_23
.LBB297_36:                             ;   in Loop: Header=BB297_13 Depth=1
	s_delay_alu instid0(VALU_DEP_1) | instskip(SKIP_2) | instid1(VALU_DEP_1)
	v_add_nc_u64_e32 v[54:55], 0x200, v[52:53]
	v_add_nc_u64_e32 v[56:57], 0x200, v[42:43]
	v_dual_mov_b32 v58, v50 :: v_dual_add_nc_u32 v59, 32, v51
	v_ashrrev_i64 v[60:61], 29, v[58:59]
	s_delay_alu instid0(VALU_DEP_3)
	v_dual_cndmask_b32 v55, v57, v55 :: v_dual_cndmask_b32 v54, v56, v54
	v_ashrrev_i64 v[58:59], 28, v[58:59]
	global_load_b128 v[54:57], v[54:55], off
	v_add_nc_u64_e32 v[60:61], s[20:21], v[60:61]
	v_add_nc_u64_e32 v[58:59], s[16:17], v[58:59]
	global_store_b64 v[60:61], v[34:35], off
	s_wait_loadcnt 0x0
	global_store_b128 v[58:59], v[54:57], off
	s_wait_xcnt 0x0
	s_or_b32 exec_lo, exec_lo, s6
	s_and_saveexec_b32 s6, s35
	s_cbranch_execz .LBB297_24
.LBB297_37:                             ;   in Loop: Header=BB297_13 Depth=1
	v_add_nc_u64_e32 v[54:55], 0x400, v[52:53]
	v_add_nc_u64_e32 v[56:57], 0x200, v[44:45]
	v_dual_mov_b32 v58, v50 :: v_dual_add_nc_u32 v59, 64, v51
	s_delay_alu instid0(VALU_DEP_1) | instskip(NEXT) | instid1(VALU_DEP_3)
	v_ashrrev_i64 v[60:61], 29, v[58:59]
	v_dual_cndmask_b32 v55, v57, v55 :: v_dual_cndmask_b32 v54, v56, v54
	v_ashrrev_i64 v[58:59], 28, v[58:59]
	global_load_b128 v[54:57], v[54:55], off
	v_add_nc_u64_e32 v[60:61], s[20:21], v[60:61]
	v_add_nc_u64_e32 v[58:59], s[16:17], v[58:59]
	global_store_b64 v[60:61], v[36:37], off
	s_wait_loadcnt 0x0
	global_store_b128 v[58:59], v[54:57], off
	s_wait_xcnt 0x0
	s_or_b32 exec_lo, exec_lo, s6
	s_and_saveexec_b32 s6, s36
	s_cbranch_execnz .LBB297_25
	s_branch .LBB297_26
.LBB297_38:                             ;   in Loop: Header=BB297_13 Depth=1
	v_add_nc_u64_e32 v[54:55], 0x400, v[48:49]
	s_delay_alu instid0(VALU_DEP_3) | instskip(SKIP_1) | instid1(VALU_DEP_3)
	v_ashrrev_i64 v[58:59], 29, v[50:51]
	v_ashrrev_i64 v[60:61], 28, v[50:51]
	v_dual_cndmask_b32 v55, v55, v53 :: v_dual_cndmask_b32 v54, v54, v52
	s_delay_alu instid0(VALU_DEP_3) | instskip(NEXT) | instid1(VALU_DEP_3)
	v_add_nc_u64_e32 v[58:59], s[20:21], v[58:59]
	v_add_nc_u64_e32 v[60:61], s[16:17], v[60:61]
	global_load_b128 v[54:57], v[54:55], off
	global_store_b64 v[58:59], v[38:39], off
	s_wait_loadcnt 0x0
	global_store_b128 v[60:61], v[54:57], off
	s_wait_xcnt 0x0
	s_or_b32 exec_lo, exec_lo, s6
	s_and_saveexec_b32 s6, s38
	s_cbranch_execz .LBB297_28
.LBB297_39:                             ;   in Loop: Header=BB297_13 Depth=1
	s_delay_alu instid0(VALU_DEP_1) | instskip(SKIP_2) | instid1(VALU_DEP_1)
	v_add_nc_u64_e32 v[54:55], 0x200, v[52:53]
	v_add_nc_u64_e32 v[56:57], 0x400, v[42:43]
	v_dual_mov_b32 v58, v50 :: v_dual_add_nc_u32 v59, 32, v51
	v_ashrrev_i64 v[60:61], 29, v[58:59]
	s_delay_alu instid0(VALU_DEP_3)
	v_dual_cndmask_b32 v55, v57, v55 :: v_dual_cndmask_b32 v54, v56, v54
	v_ashrrev_i64 v[58:59], 28, v[58:59]
	global_load_b128 v[54:57], v[54:55], off
	v_add_nc_u64_e32 v[60:61], s[20:21], v[60:61]
	v_add_nc_u64_e32 v[58:59], s[16:17], v[58:59]
	global_store_b64 v[60:61], v[34:35], off
	s_wait_loadcnt 0x0
	global_store_b128 v[58:59], v[54:57], off
	s_wait_xcnt 0x0
	s_or_b32 exec_lo, exec_lo, s6
	s_and_saveexec_b32 s6, s39
	s_cbranch_execz .LBB297_29
.LBB297_40:                             ;   in Loop: Header=BB297_13 Depth=1
	v_add_nc_u64_e32 v[54:55], 0x400, v[52:53]
	v_add_nc_u64_e32 v[56:57], 0x400, v[44:45]
	v_dual_mov_b32 v58, v50 :: v_dual_add_nc_u32 v59, 64, v51
	s_delay_alu instid0(VALU_DEP_1) | instskip(NEXT) | instid1(VALU_DEP_3)
	v_ashrrev_i64 v[60:61], 29, v[58:59]
	v_dual_cndmask_b32 v55, v57, v55 :: v_dual_cndmask_b32 v54, v56, v54
	v_ashrrev_i64 v[58:59], 28, v[58:59]
	global_load_b128 v[54:57], v[54:55], off
	v_add_nc_u64_e32 v[60:61], s[20:21], v[60:61]
	v_add_nc_u64_e32 v[58:59], s[16:17], v[58:59]
	global_store_b64 v[60:61], v[36:37], off
	s_wait_loadcnt 0x0
	global_store_b128 v[58:59], v[54:57], off
	s_wait_xcnt 0x0
	s_or_b32 exec_lo, exec_lo, s6
	s_and_saveexec_b32 s6, s40
	s_cbranch_execnz .LBB297_30
	s_branch .LBB297_31
.LBB297_41:                             ;   in Loop: Header=BB297_13 Depth=1
	v_add_nc_u64_e32 v[48:49], 0x600, v[48:49]
	s_delay_alu instid0(VALU_DEP_1) | instskip(SKIP_3) | instid1(VALU_DEP_1)
	v_dual_cndmask_b32 v49, v49, v53 :: v_dual_cndmask_b32 v48, v48, v52
	global_load_b128 v[54:57], v[48:49], off
	s_wait_xcnt 0x0
	v_dual_mov_b32 v48, v50 :: v_dual_add_nc_u32 v49, 0xffffffa0, v51
	v_ashrrev_i64 v[58:59], 29, v[48:49]
	v_ashrrev_i64 v[48:49], 28, v[48:49]
	s_delay_alu instid0(VALU_DEP_2) | instskip(NEXT) | instid1(VALU_DEP_2)
	v_add_nc_u64_e32 v[58:59], s[20:21], v[58:59]
	v_add_nc_u64_e32 v[48:49], s[16:17], v[48:49]
	global_store_b64 v[58:59], v[38:39], off
	s_wait_loadcnt 0x0
	global_store_b128 v[48:49], v[54:57], off
	s_wait_xcnt 0x0
	s_or_b32 exec_lo, exec_lo, s6
	s_and_saveexec_b32 s6, s42
	s_cbranch_execz .LBB297_33
.LBB297_42:                             ;   in Loop: Header=BB297_13 Depth=1
	s_delay_alu instid0(VALU_DEP_1) | instskip(SKIP_1) | instid1(VALU_DEP_1)
	v_add_nc_u64_e32 v[38:39], 0x200, v[52:53]
	v_add_nc_u64_e32 v[42:43], 0x600, v[42:43]
	v_dual_cndmask_b32 v39, v43, v39 :: v_dual_cndmask_b32 v38, v42, v38
	global_load_b128 v[54:57], v[38:39], off
	s_wait_xcnt 0x0
	v_subrev_nc_u32_e32 v39, 64, v51
	v_mov_b32_e32 v38, v50
	s_delay_alu instid0(VALU_DEP_1) | instskip(SKIP_1) | instid1(VALU_DEP_2)
	v_ashrrev_i64 v[42:43], 29, v[38:39]
	v_ashrrev_i64 v[38:39], 28, v[38:39]
	v_add_nc_u64_e32 v[42:43], s[20:21], v[42:43]
	s_delay_alu instid0(VALU_DEP_2)
	v_add_nc_u64_e32 v[38:39], s[16:17], v[38:39]
	global_store_b64 v[42:43], v[34:35], off
	s_wait_loadcnt 0x0
	global_store_b128 v[38:39], v[54:57], off
	s_wait_xcnt 0x0
	s_or_b32 exec_lo, exec_lo, s6
	s_and_saveexec_b32 s6, s43
	s_cbranch_execz .LBB297_34
.LBB297_43:                             ;   in Loop: Header=BB297_13 Depth=1
	v_add_nc_u64_e32 v[34:35], 0x400, v[52:53]
	v_add_nc_u64_e32 v[38:39], 0x600, v[44:45]
	s_delay_alu instid0(VALU_DEP_1) | instskip(SKIP_4) | instid1(VALU_DEP_1)
	v_dual_cndmask_b32 v35, v39, v35 :: v_dual_cndmask_b32 v34, v38, v34
	global_load_b128 v[42:45], v[34:35], off
	s_wait_xcnt 0x0
	v_subrev_nc_u32_e32 v35, 32, v51
	v_mov_b32_e32 v34, v50
	v_ashrrev_i64 v[38:39], 29, v[34:35]
	v_ashrrev_i64 v[34:35], 28, v[34:35]
	s_delay_alu instid0(VALU_DEP_2) | instskip(NEXT) | instid1(VALU_DEP_2)
	v_add_nc_u64_e32 v[38:39], s[20:21], v[38:39]
	v_add_nc_u64_e32 v[34:35], s[16:17], v[34:35]
	global_store_b64 v[38:39], v[36:37], off
	s_wait_loadcnt 0x0
	global_store_b128 v[34:35], v[42:45], off
	s_wait_xcnt 0x0
	s_or_b32 exec_lo, exec_lo, s6
	s_and_saveexec_b32 s6, s44
	s_cbranch_execz .LBB297_12
.LBB297_44:                             ;   in Loop: Header=BB297_13 Depth=1
	v_add_nc_u64_e32 v[34:35], 0x600, v[52:53]
	v_add_nc_u64_e32 v[36:37], 0x600, v[46:47]
	v_ashrrev_i64 v[38:39], 29, v[50:51]
	v_ashrrev_i64 v[42:43], 28, v[50:51]
	s_delay_alu instid0(VALU_DEP_3) | instskip(NEXT) | instid1(VALU_DEP_3)
	v_dual_cndmask_b32 v35, v37, v35 :: v_dual_cndmask_b32 v34, v36, v34
	v_add_nc_u64_e32 v[38:39], s[20:21], v[38:39]
	s_delay_alu instid0(VALU_DEP_3)
	v_add_nc_u64_e32 v[42:43], s[16:17], v[42:43]
	global_load_b128 v[34:37], v[34:35], off
	global_store_b64 v[38:39], v[40:41], off
	s_wait_loadcnt 0x0
	global_store_b128 v[42:43], v[34:37], off
	s_branch .LBB297_12
.LBB297_45:
	s_endpgm
	.section	.rodata,"a",@progbits
	.p2align	6, 0x0
	.amdhsa_kernel _ZN9rocsparseL35bsr2csr_block_per_row_33_256_kernelILj1024ELj128ELj32E21rocsparse_complex_numIdEilEEv20rocsparse_direction_T4_S4_21rocsparse_index_base_PKT2_PKT3_PKS4_S4_S5_PS6_PS9_PS4_
		.amdhsa_group_segment_fixed_size 0
		.amdhsa_private_segment_fixed_size 0
		.amdhsa_kernarg_size 96
		.amdhsa_user_sgpr_count 2
		.amdhsa_user_sgpr_dispatch_ptr 0
		.amdhsa_user_sgpr_queue_ptr 0
		.amdhsa_user_sgpr_kernarg_segment_ptr 1
		.amdhsa_user_sgpr_dispatch_id 0
		.amdhsa_user_sgpr_kernarg_preload_length 0
		.amdhsa_user_sgpr_kernarg_preload_offset 0
		.amdhsa_user_sgpr_private_segment_size 0
		.amdhsa_wavefront_size32 1
		.amdhsa_uses_dynamic_stack 0
		.amdhsa_enable_private_segment 0
		.amdhsa_system_sgpr_workgroup_id_x 1
		.amdhsa_system_sgpr_workgroup_id_y 0
		.amdhsa_system_sgpr_workgroup_id_z 0
		.amdhsa_system_sgpr_workgroup_info 0
		.amdhsa_system_vgpr_workitem_id 0
		.amdhsa_next_free_vgpr 62
		.amdhsa_next_free_sgpr 45
		.amdhsa_named_barrier_count 0
		.amdhsa_reserve_vcc 1
		.amdhsa_float_round_mode_32 0
		.amdhsa_float_round_mode_16_64 0
		.amdhsa_float_denorm_mode_32 3
		.amdhsa_float_denorm_mode_16_64 3
		.amdhsa_fp16_overflow 0
		.amdhsa_memory_ordered 1
		.amdhsa_forward_progress 1
		.amdhsa_inst_pref_size 25
		.amdhsa_round_robin_scheduling 0
		.amdhsa_exception_fp_ieee_invalid_op 0
		.amdhsa_exception_fp_denorm_src 0
		.amdhsa_exception_fp_ieee_div_zero 0
		.amdhsa_exception_fp_ieee_overflow 0
		.amdhsa_exception_fp_ieee_underflow 0
		.amdhsa_exception_fp_ieee_inexact 0
		.amdhsa_exception_int_div_zero 0
	.end_amdhsa_kernel
	.section	.text._ZN9rocsparseL35bsr2csr_block_per_row_33_256_kernelILj1024ELj128ELj32E21rocsparse_complex_numIdEilEEv20rocsparse_direction_T4_S4_21rocsparse_index_base_PKT2_PKT3_PKS4_S4_S5_PS6_PS9_PS4_,"axG",@progbits,_ZN9rocsparseL35bsr2csr_block_per_row_33_256_kernelILj1024ELj128ELj32E21rocsparse_complex_numIdEilEEv20rocsparse_direction_T4_S4_21rocsparse_index_base_PKT2_PKT3_PKS4_S4_S5_PS6_PS9_PS4_,comdat
.Lfunc_end297:
	.size	_ZN9rocsparseL35bsr2csr_block_per_row_33_256_kernelILj1024ELj128ELj32E21rocsparse_complex_numIdEilEEv20rocsparse_direction_T4_S4_21rocsparse_index_base_PKT2_PKT3_PKS4_S4_S5_PS6_PS9_PS4_, .Lfunc_end297-_ZN9rocsparseL35bsr2csr_block_per_row_33_256_kernelILj1024ELj128ELj32E21rocsparse_complex_numIdEilEEv20rocsparse_direction_T4_S4_21rocsparse_index_base_PKT2_PKT3_PKS4_S4_S5_PS6_PS9_PS4_
                                        ; -- End function
	.set _ZN9rocsparseL35bsr2csr_block_per_row_33_256_kernelILj1024ELj128ELj32E21rocsparse_complex_numIdEilEEv20rocsparse_direction_T4_S4_21rocsparse_index_base_PKT2_PKT3_PKS4_S4_S5_PS6_PS9_PS4_.num_vgpr, 62
	.set _ZN9rocsparseL35bsr2csr_block_per_row_33_256_kernelILj1024ELj128ELj32E21rocsparse_complex_numIdEilEEv20rocsparse_direction_T4_S4_21rocsparse_index_base_PKT2_PKT3_PKS4_S4_S5_PS6_PS9_PS4_.num_agpr, 0
	.set _ZN9rocsparseL35bsr2csr_block_per_row_33_256_kernelILj1024ELj128ELj32E21rocsparse_complex_numIdEilEEv20rocsparse_direction_T4_S4_21rocsparse_index_base_PKT2_PKT3_PKS4_S4_S5_PS6_PS9_PS4_.numbered_sgpr, 45
	.set _ZN9rocsparseL35bsr2csr_block_per_row_33_256_kernelILj1024ELj128ELj32E21rocsparse_complex_numIdEilEEv20rocsparse_direction_T4_S4_21rocsparse_index_base_PKT2_PKT3_PKS4_S4_S5_PS6_PS9_PS4_.num_named_barrier, 0
	.set _ZN9rocsparseL35bsr2csr_block_per_row_33_256_kernelILj1024ELj128ELj32E21rocsparse_complex_numIdEilEEv20rocsparse_direction_T4_S4_21rocsparse_index_base_PKT2_PKT3_PKS4_S4_S5_PS6_PS9_PS4_.private_seg_size, 0
	.set _ZN9rocsparseL35bsr2csr_block_per_row_33_256_kernelILj1024ELj128ELj32E21rocsparse_complex_numIdEilEEv20rocsparse_direction_T4_S4_21rocsparse_index_base_PKT2_PKT3_PKS4_S4_S5_PS6_PS9_PS4_.uses_vcc, 1
	.set _ZN9rocsparseL35bsr2csr_block_per_row_33_256_kernelILj1024ELj128ELj32E21rocsparse_complex_numIdEilEEv20rocsparse_direction_T4_S4_21rocsparse_index_base_PKT2_PKT3_PKS4_S4_S5_PS6_PS9_PS4_.uses_flat_scratch, 0
	.set _ZN9rocsparseL35bsr2csr_block_per_row_33_256_kernelILj1024ELj128ELj32E21rocsparse_complex_numIdEilEEv20rocsparse_direction_T4_S4_21rocsparse_index_base_PKT2_PKT3_PKS4_S4_S5_PS6_PS9_PS4_.has_dyn_sized_stack, 0
	.set _ZN9rocsparseL35bsr2csr_block_per_row_33_256_kernelILj1024ELj128ELj32E21rocsparse_complex_numIdEilEEv20rocsparse_direction_T4_S4_21rocsparse_index_base_PKT2_PKT3_PKS4_S4_S5_PS6_PS9_PS4_.has_recursion, 0
	.set _ZN9rocsparseL35bsr2csr_block_per_row_33_256_kernelILj1024ELj128ELj32E21rocsparse_complex_numIdEilEEv20rocsparse_direction_T4_S4_21rocsparse_index_base_PKT2_PKT3_PKS4_S4_S5_PS6_PS9_PS4_.has_indirect_call, 0
	.section	.AMDGPU.csdata,"",@progbits
; Kernel info:
; codeLenInByte = 3180
; TotalNumSgprs: 47
; NumVgprs: 62
; ScratchSize: 0
; MemoryBound: 0
; FloatMode: 240
; IeeeMode: 1
; LDSByteSize: 0 bytes/workgroup (compile time only)
; SGPRBlocks: 0
; VGPRBlocks: 3
; NumSGPRsForWavesPerEU: 47
; NumVGPRsForWavesPerEU: 62
; NamedBarCnt: 0
; Occupancy: 16
; WaveLimiterHint : 0
; COMPUTE_PGM_RSRC2:SCRATCH_EN: 0
; COMPUTE_PGM_RSRC2:USER_SGPR: 2
; COMPUTE_PGM_RSRC2:TRAP_HANDLER: 0
; COMPUTE_PGM_RSRC2:TGID_X_EN: 1
; COMPUTE_PGM_RSRC2:TGID_Y_EN: 0
; COMPUTE_PGM_RSRC2:TGID_Z_EN: 0
; COMPUTE_PGM_RSRC2:TIDIG_COMP_CNT: 0
	.section	.text._ZN9rocsparseL35bsr2csr_block_per_row_33_256_kernelILj1024ELj256ELj32E21rocsparse_complex_numIdEilEEv20rocsparse_direction_T4_S4_21rocsparse_index_base_PKT2_PKT3_PKS4_S4_S5_PS6_PS9_PS4_,"axG",@progbits,_ZN9rocsparseL35bsr2csr_block_per_row_33_256_kernelILj1024ELj256ELj32E21rocsparse_complex_numIdEilEEv20rocsparse_direction_T4_S4_21rocsparse_index_base_PKT2_PKT3_PKS4_S4_S5_PS6_PS9_PS4_,comdat
	.globl	_ZN9rocsparseL35bsr2csr_block_per_row_33_256_kernelILj1024ELj256ELj32E21rocsparse_complex_numIdEilEEv20rocsparse_direction_T4_S4_21rocsparse_index_base_PKT2_PKT3_PKS4_S4_S5_PS6_PS9_PS4_ ; -- Begin function _ZN9rocsparseL35bsr2csr_block_per_row_33_256_kernelILj1024ELj256ELj32E21rocsparse_complex_numIdEilEEv20rocsparse_direction_T4_S4_21rocsparse_index_base_PKT2_PKT3_PKS4_S4_S5_PS6_PS9_PS4_
	.p2align	8
	.type	_ZN9rocsparseL35bsr2csr_block_per_row_33_256_kernelILj1024ELj256ELj32E21rocsparse_complex_numIdEilEEv20rocsparse_direction_T4_S4_21rocsparse_index_base_PKT2_PKT3_PKS4_S4_S5_PS6_PS9_PS4_,@function
_ZN9rocsparseL35bsr2csr_block_per_row_33_256_kernelILj1024ELj256ELj32E21rocsparse_complex_numIdEilEEv20rocsparse_direction_T4_S4_21rocsparse_index_base_PKT2_PKT3_PKS4_S4_S5_PS6_PS9_PS4_: ; @_ZN9rocsparseL35bsr2csr_block_per_row_33_256_kernelILj1024ELj256ELj32E21rocsparse_complex_numIdEilEEv20rocsparse_direction_T4_S4_21rocsparse_index_base_PKT2_PKT3_PKS4_S4_S5_PS6_PS9_PS4_
; %bb.0:
	s_load_b64 s[6:7], s[0:1], 0x28
	s_bfe_u32 s2, ttmp6, 0x4000c
	s_and_b32 s3, ttmp6, 15
	s_add_co_i32 s2, s2, 1
	s_getreg_b32 s4, hwreg(HW_REG_IB_STS2, 6, 4)
	s_mul_i32 s2, ttmp9, s2
	s_mov_b32 s17, 0
	s_add_co_i32 s3, s3, s2
	s_cmp_eq_u32 s4, 0
	s_clause 0x1
	s_load_b32 s18, s[0:1], 0x40
	s_load_b64 s[4:5], s[0:1], 0x50
	s_cselect_b32 s2, ttmp9, s3
	s_mov_b32 s3, s17
	v_or_b32_e32 v1, s2, v0
	s_lshl_b64 s[8:9], s[2:3], 2
	s_wait_kmcnt 0x0
	s_add_nc_u64 s[6:7], s[6:7], s[8:9]
	s_load_b64 s[10:11], s[6:7], 0x0
	s_wait_xcnt 0x0
	s_mov_b32 s6, exec_lo
	v_cmpx_eq_u32_e32 0, v1
	s_cbranch_execz .LBB298_2
; %bb.1:
	v_dual_mov_b32 v1, 0 :: v_dual_mov_b32 v2, s18
	global_store_b32 v1, v2, s[4:5]
.LBB298_2:
	s_wait_xcnt 0x0
	s_or_b32 exec_lo, exec_lo, s6
	s_clause 0x1
	s_load_b32 s20, s[0:1], 0x18
	s_load_b64 s[22:23], s[0:1], 0x38
	v_dual_mov_b32 v51, 0 :: v_dual_lshrrev_b32 v50, 5, v0
	s_mov_b32 s35, s17
	s_wait_kmcnt 0x0
	s_sub_co_i32 s16, s10, s20
	s_sub_co_i32 s33, s11, s20
	s_mul_u64 s[6:7], s[22:23], s[2:3]
	v_cmp_gt_i64_e64 s2, s[22:23], v[50:51]
	s_sub_co_i32 s34, s33, s16
	s_mul_u64 s[30:31], s[22:23], s[22:23]
	s_mul_u64 s[14:15], s[22:23], s[34:35]
	s_lshl_b64 s[6:7], s[6:7], 2
	s_mul_u64 s[12:13], s[30:31], s[16:17]
	s_add_co_i32 s13, s18, s14
	s_add_nc_u64 s[24:25], s[4:5], s[6:7]
	s_and_saveexec_b32 s3, s2
	s_cbranch_execz .LBB298_4
; %bb.3:
	s_add_co_i32 s4, s13, s12
	s_delay_alu instid0(SALU_CYCLE_1)
	v_mad_u32 v1, v50, s14, s4
	global_store_b32 v50, v1, s[24:25] offset:4 scale_offset
.LBB298_4:
	s_wait_xcnt 0x0
	s_or_b32 exec_lo, exec_lo, s3
	v_dual_mov_b32 v53, v51 :: v_dual_bitop2_b32 v52, 32, v50 bitop3:0x54
	s_delay_alu instid0(VALU_DEP_1)
	v_cmp_gt_i64_e64 s3, s[22:23], v[52:53]
	s_and_saveexec_b32 s4, s3
	s_cbranch_execz .LBB298_6
; %bb.5:
	s_add_co_i32 s5, s13, s12
	s_delay_alu instid0(SALU_CYCLE_1)
	v_mad_u32 v1, v52, s14, s5
	global_store_b32 v50, v1, s[24:25] offset:132 scale_offset
.LBB298_6:
	s_wait_xcnt 0x0
	s_or_b32 exec_lo, exec_lo, s4
	v_dual_mov_b32 v49, v51 :: v_dual_bitop2_b32 v48, 64, v50 bitop3:0x54
	s_delay_alu instid0(VALU_DEP_1)
	v_cmp_gt_i64_e64 s4, s[22:23], v[48:49]
	s_and_saveexec_b32 s5, s4
	s_cbranch_execz .LBB298_8
; %bb.7:
	s_add_co_i32 s6, s13, s12
	s_delay_alu instid0(SALU_CYCLE_1)
	v_mad_u32 v1, v48, s14, s6
	global_store_b32 v50, v1, s[24:25] offset:260 scale_offset
.LBB298_8:
	s_wait_xcnt 0x0
	s_or_b32 exec_lo, exec_lo, s5
	v_or_b32_e32 v54, 0x60, v50
	v_mov_b32_e32 v55, v51
	s_delay_alu instid0(VALU_DEP_1)
	v_cmp_gt_i64_e64 s5, s[22:23], v[54:55]
	s_and_saveexec_b32 s6, s5
	s_cbranch_execz .LBB298_10
; %bb.9:
	s_add_co_i32 s7, s13, s12
	s_delay_alu instid0(SALU_CYCLE_1)
	v_mad_u32 v1, v54, s14, s7
	global_store_b32 v50, v1, s[24:25] offset:388 scale_offset
.LBB298_10:
	s_wait_xcnt 0x0
	s_or_b32 exec_lo, exec_lo, s6
	v_or_b32_e32 v46, 0x80, v50
	v_mov_b32_e32 v47, v51
	;; [unrolled: 14-line block ×5, first 2 shown]
	s_delay_alu instid0(VALU_DEP_1)
	v_cmp_gt_i64_e64 s9, s[22:23], v[58:59]
	s_and_saveexec_b32 s15, s9
	s_cbranch_execz .LBB298_18
; %bb.17:
	s_add_co_i32 s13, s13, s12
	s_delay_alu instid0(SALU_CYCLE_1)
	v_mad_u32 v1, v58, s14, s13
	global_store_b32 v50, v1, s[24:25] offset:900 scale_offset
.LBB298_18:
	s_wait_xcnt 0x0
	s_or_b32 exec_lo, exec_lo, s15
	s_cmp_lt_i32 s10, s11
	s_cbranch_scc0 .LBB298_149
; %bb.19:
	s_clause 0x2
	s_load_b32 s10, s[0:1], 0x0
	s_load_b64 s[36:37], s[0:1], 0x30
	s_load_b64 s[28:29], s[0:1], 0x58
	v_dual_mov_b32 v1, 0 :: v_dual_lshlrev_b32 v32, 4, v50
	v_and_b32_e32 v0, 31, v0
	s_mul_i32 s94, s22, s16
	s_clause 0x1
	s_load_b64 s[24:25], s[0:1], 0x48
	s_load_b64 s[26:27], s[0:1], 0x20
	v_dual_mov_b32 v33, v1 :: v_dual_mov_b32 v19, v1
	v_lshlrev_b32_e32 v18, 4, v0
	v_mad_u32 v51, v58, s34, s94
	v_mad_u32 v53, v44, s34, s94
	v_mad_u32 v55, v56, s34, s94
	v_mad_u32 v56, v46, s34, s94
	v_mad_u32 v58, v54, s34, s94
	v_or_b32_e32 v44, 0xc0, v0
	v_or_b32_e32 v46, 0xe0, v0
	v_mov_b32_e32 v47, v1
	s_wait_xcnt 0x0
	v_cmp_gt_i64_e64 s0, s[22:23], v[0:1]
	s_wait_kmcnt 0x0
	s_cmp_eq_u32 s10, 0
	v_mov_b32_e32 v49, v0
	s_cselect_b32 vcc_lo, -1, 0
	s_ashr_i32 s17, s16, 31
	v_mul_lo_u32 v51, s22, v51
	s_mul_u64 s[10:11], s[22:23], s[16:17]
	v_mul_lo_u32 v53, s22, v53
	s_lshl_b64 s[10:11], s[10:11], 4
	v_mul_lo_u32 v55, s22, v55
	v_add_nc_u64_e32 v[30:31], s[10:11], v[32:33]
	v_add_nc_u64_e32 v[34:35], s[10:11], v[18:19]
	v_mul_lo_u32 v57, s22, v56
	v_mul_lo_u32 v59, s22, v58
	v_dual_mov_b32 v56, v1 :: v_dual_mov_b32 v58, v1
	s_mov_b32 s21, 0
	v_mad_nc_u64_u32 v[2:3], s22, v30, v[18:19]
	v_add_nc_u64_e32 v[36:37], 0xe00, v[30:31]
	v_add_nc_u64_e32 v[38:39], 0xc00, v[30:31]
	;; [unrolled: 1-line block ×10, first 2 shown]
	v_mad_u32 v3, s23, v30, v3
	v_add_nc_u64_e32 v[72:73], 0x800, v[34:35]
	v_add_nc_u64_e32 v[74:75], 0xa00, v[34:35]
	;; [unrolled: 1-line block ×4, first 2 shown]
	v_mad_nc_u64_u32 v[4:5], s22, v34, v[32:33]
	v_mad_nc_u64_u32 v[6:7], s22, v36, v[18:19]
	;; [unrolled: 1-line block ×13, first 2 shown]
	v_mad_u32 v3, s22, v31, v3
	v_mad_nc_u64_u32 v[30:31], s22, v76, v[32:33]
	v_mad_nc_u64_u32 v[32:33], s22, v78, v[32:33]
	v_mad_u32 v5, s23, v34, v5
	v_mad_u32 v7, s23, v36, v7
	v_mad_u32 v9, s23, v38, v9
	v_mad_u32 v11, s23, v40, v11
	v_mad_u32 v13, s23, v42, v13
	v_mad_u32 v15, s23, v60, v15
	v_mad_u32 v17, s23, v62, v17
	v_mad_u32 v19, s23, v64, v19
	v_mad_u32 v21, s23, v66, v21
	v_mad_u32 v23, s23, v68, v23
	v_mad_u32 v25, s23, v70, v25
	v_mad_u32 v27, s23, v72, v27
	v_mad_u32 v29, s23, v74, v29
	v_mad_u32 v31, s23, v76, v31
	v_mad_u32 v33, s23, v78, v33
	v_mad_u32 v60, v48, s34, s94
	v_mad_u32 v62, v52, s34, s94
	v_mad_u32 v64, v50, s34, s94
	v_mad_u32 v7, s22, v37, v7
	v_mad_u32 v9, s22, v39, v9
	v_mad_u32 v11, s22, v41, v11
	v_mad_u32 v13, s22, v43, v13
	v_mad_u32 v5, s22, v35, v5
	v_dual_mov_b32 v35, v1 :: v_dual_bitop2_b32 v34, 32, v0 bitop3:0x54
	v_dual_mov_b32 v37, v1 :: v_dual_bitop2_b32 v36, 64, v0 bitop3:0x54
	v_or_b32_e32 v38, 0x60, v0
	v_dual_mov_b32 v39, v1 :: v_dual_mov_b32 v41, v1
	v_or_b32_e32 v40, 0x80, v0
	v_or_b32_e32 v42, 0xa0, v0
	v_dual_mov_b32 v43, v1 :: v_dual_mov_b32 v45, v1
	v_mad_u32 v15, s22, v61, v15
	v_mad_u32 v17, s22, v63, v17
	;; [unrolled: 1-line block ×8, first 2 shown]
	v_cmp_gt_i64_e64 s1, s[22:23], v[34:35]
	v_cmp_gt_i64_e64 s10, s[22:23], v[36:37]
	v_mad_u32 v31, s22, v77, v31
	v_mad_u32 v33, s22, v79, v33
	v_cmp_gt_i64_e64 s11, s[22:23], v[38:39]
	v_cmp_gt_i64_e64 s12, s[22:23], v[40:41]
	;; [unrolled: 1-line block ×4, first 2 shown]
	v_mov_b32_e32 v48, v1
	v_cmp_gt_i64_e64 s15, s[22:23], v[46:47]
	v_mul_lo_u32 v61, s22, v60
	v_mul_lo_u32 v63, s22, v62
	;; [unrolled: 1-line block ×3, first 2 shown]
	v_dual_mov_b32 v50, v1 :: v_dual_mov_b32 v52, v1
	v_dual_mov_b32 v54, v1 :: v_dual_mov_b32 v60, v1
	;; [unrolled: 1-line block ×3, first 2 shown]
	s_and_b32 s35, s2, s0
	s_and_b32 s38, s2, s1
	;; [unrolled: 1-line block ×16, first 2 shown]
	s_lshl_b64 s[2:3], s[16:17], 3
	s_mov_b32 s19, s21
	s_and_b32 s53, s4, s0
	s_and_b32 s54, s4, s1
	;; [unrolled: 1-line block ×48, first 2 shown]
	s_mov_b32 s0, s21
	s_mov_b32 s1, s22
	s_add_nc_u64 s[2:3], s[36:37], s[2:3]
	s_lshl_b64 s[4:5], s[30:31], 4
	s_branch .LBB298_21
.LBB298_20:                             ;   in Loop: Header=BB298_21 Depth=1
	s_wait_xcnt 0x0
	s_or_b32 exec_lo, exec_lo, s6
	v_add_nc_u64_e32 v[50:51], s[0:1], v[50:51]
	v_add_nc_u64_e32 v[52:53], s[0:1], v[52:53]
	;; [unrolled: 1-line block ×8, first 2 shown]
	s_add_co_i32 s16, s16, 1
	s_add_nc_u64 s[2:3], s[2:3], 8
	s_cmp_ge_i32 s16, s33
	s_add_nc_u64 s[26:27], s[26:27], s[4:5]
	s_cbranch_scc1 .LBB298_149
.LBB298_21:                             ; =>This Inner Loop Header: Depth=1
	s_load_b64 s[6:7], s[2:3], 0x0
	v_add_nc_u64_e32 v[98:99], v[48:49], v[64:65]
	v_add_nc_u64_e32 v[100:101], s[26:27], v[2:3]
	;; [unrolled: 1-line block ×3, first 2 shown]
	s_wait_kmcnt 0x0
	s_sub_nc_u64 s[6:7], s[6:7], s[20:21]
	s_delay_alu instid0(SALU_CYCLE_1) | instskip(NEXT) | instid1(SALU_CYCLE_1)
	s_mul_u64 s[6:7], s[6:7], s[22:23]
	s_add_nc_u64 s[6:7], s[6:7], s[18:19]
	s_delay_alu instid0(SALU_CYCLE_1)
	v_add_nc_u64_e32 v[76:77], s[6:7], v[0:1]
	s_and_saveexec_b32 s15, s35
	s_cbranch_execz .LBB298_23
; %bb.22:                               ;   in Loop: Header=BB298_21 Depth=1
	v_dual_cndmask_b32 v67, v91, v101 :: v_dual_cndmask_b32 v66, v90, v100
	v_ashrrev_i64 v[70:71], 29, v[98:99]
	v_ashrrev_i64 v[72:73], 28, v[98:99]
	global_load_b128 v[66:69], v[66:67], off
	v_add_nc_u64_e32 v[70:71], s[28:29], v[70:71]
	v_add_nc_u64_e32 v[72:73], s[24:25], v[72:73]
	global_store_b64 v[70:71], v[76:77], off
	s_wait_loadcnt 0x0
	global_store_b128 v[72:73], v[66:69], off
.LBB298_23:                             ;   in Loop: Header=BB298_21 Depth=1
	s_wait_xcnt 0x0
	s_or_b32 exec_lo, exec_lo, s15
	v_add_nc_u64_e32 v[66:67], s[6:7], v[34:35]
	v_add_nc_u64_e32 v[82:83], s[26:27], v[20:21]
	s_and_saveexec_b32 s15, s38
	s_cbranch_execz .LBB298_25
; %bb.24:                               ;   in Loop: Header=BB298_21 Depth=1
	v_add_nc_u64_e32 v[68:69], 0x200, v[100:101]
	v_dual_mov_b32 v72, v98 :: v_dual_add_nc_u32 v73, 32, v99
	s_delay_alu instid0(VALU_DEP_1) | instskip(NEXT) | instid1(VALU_DEP_3)
	v_ashrrev_i64 v[74:75], 29, v[72:73]
	v_dual_cndmask_b32 v69, v83, v69 :: v_dual_cndmask_b32 v68, v82, v68
	v_ashrrev_i64 v[72:73], 28, v[72:73]
	global_load_b128 v[68:71], v[68:69], off
	v_add_nc_u64_e32 v[74:75], s[28:29], v[74:75]
	v_add_nc_u64_e32 v[72:73], s[24:25], v[72:73]
	global_store_b64 v[74:75], v[66:67], off
	s_wait_loadcnt 0x0
	global_store_b128 v[72:73], v[68:71], off
.LBB298_25:                             ;   in Loop: Header=BB298_21 Depth=1
	s_wait_xcnt 0x0
	s_or_b32 exec_lo, exec_lo, s15
	v_add_nc_u64_e32 v[68:69], s[6:7], v[36:37]
	v_add_nc_u64_e32 v[84:85], s[26:27], v[22:23]
	s_and_saveexec_b32 s15, s39
	s_cbranch_execz .LBB298_27
; %bb.26:                               ;   in Loop: Header=BB298_21 Depth=1
	v_add_nc_u64_e32 v[70:71], 0x400, v[100:101]
	v_dual_mov_b32 v74, v98 :: v_dual_add_nc_u32 v75, 64, v99
	s_delay_alu instid0(VALU_DEP_1) | instskip(NEXT) | instid1(VALU_DEP_3)
	v_ashrrev_i64 v[78:79], 29, v[74:75]
	v_dual_cndmask_b32 v71, v85, v71 :: v_dual_cndmask_b32 v70, v84, v70
	v_ashrrev_i64 v[74:75], 28, v[74:75]
	global_load_b128 v[70:73], v[70:71], off
	v_add_nc_u64_e32 v[78:79], s[28:29], v[78:79]
	v_add_nc_u64_e32 v[74:75], s[24:25], v[74:75]
	global_store_b64 v[78:79], v[68:69], off
	s_wait_loadcnt 0x0
	global_store_b128 v[74:75], v[70:73], off
.LBB298_27:                             ;   in Loop: Header=BB298_21 Depth=1
	;; [unrolled: 20-line block ×3, first 2 shown]
	s_wait_xcnt 0x0
	s_or_b32 exec_lo, exec_lo, s15
	v_add_nc_u64_e32 v[72:73], s[6:7], v[40:41]
	v_add_nc_u64_e32 v[88:89], s[26:27], v[26:27]
	s_and_saveexec_b32 s15, s41
	s_cbranch_execz .LBB298_31
; %bb.30:                               ;   in Loop: Header=BB298_21 Depth=1
	v_add_nc_u64_e32 v[74:75], 0x800, v[100:101]
	s_delay_alu instid0(VALU_DEP_1) | instskip(SKIP_3) | instid1(VALU_DEP_1)
	v_dual_cndmask_b32 v75, v89, v75 :: v_dual_cndmask_b32 v74, v88, v74
	global_load_b128 v[78:81], v[74:75], off
	s_wait_xcnt 0x0
	v_dual_mov_b32 v74, v98 :: v_dual_add_nc_u32 v75, 0x80, v99
	v_ashrrev_i64 v[92:93], 29, v[74:75]
	v_ashrrev_i64 v[74:75], 28, v[74:75]
	s_delay_alu instid0(VALU_DEP_2) | instskip(NEXT) | instid1(VALU_DEP_2)
	v_add_nc_u64_e32 v[92:93], s[28:29], v[92:93]
	v_add_nc_u64_e32 v[74:75], s[24:25], v[74:75]
	global_store_b64 v[92:93], v[72:73], off
	s_wait_loadcnt 0x0
	global_store_b128 v[74:75], v[78:81], off
.LBB298_31:                             ;   in Loop: Header=BB298_21 Depth=1
	s_wait_xcnt 0x0
	s_or_b32 exec_lo, exec_lo, s15
	v_add_nc_u64_e32 v[74:75], s[6:7], v[42:43]
	v_add_nc_u64_e32 v[92:93], s[26:27], v[28:29]
	s_and_saveexec_b32 s15, s42
	s_cbranch_execz .LBB298_33
; %bb.32:                               ;   in Loop: Header=BB298_21 Depth=1
	v_add_nc_u64_e32 v[78:79], 0xa00, v[100:101]
	v_dual_mov_b32 v94, v98 :: v_dual_add_nc_u32 v95, 0xa0, v99
	s_delay_alu instid0(VALU_DEP_1) | instskip(NEXT) | instid1(VALU_DEP_3)
	v_ashrrev_i64 v[96:97], 29, v[94:95]
	v_dual_cndmask_b32 v79, v93, v79 :: v_dual_cndmask_b32 v78, v92, v78
	v_ashrrev_i64 v[94:95], 28, v[94:95]
	global_load_b128 v[78:81], v[78:79], off
	v_add_nc_u64_e32 v[96:97], s[28:29], v[96:97]
	v_add_nc_u64_e32 v[94:95], s[24:25], v[94:95]
	global_store_b64 v[96:97], v[74:75], off
	s_wait_loadcnt 0x0
	global_store_b128 v[94:95], v[78:81], off
.LBB298_33:                             ;   in Loop: Header=BB298_21 Depth=1
	s_wait_xcnt 0x0
	s_or_b32 exec_lo, exec_lo, s15
	v_add_nc_u64_e32 v[78:79], s[6:7], v[44:45]
	v_add_nc_u64_e32 v[94:95], s[26:27], v[30:31]
	s_and_saveexec_b32 s15, s43
	s_cbranch_execz .LBB298_35
; %bb.34:                               ;   in Loop: Header=BB298_21 Depth=1
	v_add_nc_u64_e32 v[80:81], 0xc00, v[100:101]
	s_delay_alu instid0(VALU_DEP_1) | instskip(SKIP_3) | instid1(VALU_DEP_1)
	v_dual_cndmask_b32 v81, v95, v81 :: v_dual_cndmask_b32 v80, v94, v80
	global_load_b128 v[102:105], v[80:81], off
	s_wait_xcnt 0x0
	v_dual_mov_b32 v80, v98 :: v_dual_add_nc_u32 v81, 0xc0, v99
	v_ashrrev_i64 v[96:97], 29, v[80:81]
	v_ashrrev_i64 v[80:81], 28, v[80:81]
	s_delay_alu instid0(VALU_DEP_2) | instskip(NEXT) | instid1(VALU_DEP_2)
	v_add_nc_u64_e32 v[96:97], s[28:29], v[96:97]
	v_add_nc_u64_e32 v[80:81], s[24:25], v[80:81]
	global_store_b64 v[96:97], v[78:79], off
	s_wait_loadcnt 0x0
	global_store_b128 v[80:81], v[102:105], off
.LBB298_35:                             ;   in Loop: Header=BB298_21 Depth=1
	s_wait_xcnt 0x0
	s_or_b32 exec_lo, exec_lo, s15
	v_add_nc_u64_e32 v[80:81], s[6:7], v[46:47]
	v_add_nc_u64_e32 v[96:97], s[26:27], v[32:33]
	s_and_saveexec_b32 s6, s44
	s_cbranch_execz .LBB298_37
; %bb.36:                               ;   in Loop: Header=BB298_21 Depth=1
	v_add_nc_u64_e32 v[100:101], 0xe00, v[100:101]
	v_add_nc_u32_e32 v99, 0xe0, v99
	s_delay_alu instid0(VALU_DEP_1) | instskip(NEXT) | instid1(VALU_DEP_3)
	v_ashrrev_i64 v[104:105], 29, v[98:99]
	v_dual_cndmask_b32 v101, v97, v101 :: v_dual_cndmask_b32 v100, v96, v100
	v_ashrrev_i64 v[98:99], 28, v[98:99]
	global_load_b128 v[100:103], v[100:101], off
	v_add_nc_u64_e32 v[104:105], s[28:29], v[104:105]
	v_add_nc_u64_e32 v[98:99], s[24:25], v[98:99]
	global_store_b64 v[104:105], v[80:81], off
	s_wait_loadcnt 0x0
	global_store_b128 v[98:99], v[100:103], off
.LBB298_37:                             ;   in Loop: Header=BB298_21 Depth=1
	s_wait_xcnt 0x0
	s_or_b32 exec_lo, exec_lo, s6
	v_add_nc_u64_e32 v[98:99], v[48:49], v[62:63]
	v_add_nc_u64_e32 v[100:101], s[26:27], v[18:19]
	s_and_saveexec_b32 s6, s45
	s_cbranch_execnz .LBB298_99
; %bb.38:                               ;   in Loop: Header=BB298_21 Depth=1
	s_or_b32 exec_lo, exec_lo, s6
	s_and_saveexec_b32 s6, s46
	s_cbranch_execnz .LBB298_100
.LBB298_39:                             ;   in Loop: Header=BB298_21 Depth=1
	s_or_b32 exec_lo, exec_lo, s6
	s_and_saveexec_b32 s6, s47
	s_cbranch_execnz .LBB298_101
.LBB298_40:                             ;   in Loop: Header=BB298_21 Depth=1
	s_or_b32 exec_lo, exec_lo, s6
	s_and_saveexec_b32 s6, s48
	s_cbranch_execnz .LBB298_102
.LBB298_41:                             ;   in Loop: Header=BB298_21 Depth=1
	s_or_b32 exec_lo, exec_lo, s6
	s_and_saveexec_b32 s6, s49
	s_cbranch_execnz .LBB298_103
.LBB298_42:                             ;   in Loop: Header=BB298_21 Depth=1
	s_or_b32 exec_lo, exec_lo, s6
	s_and_saveexec_b32 s6, s50
	s_cbranch_execnz .LBB298_104
.LBB298_43:                             ;   in Loop: Header=BB298_21 Depth=1
	s_or_b32 exec_lo, exec_lo, s6
	s_and_saveexec_b32 s6, s51
	s_cbranch_execnz .LBB298_105
.LBB298_44:                             ;   in Loop: Header=BB298_21 Depth=1
	s_or_b32 exec_lo, exec_lo, s6
	s_and_saveexec_b32 s6, s52
	s_cbranch_execz .LBB298_46
.LBB298_45:                             ;   in Loop: Header=BB298_21 Depth=1
	v_add_nc_u64_e32 v[100:101], 0xe00, v[100:101]
	v_add_nc_u64_e32 v[102:103], 0x200, v[96:97]
	v_add_nc_u32_e32 v99, 0xe0, v99
	s_delay_alu instid0(VALU_DEP_1) | instskip(NEXT) | instid1(VALU_DEP_3)
	v_ashrrev_i64 v[104:105], 29, v[98:99]
	v_dual_cndmask_b32 v101, v103, v101 :: v_dual_cndmask_b32 v100, v102, v100
	v_ashrrev_i64 v[98:99], 28, v[98:99]
	global_load_b128 v[100:103], v[100:101], off
	v_add_nc_u64_e32 v[104:105], s[28:29], v[104:105]
	v_add_nc_u64_e32 v[98:99], s[24:25], v[98:99]
	global_store_b64 v[104:105], v[80:81], off
	s_wait_loadcnt 0x0
	global_store_b128 v[98:99], v[100:103], off
.LBB298_46:                             ;   in Loop: Header=BB298_21 Depth=1
	s_wait_xcnt 0x0
	s_or_b32 exec_lo, exec_lo, s6
	v_add_nc_u64_e32 v[98:99], v[48:49], v[60:61]
	v_add_nc_u64_e32 v[100:101], s[26:27], v[16:17]
	s_and_saveexec_b32 s6, s53
	s_cbranch_execnz .LBB298_106
; %bb.47:                               ;   in Loop: Header=BB298_21 Depth=1
	s_or_b32 exec_lo, exec_lo, s6
	s_and_saveexec_b32 s6, s54
	s_cbranch_execnz .LBB298_107
.LBB298_48:                             ;   in Loop: Header=BB298_21 Depth=1
	s_or_b32 exec_lo, exec_lo, s6
	s_and_saveexec_b32 s6, s55
	s_cbranch_execnz .LBB298_108
.LBB298_49:                             ;   in Loop: Header=BB298_21 Depth=1
	s_or_b32 exec_lo, exec_lo, s6
	s_and_saveexec_b32 s6, s56
	s_cbranch_execnz .LBB298_109
.LBB298_50:                             ;   in Loop: Header=BB298_21 Depth=1
	s_or_b32 exec_lo, exec_lo, s6
	s_and_saveexec_b32 s6, s57
	s_cbranch_execnz .LBB298_110
.LBB298_51:                             ;   in Loop: Header=BB298_21 Depth=1
	s_or_b32 exec_lo, exec_lo, s6
	s_and_saveexec_b32 s6, s58
	s_cbranch_execnz .LBB298_111
.LBB298_52:                             ;   in Loop: Header=BB298_21 Depth=1
	s_or_b32 exec_lo, exec_lo, s6
	s_and_saveexec_b32 s6, s59
	s_cbranch_execnz .LBB298_112
.LBB298_53:                             ;   in Loop: Header=BB298_21 Depth=1
	s_or_b32 exec_lo, exec_lo, s6
	s_and_saveexec_b32 s6, s60
	s_cbranch_execz .LBB298_55
.LBB298_54:                             ;   in Loop: Header=BB298_21 Depth=1
	v_add_nc_u64_e32 v[100:101], 0xe00, v[100:101]
	v_add_nc_u64_e32 v[102:103], 0x400, v[96:97]
	v_add_nc_u32_e32 v99, 0xe0, v99
	s_delay_alu instid0(VALU_DEP_1) | instskip(NEXT) | instid1(VALU_DEP_3)
	v_ashrrev_i64 v[104:105], 29, v[98:99]
	v_dual_cndmask_b32 v101, v103, v101 :: v_dual_cndmask_b32 v100, v102, v100
	v_ashrrev_i64 v[98:99], 28, v[98:99]
	global_load_b128 v[100:103], v[100:101], off
	v_add_nc_u64_e32 v[104:105], s[28:29], v[104:105]
	v_add_nc_u64_e32 v[98:99], s[24:25], v[98:99]
	global_store_b64 v[104:105], v[80:81], off
	s_wait_loadcnt 0x0
	global_store_b128 v[98:99], v[100:103], off
.LBB298_55:                             ;   in Loop: Header=BB298_21 Depth=1
	s_wait_xcnt 0x0
	s_or_b32 exec_lo, exec_lo, s6
	v_add_nc_u64_e32 v[98:99], v[48:49], v[58:59]
	v_add_nc_u64_e32 v[100:101], s[26:27], v[14:15]
	s_and_saveexec_b32 s6, s61
	s_cbranch_execnz .LBB298_113
; %bb.56:                               ;   in Loop: Header=BB298_21 Depth=1
	s_or_b32 exec_lo, exec_lo, s6
	s_and_saveexec_b32 s6, s62
	s_cbranch_execnz .LBB298_114
.LBB298_57:                             ;   in Loop: Header=BB298_21 Depth=1
	s_or_b32 exec_lo, exec_lo, s6
	s_and_saveexec_b32 s6, s63
	s_cbranch_execnz .LBB298_115
.LBB298_58:                             ;   in Loop: Header=BB298_21 Depth=1
	s_or_b32 exec_lo, exec_lo, s6
	s_and_saveexec_b32 s6, s64
	s_cbranch_execnz .LBB298_116
.LBB298_59:                             ;   in Loop: Header=BB298_21 Depth=1
	s_or_b32 exec_lo, exec_lo, s6
	s_and_saveexec_b32 s6, s65
	s_cbranch_execnz .LBB298_117
.LBB298_60:                             ;   in Loop: Header=BB298_21 Depth=1
	s_or_b32 exec_lo, exec_lo, s6
	s_and_saveexec_b32 s6, s66
	s_cbranch_execnz .LBB298_118
.LBB298_61:                             ;   in Loop: Header=BB298_21 Depth=1
	s_or_b32 exec_lo, exec_lo, s6
	s_and_saveexec_b32 s6, s67
	s_cbranch_execnz .LBB298_119
.LBB298_62:                             ;   in Loop: Header=BB298_21 Depth=1
	s_or_b32 exec_lo, exec_lo, s6
	s_and_saveexec_b32 s6, s68
	s_cbranch_execz .LBB298_64
.LBB298_63:                             ;   in Loop: Header=BB298_21 Depth=1
	v_add_nc_u64_e32 v[100:101], 0xe00, v[100:101]
	v_add_nc_u64_e32 v[102:103], 0x600, v[96:97]
	v_add_nc_u32_e32 v99, 0xe0, v99
	s_delay_alu instid0(VALU_DEP_1) | instskip(NEXT) | instid1(VALU_DEP_3)
	v_ashrrev_i64 v[104:105], 29, v[98:99]
	v_dual_cndmask_b32 v101, v103, v101 :: v_dual_cndmask_b32 v100, v102, v100
	v_ashrrev_i64 v[98:99], 28, v[98:99]
	global_load_b128 v[100:103], v[100:101], off
	v_add_nc_u64_e32 v[104:105], s[28:29], v[104:105]
	v_add_nc_u64_e32 v[98:99], s[24:25], v[98:99]
	global_store_b64 v[104:105], v[80:81], off
	s_wait_loadcnt 0x0
	global_store_b128 v[98:99], v[100:103], off
.LBB298_64:                             ;   in Loop: Header=BB298_21 Depth=1
	s_wait_xcnt 0x0
	s_or_b32 exec_lo, exec_lo, s6
	v_add_nc_u64_e32 v[98:99], v[48:49], v[56:57]
	v_add_nc_u64_e32 v[100:101], s[26:27], v[12:13]
	s_and_saveexec_b32 s6, s69
	s_cbranch_execnz .LBB298_120
; %bb.65:                               ;   in Loop: Header=BB298_21 Depth=1
	s_or_b32 exec_lo, exec_lo, s6
	s_and_saveexec_b32 s6, s70
	s_cbranch_execnz .LBB298_121
.LBB298_66:                             ;   in Loop: Header=BB298_21 Depth=1
	s_or_b32 exec_lo, exec_lo, s6
	s_and_saveexec_b32 s6, s71
	s_cbranch_execnz .LBB298_122
.LBB298_67:                             ;   in Loop: Header=BB298_21 Depth=1
	s_or_b32 exec_lo, exec_lo, s6
	s_and_saveexec_b32 s6, s72
	s_cbranch_execnz .LBB298_123
.LBB298_68:                             ;   in Loop: Header=BB298_21 Depth=1
	s_or_b32 exec_lo, exec_lo, s6
	s_and_saveexec_b32 s6, s73
	s_cbranch_execnz .LBB298_124
.LBB298_69:                             ;   in Loop: Header=BB298_21 Depth=1
	s_or_b32 exec_lo, exec_lo, s6
	s_and_saveexec_b32 s6, s74
	s_cbranch_execnz .LBB298_125
.LBB298_70:                             ;   in Loop: Header=BB298_21 Depth=1
	s_or_b32 exec_lo, exec_lo, s6
	s_and_saveexec_b32 s6, s75
	s_cbranch_execnz .LBB298_126
.LBB298_71:                             ;   in Loop: Header=BB298_21 Depth=1
	s_or_b32 exec_lo, exec_lo, s6
	s_and_saveexec_b32 s6, s76
	s_cbranch_execz .LBB298_73
.LBB298_72:                             ;   in Loop: Header=BB298_21 Depth=1
	v_add_nc_u64_e32 v[100:101], 0xe00, v[100:101]
	v_add_nc_u64_e32 v[102:103], 0x800, v[96:97]
	v_add_nc_u32_e32 v99, 0xe0, v99
	s_delay_alu instid0(VALU_DEP_1) | instskip(NEXT) | instid1(VALU_DEP_3)
	v_ashrrev_i64 v[104:105], 29, v[98:99]
	v_dual_cndmask_b32 v101, v103, v101 :: v_dual_cndmask_b32 v100, v102, v100
	v_ashrrev_i64 v[98:99], 28, v[98:99]
	global_load_b128 v[100:103], v[100:101], off
	v_add_nc_u64_e32 v[104:105], s[28:29], v[104:105]
	v_add_nc_u64_e32 v[98:99], s[24:25], v[98:99]
	global_store_b64 v[104:105], v[80:81], off
	s_wait_loadcnt 0x0
	global_store_b128 v[98:99], v[100:103], off
.LBB298_73:                             ;   in Loop: Header=BB298_21 Depth=1
	s_wait_xcnt 0x0
	s_or_b32 exec_lo, exec_lo, s6
	v_add_nc_u64_e32 v[98:99], v[48:49], v[54:55]
	v_add_nc_u64_e32 v[100:101], s[26:27], v[10:11]
	s_and_saveexec_b32 s6, s77
	s_cbranch_execnz .LBB298_127
; %bb.74:                               ;   in Loop: Header=BB298_21 Depth=1
	s_or_b32 exec_lo, exec_lo, s6
	s_and_saveexec_b32 s6, s78
	s_cbranch_execnz .LBB298_128
.LBB298_75:                             ;   in Loop: Header=BB298_21 Depth=1
	s_or_b32 exec_lo, exec_lo, s6
	s_and_saveexec_b32 s6, s79
	s_cbranch_execnz .LBB298_129
.LBB298_76:                             ;   in Loop: Header=BB298_21 Depth=1
	s_or_b32 exec_lo, exec_lo, s6
	s_and_saveexec_b32 s6, s80
	s_cbranch_execnz .LBB298_130
.LBB298_77:                             ;   in Loop: Header=BB298_21 Depth=1
	s_or_b32 exec_lo, exec_lo, s6
	s_and_saveexec_b32 s6, s81
	s_cbranch_execnz .LBB298_131
.LBB298_78:                             ;   in Loop: Header=BB298_21 Depth=1
	s_or_b32 exec_lo, exec_lo, s6
	s_and_saveexec_b32 s6, s82
	s_cbranch_execnz .LBB298_132
.LBB298_79:                             ;   in Loop: Header=BB298_21 Depth=1
	s_or_b32 exec_lo, exec_lo, s6
	s_and_saveexec_b32 s6, s83
	s_cbranch_execnz .LBB298_133
.LBB298_80:                             ;   in Loop: Header=BB298_21 Depth=1
	s_or_b32 exec_lo, exec_lo, s6
	s_and_saveexec_b32 s6, s84
	s_cbranch_execz .LBB298_82
.LBB298_81:                             ;   in Loop: Header=BB298_21 Depth=1
	v_add_nc_u64_e32 v[100:101], 0xe00, v[100:101]
	v_add_nc_u64_e32 v[102:103], 0xa00, v[96:97]
	v_add_nc_u32_e32 v99, 0xe0, v99
	s_delay_alu instid0(VALU_DEP_1) | instskip(NEXT) | instid1(VALU_DEP_3)
	v_ashrrev_i64 v[104:105], 29, v[98:99]
	v_dual_cndmask_b32 v101, v103, v101 :: v_dual_cndmask_b32 v100, v102, v100
	v_ashrrev_i64 v[98:99], 28, v[98:99]
	global_load_b128 v[100:103], v[100:101], off
	v_add_nc_u64_e32 v[104:105], s[28:29], v[104:105]
	v_add_nc_u64_e32 v[98:99], s[24:25], v[98:99]
	global_store_b64 v[104:105], v[80:81], off
	s_wait_loadcnt 0x0
	global_store_b128 v[98:99], v[100:103], off
.LBB298_82:                             ;   in Loop: Header=BB298_21 Depth=1
	s_wait_xcnt 0x0
	s_or_b32 exec_lo, exec_lo, s6
	v_add_nc_u64_e32 v[98:99], v[48:49], v[52:53]
	v_add_nc_u64_e32 v[100:101], s[26:27], v[8:9]
	s_and_saveexec_b32 s6, s85
	s_cbranch_execnz .LBB298_134
; %bb.83:                               ;   in Loop: Header=BB298_21 Depth=1
	s_or_b32 exec_lo, exec_lo, s6
	s_and_saveexec_b32 s6, s86
	s_cbranch_execnz .LBB298_135
.LBB298_84:                             ;   in Loop: Header=BB298_21 Depth=1
	s_or_b32 exec_lo, exec_lo, s6
	s_and_saveexec_b32 s6, s87
	s_cbranch_execnz .LBB298_136
.LBB298_85:                             ;   in Loop: Header=BB298_21 Depth=1
	s_or_b32 exec_lo, exec_lo, s6
	s_and_saveexec_b32 s6, s88
	s_cbranch_execnz .LBB298_137
.LBB298_86:                             ;   in Loop: Header=BB298_21 Depth=1
	s_or_b32 exec_lo, exec_lo, s6
	s_and_saveexec_b32 s6, s89
	s_cbranch_execnz .LBB298_138
.LBB298_87:                             ;   in Loop: Header=BB298_21 Depth=1
	s_or_b32 exec_lo, exec_lo, s6
	s_and_saveexec_b32 s6, s90
	s_cbranch_execnz .LBB298_139
.LBB298_88:                             ;   in Loop: Header=BB298_21 Depth=1
	s_or_b32 exec_lo, exec_lo, s6
	s_and_saveexec_b32 s6, s91
	s_cbranch_execnz .LBB298_140
.LBB298_89:                             ;   in Loop: Header=BB298_21 Depth=1
	s_or_b32 exec_lo, exec_lo, s6
	s_and_saveexec_b32 s6, s8
	s_cbranch_execz .LBB298_91
.LBB298_90:                             ;   in Loop: Header=BB298_21 Depth=1
	v_add_nc_u64_e32 v[100:101], 0xe00, v[100:101]
	v_add_nc_u64_e32 v[102:103], 0xc00, v[96:97]
	v_add_nc_u32_e32 v99, 0xe0, v99
	s_delay_alu instid0(VALU_DEP_1) | instskip(NEXT) | instid1(VALU_DEP_3)
	v_ashrrev_i64 v[104:105], 29, v[98:99]
	v_dual_cndmask_b32 v101, v103, v101 :: v_dual_cndmask_b32 v100, v102, v100
	v_ashrrev_i64 v[98:99], 28, v[98:99]
	global_load_b128 v[100:103], v[100:101], off
	v_add_nc_u64_e32 v[104:105], s[28:29], v[104:105]
	v_add_nc_u64_e32 v[98:99], s[24:25], v[98:99]
	global_store_b64 v[104:105], v[80:81], off
	s_wait_loadcnt 0x0
	global_store_b128 v[98:99], v[100:103], off
.LBB298_91:                             ;   in Loop: Header=BB298_21 Depth=1
	s_wait_xcnt 0x0
	s_or_b32 exec_lo, exec_lo, s6
	v_add_nc_u64_e32 v[98:99], v[48:49], v[50:51]
	v_add_nc_u64_e32 v[100:101], s[26:27], v[6:7]
	s_and_saveexec_b32 s6, s92
	s_cbranch_execnz .LBB298_141
; %bb.92:                               ;   in Loop: Header=BB298_21 Depth=1
	s_or_b32 exec_lo, exec_lo, s6
	s_and_saveexec_b32 s6, s93
	s_cbranch_execnz .LBB298_142
.LBB298_93:                             ;   in Loop: Header=BB298_21 Depth=1
	s_or_b32 exec_lo, exec_lo, s6
	s_and_saveexec_b32 s6, s10
	s_cbranch_execnz .LBB298_143
.LBB298_94:                             ;   in Loop: Header=BB298_21 Depth=1
	s_or_b32 exec_lo, exec_lo, s6
	s_and_saveexec_b32 s6, s11
	s_cbranch_execnz .LBB298_144
.LBB298_95:                             ;   in Loop: Header=BB298_21 Depth=1
	s_or_b32 exec_lo, exec_lo, s6
	s_and_saveexec_b32 s6, s12
	s_cbranch_execnz .LBB298_145
.LBB298_96:                             ;   in Loop: Header=BB298_21 Depth=1
	s_or_b32 exec_lo, exec_lo, s6
	s_and_saveexec_b32 s6, s13
	s_cbranch_execnz .LBB298_146
.LBB298_97:                             ;   in Loop: Header=BB298_21 Depth=1
	s_or_b32 exec_lo, exec_lo, s6
	s_and_saveexec_b32 s6, s14
	s_cbranch_execnz .LBB298_147
.LBB298_98:                             ;   in Loop: Header=BB298_21 Depth=1
	s_or_b32 exec_lo, exec_lo, s6
	s_and_saveexec_b32 s6, s9
	s_cbranch_execz .LBB298_20
	s_branch .LBB298_148
.LBB298_99:                             ;   in Loop: Header=BB298_21 Depth=1
	v_add_nc_u64_e32 v[102:103], 0x200, v[90:91]
	s_delay_alu instid0(VALU_DEP_3) | instskip(SKIP_1) | instid1(VALU_DEP_3)
	v_ashrrev_i64 v[106:107], 29, v[98:99]
	v_ashrrev_i64 v[108:109], 28, v[98:99]
	v_dual_cndmask_b32 v103, v103, v101 :: v_dual_cndmask_b32 v102, v102, v100
	s_delay_alu instid0(VALU_DEP_3) | instskip(NEXT) | instid1(VALU_DEP_3)
	v_add_nc_u64_e32 v[106:107], s[28:29], v[106:107]
	v_add_nc_u64_e32 v[108:109], s[24:25], v[108:109]
	global_load_b128 v[102:105], v[102:103], off
	global_store_b64 v[106:107], v[76:77], off
	s_wait_loadcnt 0x0
	global_store_b128 v[108:109], v[102:105], off
	s_wait_xcnt 0x0
	s_or_b32 exec_lo, exec_lo, s6
	s_and_saveexec_b32 s6, s46
	s_cbranch_execz .LBB298_39
.LBB298_100:                            ;   in Loop: Header=BB298_21 Depth=1
	s_delay_alu instid0(VALU_DEP_1) | instskip(SKIP_2) | instid1(VALU_DEP_1)
	v_add_nc_u64_e32 v[102:103], 0x200, v[100:101]
	v_add_nc_u64_e32 v[104:105], 0x200, v[82:83]
	v_dual_mov_b32 v106, v98 :: v_dual_add_nc_u32 v107, 32, v99
	v_ashrrev_i64 v[108:109], 29, v[106:107]
	s_delay_alu instid0(VALU_DEP_3)
	v_dual_cndmask_b32 v103, v105, v103 :: v_dual_cndmask_b32 v102, v104, v102
	v_ashrrev_i64 v[106:107], 28, v[106:107]
	global_load_b128 v[102:105], v[102:103], off
	v_add_nc_u64_e32 v[108:109], s[28:29], v[108:109]
	v_add_nc_u64_e32 v[106:107], s[24:25], v[106:107]
	global_store_b64 v[108:109], v[66:67], off
	s_wait_loadcnt 0x0
	global_store_b128 v[106:107], v[102:105], off
	s_wait_xcnt 0x0
	s_or_b32 exec_lo, exec_lo, s6
	s_and_saveexec_b32 s6, s47
	s_cbranch_execz .LBB298_40
.LBB298_101:                            ;   in Loop: Header=BB298_21 Depth=1
	v_add_nc_u64_e32 v[102:103], 0x400, v[100:101]
	v_add_nc_u64_e32 v[104:105], 0x200, v[84:85]
	v_dual_mov_b32 v106, v98 :: v_dual_add_nc_u32 v107, 64, v99
	s_delay_alu instid0(VALU_DEP_1) | instskip(NEXT) | instid1(VALU_DEP_3)
	v_ashrrev_i64 v[108:109], 29, v[106:107]
	v_dual_cndmask_b32 v103, v105, v103 :: v_dual_cndmask_b32 v102, v104, v102
	v_ashrrev_i64 v[106:107], 28, v[106:107]
	global_load_b128 v[102:105], v[102:103], off
	v_add_nc_u64_e32 v[108:109], s[28:29], v[108:109]
	v_add_nc_u64_e32 v[106:107], s[24:25], v[106:107]
	global_store_b64 v[108:109], v[68:69], off
	s_wait_loadcnt 0x0
	global_store_b128 v[106:107], v[102:105], off
	s_wait_xcnt 0x0
	s_or_b32 exec_lo, exec_lo, s6
	s_and_saveexec_b32 s6, s48
	s_cbranch_execz .LBB298_41
.LBB298_102:                            ;   in Loop: Header=BB298_21 Depth=1
	v_add_nc_u64_e32 v[102:103], 0x600, v[100:101]
	v_add_nc_u64_e32 v[104:105], 0x200, v[86:87]
	v_dual_mov_b32 v106, v98 :: v_dual_add_nc_u32 v107, 0x60, v99
	s_delay_alu instid0(VALU_DEP_1) | instskip(NEXT) | instid1(VALU_DEP_3)
	v_ashrrev_i64 v[108:109], 29, v[106:107]
	v_dual_cndmask_b32 v103, v105, v103 :: v_dual_cndmask_b32 v102, v104, v102
	v_ashrrev_i64 v[106:107], 28, v[106:107]
	global_load_b128 v[102:105], v[102:103], off
	v_add_nc_u64_e32 v[108:109], s[28:29], v[108:109]
	v_add_nc_u64_e32 v[106:107], s[24:25], v[106:107]
	global_store_b64 v[108:109], v[70:71], off
	s_wait_loadcnt 0x0
	global_store_b128 v[106:107], v[102:105], off
	s_wait_xcnt 0x0
	s_or_b32 exec_lo, exec_lo, s6
	s_and_saveexec_b32 s6, s49
	s_cbranch_execz .LBB298_42
.LBB298_103:                            ;   in Loop: Header=BB298_21 Depth=1
	v_add_nc_u64_e32 v[102:103], 0x800, v[100:101]
	v_add_nc_u64_e32 v[104:105], 0x200, v[88:89]
	v_dual_mov_b32 v106, v98 :: v_dual_add_nc_u32 v107, 0x80, v99
	s_delay_alu instid0(VALU_DEP_1) | instskip(NEXT) | instid1(VALU_DEP_3)
	v_ashrrev_i64 v[108:109], 29, v[106:107]
	v_dual_cndmask_b32 v103, v105, v103 :: v_dual_cndmask_b32 v102, v104, v102
	v_ashrrev_i64 v[106:107], 28, v[106:107]
	global_load_b128 v[102:105], v[102:103], off
	v_add_nc_u64_e32 v[108:109], s[28:29], v[108:109]
	v_add_nc_u64_e32 v[106:107], s[24:25], v[106:107]
	global_store_b64 v[108:109], v[72:73], off
	s_wait_loadcnt 0x0
	global_store_b128 v[106:107], v[102:105], off
	s_wait_xcnt 0x0
	s_or_b32 exec_lo, exec_lo, s6
	s_and_saveexec_b32 s6, s50
	s_cbranch_execz .LBB298_43
.LBB298_104:                            ;   in Loop: Header=BB298_21 Depth=1
	v_add_nc_u64_e32 v[102:103], 0xa00, v[100:101]
	v_add_nc_u64_e32 v[104:105], 0x200, v[92:93]
	v_dual_mov_b32 v106, v98 :: v_dual_add_nc_u32 v107, 0xa0, v99
	s_delay_alu instid0(VALU_DEP_1) | instskip(NEXT) | instid1(VALU_DEP_3)
	v_ashrrev_i64 v[108:109], 29, v[106:107]
	v_dual_cndmask_b32 v103, v105, v103 :: v_dual_cndmask_b32 v102, v104, v102
	v_ashrrev_i64 v[106:107], 28, v[106:107]
	global_load_b128 v[102:105], v[102:103], off
	v_add_nc_u64_e32 v[108:109], s[28:29], v[108:109]
	v_add_nc_u64_e32 v[106:107], s[24:25], v[106:107]
	global_store_b64 v[108:109], v[74:75], off
	s_wait_loadcnt 0x0
	global_store_b128 v[106:107], v[102:105], off
	s_wait_xcnt 0x0
	s_or_b32 exec_lo, exec_lo, s6
	s_and_saveexec_b32 s6, s51
	s_cbranch_execz .LBB298_44
.LBB298_105:                            ;   in Loop: Header=BB298_21 Depth=1
	v_add_nc_u64_e32 v[102:103], 0xc00, v[100:101]
	v_add_nc_u64_e32 v[104:105], 0x200, v[94:95]
	v_dual_mov_b32 v106, v98 :: v_dual_add_nc_u32 v107, 0xc0, v99
	s_delay_alu instid0(VALU_DEP_1) | instskip(NEXT) | instid1(VALU_DEP_3)
	v_ashrrev_i64 v[108:109], 29, v[106:107]
	v_dual_cndmask_b32 v103, v105, v103 :: v_dual_cndmask_b32 v102, v104, v102
	v_ashrrev_i64 v[106:107], 28, v[106:107]
	global_load_b128 v[102:105], v[102:103], off
	v_add_nc_u64_e32 v[108:109], s[28:29], v[108:109]
	v_add_nc_u64_e32 v[106:107], s[24:25], v[106:107]
	global_store_b64 v[108:109], v[78:79], off
	s_wait_loadcnt 0x0
	global_store_b128 v[106:107], v[102:105], off
	s_wait_xcnt 0x0
	s_or_b32 exec_lo, exec_lo, s6
	s_and_saveexec_b32 s6, s52
	s_cbranch_execnz .LBB298_45
	s_branch .LBB298_46
.LBB298_106:                            ;   in Loop: Header=BB298_21 Depth=1
	v_add_nc_u64_e32 v[102:103], 0x400, v[90:91]
	s_delay_alu instid0(VALU_DEP_3) | instskip(SKIP_1) | instid1(VALU_DEP_3)
	v_ashrrev_i64 v[106:107], 29, v[98:99]
	v_ashrrev_i64 v[108:109], 28, v[98:99]
	v_dual_cndmask_b32 v103, v103, v101 :: v_dual_cndmask_b32 v102, v102, v100
	s_delay_alu instid0(VALU_DEP_3) | instskip(NEXT) | instid1(VALU_DEP_3)
	v_add_nc_u64_e32 v[106:107], s[28:29], v[106:107]
	v_add_nc_u64_e32 v[108:109], s[24:25], v[108:109]
	global_load_b128 v[102:105], v[102:103], off
	global_store_b64 v[106:107], v[76:77], off
	s_wait_loadcnt 0x0
	global_store_b128 v[108:109], v[102:105], off
	s_wait_xcnt 0x0
	s_or_b32 exec_lo, exec_lo, s6
	s_and_saveexec_b32 s6, s54
	s_cbranch_execz .LBB298_48
.LBB298_107:                            ;   in Loop: Header=BB298_21 Depth=1
	s_delay_alu instid0(VALU_DEP_1) | instskip(SKIP_2) | instid1(VALU_DEP_1)
	v_add_nc_u64_e32 v[102:103], 0x200, v[100:101]
	v_add_nc_u64_e32 v[104:105], 0x400, v[82:83]
	v_dual_mov_b32 v106, v98 :: v_dual_add_nc_u32 v107, 32, v99
	v_ashrrev_i64 v[108:109], 29, v[106:107]
	s_delay_alu instid0(VALU_DEP_3)
	v_dual_cndmask_b32 v103, v105, v103 :: v_dual_cndmask_b32 v102, v104, v102
	v_ashrrev_i64 v[106:107], 28, v[106:107]
	global_load_b128 v[102:105], v[102:103], off
	v_add_nc_u64_e32 v[108:109], s[28:29], v[108:109]
	v_add_nc_u64_e32 v[106:107], s[24:25], v[106:107]
	global_store_b64 v[108:109], v[66:67], off
	s_wait_loadcnt 0x0
	global_store_b128 v[106:107], v[102:105], off
	s_wait_xcnt 0x0
	s_or_b32 exec_lo, exec_lo, s6
	s_and_saveexec_b32 s6, s55
	s_cbranch_execz .LBB298_49
.LBB298_108:                            ;   in Loop: Header=BB298_21 Depth=1
	v_add_nc_u64_e32 v[102:103], 0x400, v[100:101]
	v_add_nc_u64_e32 v[104:105], 0x400, v[84:85]
	v_dual_mov_b32 v106, v98 :: v_dual_add_nc_u32 v107, 64, v99
	s_delay_alu instid0(VALU_DEP_1) | instskip(NEXT) | instid1(VALU_DEP_3)
	v_ashrrev_i64 v[108:109], 29, v[106:107]
	v_dual_cndmask_b32 v103, v105, v103 :: v_dual_cndmask_b32 v102, v104, v102
	v_ashrrev_i64 v[106:107], 28, v[106:107]
	global_load_b128 v[102:105], v[102:103], off
	v_add_nc_u64_e32 v[108:109], s[28:29], v[108:109]
	v_add_nc_u64_e32 v[106:107], s[24:25], v[106:107]
	global_store_b64 v[108:109], v[68:69], off
	s_wait_loadcnt 0x0
	global_store_b128 v[106:107], v[102:105], off
	s_wait_xcnt 0x0
	s_or_b32 exec_lo, exec_lo, s6
	s_and_saveexec_b32 s6, s56
	s_cbranch_execz .LBB298_50
.LBB298_109:                            ;   in Loop: Header=BB298_21 Depth=1
	v_add_nc_u64_e32 v[102:103], 0x600, v[100:101]
	v_add_nc_u64_e32 v[104:105], 0x400, v[86:87]
	v_dual_mov_b32 v106, v98 :: v_dual_add_nc_u32 v107, 0x60, v99
	s_delay_alu instid0(VALU_DEP_1) | instskip(NEXT) | instid1(VALU_DEP_3)
	v_ashrrev_i64 v[108:109], 29, v[106:107]
	v_dual_cndmask_b32 v103, v105, v103 :: v_dual_cndmask_b32 v102, v104, v102
	v_ashrrev_i64 v[106:107], 28, v[106:107]
	global_load_b128 v[102:105], v[102:103], off
	v_add_nc_u64_e32 v[108:109], s[28:29], v[108:109]
	v_add_nc_u64_e32 v[106:107], s[24:25], v[106:107]
	global_store_b64 v[108:109], v[70:71], off
	s_wait_loadcnt 0x0
	global_store_b128 v[106:107], v[102:105], off
	s_wait_xcnt 0x0
	s_or_b32 exec_lo, exec_lo, s6
	s_and_saveexec_b32 s6, s57
	s_cbranch_execz .LBB298_51
.LBB298_110:                            ;   in Loop: Header=BB298_21 Depth=1
	v_add_nc_u64_e32 v[102:103], 0x800, v[100:101]
	v_add_nc_u64_e32 v[104:105], 0x400, v[88:89]
	v_dual_mov_b32 v106, v98 :: v_dual_add_nc_u32 v107, 0x80, v99
	s_delay_alu instid0(VALU_DEP_1) | instskip(NEXT) | instid1(VALU_DEP_3)
	v_ashrrev_i64 v[108:109], 29, v[106:107]
	v_dual_cndmask_b32 v103, v105, v103 :: v_dual_cndmask_b32 v102, v104, v102
	v_ashrrev_i64 v[106:107], 28, v[106:107]
	global_load_b128 v[102:105], v[102:103], off
	v_add_nc_u64_e32 v[108:109], s[28:29], v[108:109]
	v_add_nc_u64_e32 v[106:107], s[24:25], v[106:107]
	global_store_b64 v[108:109], v[72:73], off
	s_wait_loadcnt 0x0
	global_store_b128 v[106:107], v[102:105], off
	s_wait_xcnt 0x0
	s_or_b32 exec_lo, exec_lo, s6
	s_and_saveexec_b32 s6, s58
	s_cbranch_execz .LBB298_52
.LBB298_111:                            ;   in Loop: Header=BB298_21 Depth=1
	v_add_nc_u64_e32 v[102:103], 0xa00, v[100:101]
	v_add_nc_u64_e32 v[104:105], 0x400, v[92:93]
	v_dual_mov_b32 v106, v98 :: v_dual_add_nc_u32 v107, 0xa0, v99
	s_delay_alu instid0(VALU_DEP_1) | instskip(NEXT) | instid1(VALU_DEP_3)
	v_ashrrev_i64 v[108:109], 29, v[106:107]
	v_dual_cndmask_b32 v103, v105, v103 :: v_dual_cndmask_b32 v102, v104, v102
	v_ashrrev_i64 v[106:107], 28, v[106:107]
	global_load_b128 v[102:105], v[102:103], off
	v_add_nc_u64_e32 v[108:109], s[28:29], v[108:109]
	v_add_nc_u64_e32 v[106:107], s[24:25], v[106:107]
	global_store_b64 v[108:109], v[74:75], off
	s_wait_loadcnt 0x0
	global_store_b128 v[106:107], v[102:105], off
	s_wait_xcnt 0x0
	s_or_b32 exec_lo, exec_lo, s6
	s_and_saveexec_b32 s6, s59
	s_cbranch_execz .LBB298_53
.LBB298_112:                            ;   in Loop: Header=BB298_21 Depth=1
	v_add_nc_u64_e32 v[102:103], 0xc00, v[100:101]
	v_add_nc_u64_e32 v[104:105], 0x400, v[94:95]
	v_dual_mov_b32 v106, v98 :: v_dual_add_nc_u32 v107, 0xc0, v99
	s_delay_alu instid0(VALU_DEP_1) | instskip(NEXT) | instid1(VALU_DEP_3)
	v_ashrrev_i64 v[108:109], 29, v[106:107]
	v_dual_cndmask_b32 v103, v105, v103 :: v_dual_cndmask_b32 v102, v104, v102
	v_ashrrev_i64 v[106:107], 28, v[106:107]
	global_load_b128 v[102:105], v[102:103], off
	v_add_nc_u64_e32 v[108:109], s[28:29], v[108:109]
	v_add_nc_u64_e32 v[106:107], s[24:25], v[106:107]
	global_store_b64 v[108:109], v[78:79], off
	s_wait_loadcnt 0x0
	global_store_b128 v[106:107], v[102:105], off
	s_wait_xcnt 0x0
	s_or_b32 exec_lo, exec_lo, s6
	s_and_saveexec_b32 s6, s60
	s_cbranch_execnz .LBB298_54
	s_branch .LBB298_55
.LBB298_113:                            ;   in Loop: Header=BB298_21 Depth=1
	v_add_nc_u64_e32 v[102:103], 0x600, v[90:91]
	s_delay_alu instid0(VALU_DEP_3) | instskip(SKIP_1) | instid1(VALU_DEP_3)
	v_ashrrev_i64 v[106:107], 29, v[98:99]
	v_ashrrev_i64 v[108:109], 28, v[98:99]
	v_dual_cndmask_b32 v103, v103, v101 :: v_dual_cndmask_b32 v102, v102, v100
	s_delay_alu instid0(VALU_DEP_3) | instskip(NEXT) | instid1(VALU_DEP_3)
	v_add_nc_u64_e32 v[106:107], s[28:29], v[106:107]
	v_add_nc_u64_e32 v[108:109], s[24:25], v[108:109]
	global_load_b128 v[102:105], v[102:103], off
	global_store_b64 v[106:107], v[76:77], off
	s_wait_loadcnt 0x0
	global_store_b128 v[108:109], v[102:105], off
	s_wait_xcnt 0x0
	s_or_b32 exec_lo, exec_lo, s6
	s_and_saveexec_b32 s6, s62
	s_cbranch_execz .LBB298_57
.LBB298_114:                            ;   in Loop: Header=BB298_21 Depth=1
	s_delay_alu instid0(VALU_DEP_1) | instskip(SKIP_2) | instid1(VALU_DEP_1)
	v_add_nc_u64_e32 v[102:103], 0x200, v[100:101]
	v_add_nc_u64_e32 v[104:105], 0x600, v[82:83]
	v_dual_mov_b32 v106, v98 :: v_dual_add_nc_u32 v107, 32, v99
	v_ashrrev_i64 v[108:109], 29, v[106:107]
	s_delay_alu instid0(VALU_DEP_3)
	v_dual_cndmask_b32 v103, v105, v103 :: v_dual_cndmask_b32 v102, v104, v102
	v_ashrrev_i64 v[106:107], 28, v[106:107]
	global_load_b128 v[102:105], v[102:103], off
	v_add_nc_u64_e32 v[108:109], s[28:29], v[108:109]
	v_add_nc_u64_e32 v[106:107], s[24:25], v[106:107]
	global_store_b64 v[108:109], v[66:67], off
	s_wait_loadcnt 0x0
	global_store_b128 v[106:107], v[102:105], off
	s_wait_xcnt 0x0
	s_or_b32 exec_lo, exec_lo, s6
	s_and_saveexec_b32 s6, s63
	s_cbranch_execz .LBB298_58
.LBB298_115:                            ;   in Loop: Header=BB298_21 Depth=1
	v_add_nc_u64_e32 v[102:103], 0x400, v[100:101]
	v_add_nc_u64_e32 v[104:105], 0x600, v[84:85]
	v_dual_mov_b32 v106, v98 :: v_dual_add_nc_u32 v107, 64, v99
	s_delay_alu instid0(VALU_DEP_1) | instskip(NEXT) | instid1(VALU_DEP_3)
	v_ashrrev_i64 v[108:109], 29, v[106:107]
	v_dual_cndmask_b32 v103, v105, v103 :: v_dual_cndmask_b32 v102, v104, v102
	v_ashrrev_i64 v[106:107], 28, v[106:107]
	global_load_b128 v[102:105], v[102:103], off
	v_add_nc_u64_e32 v[108:109], s[28:29], v[108:109]
	v_add_nc_u64_e32 v[106:107], s[24:25], v[106:107]
	global_store_b64 v[108:109], v[68:69], off
	s_wait_loadcnt 0x0
	global_store_b128 v[106:107], v[102:105], off
	s_wait_xcnt 0x0
	s_or_b32 exec_lo, exec_lo, s6
	s_and_saveexec_b32 s6, s64
	s_cbranch_execz .LBB298_59
.LBB298_116:                            ;   in Loop: Header=BB298_21 Depth=1
	v_add_nc_u64_e32 v[102:103], 0x600, v[100:101]
	v_add_nc_u64_e32 v[104:105], 0x600, v[86:87]
	v_dual_mov_b32 v106, v98 :: v_dual_add_nc_u32 v107, 0x60, v99
	s_delay_alu instid0(VALU_DEP_1) | instskip(NEXT) | instid1(VALU_DEP_3)
	v_ashrrev_i64 v[108:109], 29, v[106:107]
	v_dual_cndmask_b32 v103, v105, v103 :: v_dual_cndmask_b32 v102, v104, v102
	v_ashrrev_i64 v[106:107], 28, v[106:107]
	global_load_b128 v[102:105], v[102:103], off
	v_add_nc_u64_e32 v[108:109], s[28:29], v[108:109]
	v_add_nc_u64_e32 v[106:107], s[24:25], v[106:107]
	global_store_b64 v[108:109], v[70:71], off
	s_wait_loadcnt 0x0
	global_store_b128 v[106:107], v[102:105], off
	s_wait_xcnt 0x0
	s_or_b32 exec_lo, exec_lo, s6
	s_and_saveexec_b32 s6, s65
	s_cbranch_execz .LBB298_60
.LBB298_117:                            ;   in Loop: Header=BB298_21 Depth=1
	v_add_nc_u64_e32 v[102:103], 0x800, v[100:101]
	v_add_nc_u64_e32 v[104:105], 0x600, v[88:89]
	v_dual_mov_b32 v106, v98 :: v_dual_add_nc_u32 v107, 0x80, v99
	s_delay_alu instid0(VALU_DEP_1) | instskip(NEXT) | instid1(VALU_DEP_3)
	v_ashrrev_i64 v[108:109], 29, v[106:107]
	v_dual_cndmask_b32 v103, v105, v103 :: v_dual_cndmask_b32 v102, v104, v102
	v_ashrrev_i64 v[106:107], 28, v[106:107]
	global_load_b128 v[102:105], v[102:103], off
	v_add_nc_u64_e32 v[108:109], s[28:29], v[108:109]
	v_add_nc_u64_e32 v[106:107], s[24:25], v[106:107]
	global_store_b64 v[108:109], v[72:73], off
	s_wait_loadcnt 0x0
	global_store_b128 v[106:107], v[102:105], off
	s_wait_xcnt 0x0
	s_or_b32 exec_lo, exec_lo, s6
	s_and_saveexec_b32 s6, s66
	s_cbranch_execz .LBB298_61
.LBB298_118:                            ;   in Loop: Header=BB298_21 Depth=1
	v_add_nc_u64_e32 v[102:103], 0xa00, v[100:101]
	v_add_nc_u64_e32 v[104:105], 0x600, v[92:93]
	v_dual_mov_b32 v106, v98 :: v_dual_add_nc_u32 v107, 0xa0, v99
	s_delay_alu instid0(VALU_DEP_1) | instskip(NEXT) | instid1(VALU_DEP_3)
	v_ashrrev_i64 v[108:109], 29, v[106:107]
	v_dual_cndmask_b32 v103, v105, v103 :: v_dual_cndmask_b32 v102, v104, v102
	v_ashrrev_i64 v[106:107], 28, v[106:107]
	global_load_b128 v[102:105], v[102:103], off
	v_add_nc_u64_e32 v[108:109], s[28:29], v[108:109]
	v_add_nc_u64_e32 v[106:107], s[24:25], v[106:107]
	global_store_b64 v[108:109], v[74:75], off
	s_wait_loadcnt 0x0
	global_store_b128 v[106:107], v[102:105], off
	s_wait_xcnt 0x0
	s_or_b32 exec_lo, exec_lo, s6
	s_and_saveexec_b32 s6, s67
	s_cbranch_execz .LBB298_62
.LBB298_119:                            ;   in Loop: Header=BB298_21 Depth=1
	v_add_nc_u64_e32 v[102:103], 0xc00, v[100:101]
	v_add_nc_u64_e32 v[104:105], 0x600, v[94:95]
	v_dual_mov_b32 v106, v98 :: v_dual_add_nc_u32 v107, 0xc0, v99
	s_delay_alu instid0(VALU_DEP_1) | instskip(NEXT) | instid1(VALU_DEP_3)
	v_ashrrev_i64 v[108:109], 29, v[106:107]
	v_dual_cndmask_b32 v103, v105, v103 :: v_dual_cndmask_b32 v102, v104, v102
	v_ashrrev_i64 v[106:107], 28, v[106:107]
	global_load_b128 v[102:105], v[102:103], off
	v_add_nc_u64_e32 v[108:109], s[28:29], v[108:109]
	v_add_nc_u64_e32 v[106:107], s[24:25], v[106:107]
	global_store_b64 v[108:109], v[78:79], off
	s_wait_loadcnt 0x0
	global_store_b128 v[106:107], v[102:105], off
	s_wait_xcnt 0x0
	s_or_b32 exec_lo, exec_lo, s6
	s_and_saveexec_b32 s6, s68
	s_cbranch_execnz .LBB298_63
	s_branch .LBB298_64
.LBB298_120:                            ;   in Loop: Header=BB298_21 Depth=1
	v_add_nc_u64_e32 v[102:103], 0x800, v[90:91]
	s_delay_alu instid0(VALU_DEP_3) | instskip(SKIP_1) | instid1(VALU_DEP_3)
	v_ashrrev_i64 v[106:107], 29, v[98:99]
	v_ashrrev_i64 v[108:109], 28, v[98:99]
	v_dual_cndmask_b32 v103, v103, v101 :: v_dual_cndmask_b32 v102, v102, v100
	s_delay_alu instid0(VALU_DEP_3) | instskip(NEXT) | instid1(VALU_DEP_3)
	v_add_nc_u64_e32 v[106:107], s[28:29], v[106:107]
	v_add_nc_u64_e32 v[108:109], s[24:25], v[108:109]
	global_load_b128 v[102:105], v[102:103], off
	global_store_b64 v[106:107], v[76:77], off
	s_wait_loadcnt 0x0
	global_store_b128 v[108:109], v[102:105], off
	s_wait_xcnt 0x0
	s_or_b32 exec_lo, exec_lo, s6
	s_and_saveexec_b32 s6, s70
	s_cbranch_execz .LBB298_66
.LBB298_121:                            ;   in Loop: Header=BB298_21 Depth=1
	s_delay_alu instid0(VALU_DEP_1) | instskip(SKIP_2) | instid1(VALU_DEP_1)
	v_add_nc_u64_e32 v[102:103], 0x200, v[100:101]
	v_add_nc_u64_e32 v[104:105], 0x800, v[82:83]
	v_dual_mov_b32 v106, v98 :: v_dual_add_nc_u32 v107, 32, v99
	v_ashrrev_i64 v[108:109], 29, v[106:107]
	s_delay_alu instid0(VALU_DEP_3)
	v_dual_cndmask_b32 v103, v105, v103 :: v_dual_cndmask_b32 v102, v104, v102
	v_ashrrev_i64 v[106:107], 28, v[106:107]
	global_load_b128 v[102:105], v[102:103], off
	v_add_nc_u64_e32 v[108:109], s[28:29], v[108:109]
	v_add_nc_u64_e32 v[106:107], s[24:25], v[106:107]
	global_store_b64 v[108:109], v[66:67], off
	s_wait_loadcnt 0x0
	global_store_b128 v[106:107], v[102:105], off
	s_wait_xcnt 0x0
	s_or_b32 exec_lo, exec_lo, s6
	s_and_saveexec_b32 s6, s71
	s_cbranch_execz .LBB298_67
.LBB298_122:                            ;   in Loop: Header=BB298_21 Depth=1
	v_add_nc_u64_e32 v[102:103], 0x400, v[100:101]
	v_add_nc_u64_e32 v[104:105], 0x800, v[84:85]
	v_dual_mov_b32 v106, v98 :: v_dual_add_nc_u32 v107, 64, v99
	s_delay_alu instid0(VALU_DEP_1) | instskip(NEXT) | instid1(VALU_DEP_3)
	v_ashrrev_i64 v[108:109], 29, v[106:107]
	v_dual_cndmask_b32 v103, v105, v103 :: v_dual_cndmask_b32 v102, v104, v102
	v_ashrrev_i64 v[106:107], 28, v[106:107]
	global_load_b128 v[102:105], v[102:103], off
	v_add_nc_u64_e32 v[108:109], s[28:29], v[108:109]
	v_add_nc_u64_e32 v[106:107], s[24:25], v[106:107]
	global_store_b64 v[108:109], v[68:69], off
	s_wait_loadcnt 0x0
	global_store_b128 v[106:107], v[102:105], off
	s_wait_xcnt 0x0
	s_or_b32 exec_lo, exec_lo, s6
	s_and_saveexec_b32 s6, s72
	s_cbranch_execz .LBB298_68
.LBB298_123:                            ;   in Loop: Header=BB298_21 Depth=1
	v_add_nc_u64_e32 v[102:103], 0x600, v[100:101]
	v_add_nc_u64_e32 v[104:105], 0x800, v[86:87]
	v_dual_mov_b32 v106, v98 :: v_dual_add_nc_u32 v107, 0x60, v99
	s_delay_alu instid0(VALU_DEP_1) | instskip(NEXT) | instid1(VALU_DEP_3)
	v_ashrrev_i64 v[108:109], 29, v[106:107]
	v_dual_cndmask_b32 v103, v105, v103 :: v_dual_cndmask_b32 v102, v104, v102
	v_ashrrev_i64 v[106:107], 28, v[106:107]
	global_load_b128 v[102:105], v[102:103], off
	v_add_nc_u64_e32 v[108:109], s[28:29], v[108:109]
	v_add_nc_u64_e32 v[106:107], s[24:25], v[106:107]
	global_store_b64 v[108:109], v[70:71], off
	s_wait_loadcnt 0x0
	global_store_b128 v[106:107], v[102:105], off
	s_wait_xcnt 0x0
	s_or_b32 exec_lo, exec_lo, s6
	s_and_saveexec_b32 s6, s73
	s_cbranch_execz .LBB298_69
.LBB298_124:                            ;   in Loop: Header=BB298_21 Depth=1
	v_add_nc_u64_e32 v[102:103], 0x800, v[100:101]
	v_add_nc_u64_e32 v[104:105], 0x800, v[88:89]
	v_dual_mov_b32 v106, v98 :: v_dual_add_nc_u32 v107, 0x80, v99
	s_delay_alu instid0(VALU_DEP_1) | instskip(NEXT) | instid1(VALU_DEP_3)
	v_ashrrev_i64 v[108:109], 29, v[106:107]
	v_dual_cndmask_b32 v103, v105, v103 :: v_dual_cndmask_b32 v102, v104, v102
	v_ashrrev_i64 v[106:107], 28, v[106:107]
	global_load_b128 v[102:105], v[102:103], off
	v_add_nc_u64_e32 v[108:109], s[28:29], v[108:109]
	v_add_nc_u64_e32 v[106:107], s[24:25], v[106:107]
	global_store_b64 v[108:109], v[72:73], off
	s_wait_loadcnt 0x0
	global_store_b128 v[106:107], v[102:105], off
	s_wait_xcnt 0x0
	s_or_b32 exec_lo, exec_lo, s6
	s_and_saveexec_b32 s6, s74
	s_cbranch_execz .LBB298_70
.LBB298_125:                            ;   in Loop: Header=BB298_21 Depth=1
	v_add_nc_u64_e32 v[102:103], 0xa00, v[100:101]
	v_add_nc_u64_e32 v[104:105], 0x800, v[92:93]
	v_dual_mov_b32 v106, v98 :: v_dual_add_nc_u32 v107, 0xa0, v99
	s_delay_alu instid0(VALU_DEP_1) | instskip(NEXT) | instid1(VALU_DEP_3)
	v_ashrrev_i64 v[108:109], 29, v[106:107]
	v_dual_cndmask_b32 v103, v105, v103 :: v_dual_cndmask_b32 v102, v104, v102
	v_ashrrev_i64 v[106:107], 28, v[106:107]
	global_load_b128 v[102:105], v[102:103], off
	v_add_nc_u64_e32 v[108:109], s[28:29], v[108:109]
	v_add_nc_u64_e32 v[106:107], s[24:25], v[106:107]
	global_store_b64 v[108:109], v[74:75], off
	s_wait_loadcnt 0x0
	global_store_b128 v[106:107], v[102:105], off
	s_wait_xcnt 0x0
	s_or_b32 exec_lo, exec_lo, s6
	s_and_saveexec_b32 s6, s75
	s_cbranch_execz .LBB298_71
.LBB298_126:                            ;   in Loop: Header=BB298_21 Depth=1
	v_add_nc_u64_e32 v[102:103], 0xc00, v[100:101]
	v_add_nc_u64_e32 v[104:105], 0x800, v[94:95]
	v_dual_mov_b32 v106, v98 :: v_dual_add_nc_u32 v107, 0xc0, v99
	s_delay_alu instid0(VALU_DEP_1) | instskip(NEXT) | instid1(VALU_DEP_3)
	v_ashrrev_i64 v[108:109], 29, v[106:107]
	v_dual_cndmask_b32 v103, v105, v103 :: v_dual_cndmask_b32 v102, v104, v102
	v_ashrrev_i64 v[106:107], 28, v[106:107]
	global_load_b128 v[102:105], v[102:103], off
	v_add_nc_u64_e32 v[108:109], s[28:29], v[108:109]
	v_add_nc_u64_e32 v[106:107], s[24:25], v[106:107]
	global_store_b64 v[108:109], v[78:79], off
	s_wait_loadcnt 0x0
	global_store_b128 v[106:107], v[102:105], off
	s_wait_xcnt 0x0
	s_or_b32 exec_lo, exec_lo, s6
	s_and_saveexec_b32 s6, s76
	s_cbranch_execnz .LBB298_72
	s_branch .LBB298_73
.LBB298_127:                            ;   in Loop: Header=BB298_21 Depth=1
	v_add_nc_u64_e32 v[102:103], 0xa00, v[90:91]
	s_delay_alu instid0(VALU_DEP_3) | instskip(SKIP_1) | instid1(VALU_DEP_3)
	v_ashrrev_i64 v[106:107], 29, v[98:99]
	v_ashrrev_i64 v[108:109], 28, v[98:99]
	v_dual_cndmask_b32 v103, v103, v101 :: v_dual_cndmask_b32 v102, v102, v100
	s_delay_alu instid0(VALU_DEP_3) | instskip(NEXT) | instid1(VALU_DEP_3)
	v_add_nc_u64_e32 v[106:107], s[28:29], v[106:107]
	v_add_nc_u64_e32 v[108:109], s[24:25], v[108:109]
	global_load_b128 v[102:105], v[102:103], off
	global_store_b64 v[106:107], v[76:77], off
	s_wait_loadcnt 0x0
	global_store_b128 v[108:109], v[102:105], off
	s_wait_xcnt 0x0
	s_or_b32 exec_lo, exec_lo, s6
	s_and_saveexec_b32 s6, s78
	s_cbranch_execz .LBB298_75
.LBB298_128:                            ;   in Loop: Header=BB298_21 Depth=1
	s_delay_alu instid0(VALU_DEP_1) | instskip(SKIP_2) | instid1(VALU_DEP_1)
	v_add_nc_u64_e32 v[102:103], 0x200, v[100:101]
	v_add_nc_u64_e32 v[104:105], 0xa00, v[82:83]
	v_dual_mov_b32 v106, v98 :: v_dual_add_nc_u32 v107, 32, v99
	v_ashrrev_i64 v[108:109], 29, v[106:107]
	s_delay_alu instid0(VALU_DEP_3)
	v_dual_cndmask_b32 v103, v105, v103 :: v_dual_cndmask_b32 v102, v104, v102
	v_ashrrev_i64 v[106:107], 28, v[106:107]
	global_load_b128 v[102:105], v[102:103], off
	v_add_nc_u64_e32 v[108:109], s[28:29], v[108:109]
	v_add_nc_u64_e32 v[106:107], s[24:25], v[106:107]
	global_store_b64 v[108:109], v[66:67], off
	s_wait_loadcnt 0x0
	global_store_b128 v[106:107], v[102:105], off
	s_wait_xcnt 0x0
	s_or_b32 exec_lo, exec_lo, s6
	s_and_saveexec_b32 s6, s79
	s_cbranch_execz .LBB298_76
.LBB298_129:                            ;   in Loop: Header=BB298_21 Depth=1
	v_add_nc_u64_e32 v[102:103], 0x400, v[100:101]
	v_add_nc_u64_e32 v[104:105], 0xa00, v[84:85]
	v_dual_mov_b32 v106, v98 :: v_dual_add_nc_u32 v107, 64, v99
	s_delay_alu instid0(VALU_DEP_1) | instskip(NEXT) | instid1(VALU_DEP_3)
	v_ashrrev_i64 v[108:109], 29, v[106:107]
	v_dual_cndmask_b32 v103, v105, v103 :: v_dual_cndmask_b32 v102, v104, v102
	v_ashrrev_i64 v[106:107], 28, v[106:107]
	global_load_b128 v[102:105], v[102:103], off
	v_add_nc_u64_e32 v[108:109], s[28:29], v[108:109]
	v_add_nc_u64_e32 v[106:107], s[24:25], v[106:107]
	global_store_b64 v[108:109], v[68:69], off
	s_wait_loadcnt 0x0
	global_store_b128 v[106:107], v[102:105], off
	s_wait_xcnt 0x0
	s_or_b32 exec_lo, exec_lo, s6
	s_and_saveexec_b32 s6, s80
	s_cbranch_execz .LBB298_77
.LBB298_130:                            ;   in Loop: Header=BB298_21 Depth=1
	v_add_nc_u64_e32 v[102:103], 0x600, v[100:101]
	v_add_nc_u64_e32 v[104:105], 0xa00, v[86:87]
	v_dual_mov_b32 v106, v98 :: v_dual_add_nc_u32 v107, 0x60, v99
	s_delay_alu instid0(VALU_DEP_1) | instskip(NEXT) | instid1(VALU_DEP_3)
	v_ashrrev_i64 v[108:109], 29, v[106:107]
	v_dual_cndmask_b32 v103, v105, v103 :: v_dual_cndmask_b32 v102, v104, v102
	v_ashrrev_i64 v[106:107], 28, v[106:107]
	global_load_b128 v[102:105], v[102:103], off
	v_add_nc_u64_e32 v[108:109], s[28:29], v[108:109]
	v_add_nc_u64_e32 v[106:107], s[24:25], v[106:107]
	global_store_b64 v[108:109], v[70:71], off
	s_wait_loadcnt 0x0
	global_store_b128 v[106:107], v[102:105], off
	s_wait_xcnt 0x0
	s_or_b32 exec_lo, exec_lo, s6
	s_and_saveexec_b32 s6, s81
	s_cbranch_execz .LBB298_78
.LBB298_131:                            ;   in Loop: Header=BB298_21 Depth=1
	v_add_nc_u64_e32 v[102:103], 0x800, v[100:101]
	v_add_nc_u64_e32 v[104:105], 0xa00, v[88:89]
	v_dual_mov_b32 v106, v98 :: v_dual_add_nc_u32 v107, 0x80, v99
	s_delay_alu instid0(VALU_DEP_1) | instskip(NEXT) | instid1(VALU_DEP_3)
	v_ashrrev_i64 v[108:109], 29, v[106:107]
	v_dual_cndmask_b32 v103, v105, v103 :: v_dual_cndmask_b32 v102, v104, v102
	v_ashrrev_i64 v[106:107], 28, v[106:107]
	global_load_b128 v[102:105], v[102:103], off
	v_add_nc_u64_e32 v[108:109], s[28:29], v[108:109]
	v_add_nc_u64_e32 v[106:107], s[24:25], v[106:107]
	global_store_b64 v[108:109], v[72:73], off
	s_wait_loadcnt 0x0
	global_store_b128 v[106:107], v[102:105], off
	s_wait_xcnt 0x0
	s_or_b32 exec_lo, exec_lo, s6
	s_and_saveexec_b32 s6, s82
	s_cbranch_execz .LBB298_79
.LBB298_132:                            ;   in Loop: Header=BB298_21 Depth=1
	v_add_nc_u64_e32 v[102:103], 0xa00, v[100:101]
	v_add_nc_u64_e32 v[104:105], 0xa00, v[92:93]
	v_dual_mov_b32 v106, v98 :: v_dual_add_nc_u32 v107, 0xa0, v99
	s_delay_alu instid0(VALU_DEP_1) | instskip(NEXT) | instid1(VALU_DEP_3)
	v_ashrrev_i64 v[108:109], 29, v[106:107]
	v_dual_cndmask_b32 v103, v105, v103 :: v_dual_cndmask_b32 v102, v104, v102
	v_ashrrev_i64 v[106:107], 28, v[106:107]
	global_load_b128 v[102:105], v[102:103], off
	v_add_nc_u64_e32 v[108:109], s[28:29], v[108:109]
	v_add_nc_u64_e32 v[106:107], s[24:25], v[106:107]
	global_store_b64 v[108:109], v[74:75], off
	s_wait_loadcnt 0x0
	global_store_b128 v[106:107], v[102:105], off
	s_wait_xcnt 0x0
	s_or_b32 exec_lo, exec_lo, s6
	s_and_saveexec_b32 s6, s83
	s_cbranch_execz .LBB298_80
.LBB298_133:                            ;   in Loop: Header=BB298_21 Depth=1
	v_add_nc_u64_e32 v[102:103], 0xc00, v[100:101]
	v_add_nc_u64_e32 v[104:105], 0xa00, v[94:95]
	v_dual_mov_b32 v106, v98 :: v_dual_add_nc_u32 v107, 0xc0, v99
	s_delay_alu instid0(VALU_DEP_1) | instskip(NEXT) | instid1(VALU_DEP_3)
	v_ashrrev_i64 v[108:109], 29, v[106:107]
	v_dual_cndmask_b32 v103, v105, v103 :: v_dual_cndmask_b32 v102, v104, v102
	v_ashrrev_i64 v[106:107], 28, v[106:107]
	global_load_b128 v[102:105], v[102:103], off
	v_add_nc_u64_e32 v[108:109], s[28:29], v[108:109]
	v_add_nc_u64_e32 v[106:107], s[24:25], v[106:107]
	global_store_b64 v[108:109], v[78:79], off
	s_wait_loadcnt 0x0
	global_store_b128 v[106:107], v[102:105], off
	s_wait_xcnt 0x0
	s_or_b32 exec_lo, exec_lo, s6
	s_and_saveexec_b32 s6, s84
	s_cbranch_execnz .LBB298_81
	s_branch .LBB298_82
.LBB298_134:                            ;   in Loop: Header=BB298_21 Depth=1
	v_add_nc_u64_e32 v[102:103], 0xc00, v[90:91]
	s_delay_alu instid0(VALU_DEP_3) | instskip(SKIP_1) | instid1(VALU_DEP_3)
	v_ashrrev_i64 v[106:107], 29, v[98:99]
	v_ashrrev_i64 v[108:109], 28, v[98:99]
	v_dual_cndmask_b32 v103, v103, v101 :: v_dual_cndmask_b32 v102, v102, v100
	s_delay_alu instid0(VALU_DEP_3) | instskip(NEXT) | instid1(VALU_DEP_3)
	v_add_nc_u64_e32 v[106:107], s[28:29], v[106:107]
	v_add_nc_u64_e32 v[108:109], s[24:25], v[108:109]
	global_load_b128 v[102:105], v[102:103], off
	global_store_b64 v[106:107], v[76:77], off
	s_wait_loadcnt 0x0
	global_store_b128 v[108:109], v[102:105], off
	s_wait_xcnt 0x0
	s_or_b32 exec_lo, exec_lo, s6
	s_and_saveexec_b32 s6, s86
	s_cbranch_execz .LBB298_84
.LBB298_135:                            ;   in Loop: Header=BB298_21 Depth=1
	s_delay_alu instid0(VALU_DEP_1) | instskip(SKIP_2) | instid1(VALU_DEP_1)
	v_add_nc_u64_e32 v[102:103], 0x200, v[100:101]
	v_add_nc_u64_e32 v[104:105], 0xc00, v[82:83]
	v_dual_mov_b32 v106, v98 :: v_dual_add_nc_u32 v107, 32, v99
	v_ashrrev_i64 v[108:109], 29, v[106:107]
	s_delay_alu instid0(VALU_DEP_3)
	v_dual_cndmask_b32 v103, v105, v103 :: v_dual_cndmask_b32 v102, v104, v102
	v_ashrrev_i64 v[106:107], 28, v[106:107]
	global_load_b128 v[102:105], v[102:103], off
	v_add_nc_u64_e32 v[108:109], s[28:29], v[108:109]
	v_add_nc_u64_e32 v[106:107], s[24:25], v[106:107]
	global_store_b64 v[108:109], v[66:67], off
	s_wait_loadcnt 0x0
	global_store_b128 v[106:107], v[102:105], off
	s_wait_xcnt 0x0
	s_or_b32 exec_lo, exec_lo, s6
	s_and_saveexec_b32 s6, s87
	s_cbranch_execz .LBB298_85
.LBB298_136:                            ;   in Loop: Header=BB298_21 Depth=1
	v_add_nc_u64_e32 v[102:103], 0x400, v[100:101]
	v_add_nc_u64_e32 v[104:105], 0xc00, v[84:85]
	v_dual_mov_b32 v106, v98 :: v_dual_add_nc_u32 v107, 64, v99
	s_delay_alu instid0(VALU_DEP_1) | instskip(NEXT) | instid1(VALU_DEP_3)
	v_ashrrev_i64 v[108:109], 29, v[106:107]
	v_dual_cndmask_b32 v103, v105, v103 :: v_dual_cndmask_b32 v102, v104, v102
	v_ashrrev_i64 v[106:107], 28, v[106:107]
	global_load_b128 v[102:105], v[102:103], off
	v_add_nc_u64_e32 v[108:109], s[28:29], v[108:109]
	v_add_nc_u64_e32 v[106:107], s[24:25], v[106:107]
	global_store_b64 v[108:109], v[68:69], off
	s_wait_loadcnt 0x0
	global_store_b128 v[106:107], v[102:105], off
	s_wait_xcnt 0x0
	s_or_b32 exec_lo, exec_lo, s6
	s_and_saveexec_b32 s6, s88
	s_cbranch_execz .LBB298_86
.LBB298_137:                            ;   in Loop: Header=BB298_21 Depth=1
	v_add_nc_u64_e32 v[102:103], 0x600, v[100:101]
	v_add_nc_u64_e32 v[104:105], 0xc00, v[86:87]
	v_dual_mov_b32 v106, v98 :: v_dual_add_nc_u32 v107, 0x60, v99
	s_delay_alu instid0(VALU_DEP_1) | instskip(NEXT) | instid1(VALU_DEP_3)
	v_ashrrev_i64 v[108:109], 29, v[106:107]
	v_dual_cndmask_b32 v103, v105, v103 :: v_dual_cndmask_b32 v102, v104, v102
	v_ashrrev_i64 v[106:107], 28, v[106:107]
	global_load_b128 v[102:105], v[102:103], off
	v_add_nc_u64_e32 v[108:109], s[28:29], v[108:109]
	v_add_nc_u64_e32 v[106:107], s[24:25], v[106:107]
	global_store_b64 v[108:109], v[70:71], off
	s_wait_loadcnt 0x0
	global_store_b128 v[106:107], v[102:105], off
	s_wait_xcnt 0x0
	s_or_b32 exec_lo, exec_lo, s6
	s_and_saveexec_b32 s6, s89
	s_cbranch_execz .LBB298_87
.LBB298_138:                            ;   in Loop: Header=BB298_21 Depth=1
	v_add_nc_u64_e32 v[102:103], 0x800, v[100:101]
	v_add_nc_u64_e32 v[104:105], 0xc00, v[88:89]
	v_dual_mov_b32 v106, v98 :: v_dual_add_nc_u32 v107, 0x80, v99
	s_delay_alu instid0(VALU_DEP_1) | instskip(NEXT) | instid1(VALU_DEP_3)
	v_ashrrev_i64 v[108:109], 29, v[106:107]
	v_dual_cndmask_b32 v103, v105, v103 :: v_dual_cndmask_b32 v102, v104, v102
	v_ashrrev_i64 v[106:107], 28, v[106:107]
	global_load_b128 v[102:105], v[102:103], off
	v_add_nc_u64_e32 v[108:109], s[28:29], v[108:109]
	v_add_nc_u64_e32 v[106:107], s[24:25], v[106:107]
	global_store_b64 v[108:109], v[72:73], off
	s_wait_loadcnt 0x0
	global_store_b128 v[106:107], v[102:105], off
	s_wait_xcnt 0x0
	s_or_b32 exec_lo, exec_lo, s6
	s_and_saveexec_b32 s6, s90
	s_cbranch_execz .LBB298_88
.LBB298_139:                            ;   in Loop: Header=BB298_21 Depth=1
	v_add_nc_u64_e32 v[102:103], 0xa00, v[100:101]
	v_add_nc_u64_e32 v[104:105], 0xc00, v[92:93]
	v_dual_mov_b32 v106, v98 :: v_dual_add_nc_u32 v107, 0xa0, v99
	s_delay_alu instid0(VALU_DEP_1) | instskip(NEXT) | instid1(VALU_DEP_3)
	v_ashrrev_i64 v[108:109], 29, v[106:107]
	v_dual_cndmask_b32 v103, v105, v103 :: v_dual_cndmask_b32 v102, v104, v102
	v_ashrrev_i64 v[106:107], 28, v[106:107]
	global_load_b128 v[102:105], v[102:103], off
	v_add_nc_u64_e32 v[108:109], s[28:29], v[108:109]
	v_add_nc_u64_e32 v[106:107], s[24:25], v[106:107]
	global_store_b64 v[108:109], v[74:75], off
	s_wait_loadcnt 0x0
	global_store_b128 v[106:107], v[102:105], off
	s_wait_xcnt 0x0
	s_or_b32 exec_lo, exec_lo, s6
	s_and_saveexec_b32 s6, s91
	s_cbranch_execz .LBB298_89
.LBB298_140:                            ;   in Loop: Header=BB298_21 Depth=1
	v_add_nc_u64_e32 v[102:103], 0xc00, v[100:101]
	v_add_nc_u64_e32 v[104:105], 0xc00, v[94:95]
	v_dual_mov_b32 v106, v98 :: v_dual_add_nc_u32 v107, 0xc0, v99
	s_delay_alu instid0(VALU_DEP_1) | instskip(NEXT) | instid1(VALU_DEP_3)
	v_ashrrev_i64 v[108:109], 29, v[106:107]
	v_dual_cndmask_b32 v103, v105, v103 :: v_dual_cndmask_b32 v102, v104, v102
	v_ashrrev_i64 v[106:107], 28, v[106:107]
	global_load_b128 v[102:105], v[102:103], off
	v_add_nc_u64_e32 v[108:109], s[28:29], v[108:109]
	v_add_nc_u64_e32 v[106:107], s[24:25], v[106:107]
	global_store_b64 v[108:109], v[78:79], off
	s_wait_loadcnt 0x0
	global_store_b128 v[106:107], v[102:105], off
	s_wait_xcnt 0x0
	s_or_b32 exec_lo, exec_lo, s6
	s_and_saveexec_b32 s6, s8
	s_cbranch_execnz .LBB298_90
	s_branch .LBB298_91
.LBB298_141:                            ;   in Loop: Header=BB298_21 Depth=1
	v_add_nc_u64_e32 v[90:91], 0xe00, v[90:91]
	s_delay_alu instid0(VALU_DEP_3) | instskip(NEXT) | instid1(VALU_DEP_2)
	v_ashrrev_i64 v[106:107], 28, v[98:99]
	v_dual_cndmask_b32 v91, v91, v101 :: v_dual_cndmask_b32 v90, v90, v100
	s_delay_alu instid0(VALU_DEP_2) | instskip(SKIP_3) | instid1(VALU_DEP_1)
	v_add_nc_u64_e32 v[106:107], s[24:25], v[106:107]
	global_load_b128 v[102:105], v[90:91], off
	s_wait_xcnt 0x0
	v_ashrrev_i64 v[90:91], 29, v[98:99]
	v_add_nc_u64_e32 v[90:91], s[28:29], v[90:91]
	global_store_b64 v[90:91], v[76:77], off
	s_wait_loadcnt 0x0
	global_store_b128 v[106:107], v[102:105], off
	s_wait_xcnt 0x0
	s_or_b32 exec_lo, exec_lo, s6
	s_and_saveexec_b32 s6, s93
	s_cbranch_execz .LBB298_93
.LBB298_142:                            ;   in Loop: Header=BB298_21 Depth=1
	s_delay_alu instid0(VALU_DEP_1) | instskip(SKIP_1) | instid1(VALU_DEP_1)
	v_add_nc_u64_e32 v[76:77], 0x200, v[100:101]
	v_add_nc_u64_e32 v[82:83], 0xe00, v[82:83]
	v_dual_cndmask_b32 v77, v83, v77 :: v_dual_cndmask_b32 v76, v82, v76
	global_load_b128 v[102:105], v[76:77], off
	s_wait_xcnt 0x0
	v_dual_mov_b32 v76, v98 :: v_dual_add_nc_u32 v77, 32, v99
	s_delay_alu instid0(VALU_DEP_1) | instskip(SKIP_1) | instid1(VALU_DEP_2)
	v_ashrrev_i64 v[82:83], 29, v[76:77]
	v_ashrrev_i64 v[76:77], 28, v[76:77]
	v_add_nc_u64_e32 v[82:83], s[28:29], v[82:83]
	s_delay_alu instid0(VALU_DEP_2)
	v_add_nc_u64_e32 v[76:77], s[24:25], v[76:77]
	global_store_b64 v[82:83], v[66:67], off
	s_wait_loadcnt 0x0
	global_store_b128 v[76:77], v[102:105], off
	s_wait_xcnt 0x0
	s_or_b32 exec_lo, exec_lo, s6
	s_and_saveexec_b32 s6, s10
	s_cbranch_execz .LBB298_94
.LBB298_143:                            ;   in Loop: Header=BB298_21 Depth=1
	v_add_nc_u64_e32 v[66:67], 0x400, v[100:101]
	v_add_nc_u64_e32 v[76:77], 0xe00, v[84:85]
	s_delay_alu instid0(VALU_DEP_1) | instskip(SKIP_3) | instid1(VALU_DEP_1)
	v_dual_cndmask_b32 v67, v77, v67 :: v_dual_cndmask_b32 v66, v76, v66
	global_load_b128 v[82:85], v[66:67], off
	s_wait_xcnt 0x0
	v_dual_mov_b32 v66, v98 :: v_dual_add_nc_u32 v67, 64, v99
	v_ashrrev_i64 v[76:77], 29, v[66:67]
	v_ashrrev_i64 v[66:67], 28, v[66:67]
	s_delay_alu instid0(VALU_DEP_2) | instskip(NEXT) | instid1(VALU_DEP_2)
	v_add_nc_u64_e32 v[76:77], s[28:29], v[76:77]
	v_add_nc_u64_e32 v[66:67], s[24:25], v[66:67]
	global_store_b64 v[76:77], v[68:69], off
	s_wait_loadcnt 0x0
	global_store_b128 v[66:67], v[82:85], off
	s_wait_xcnt 0x0
	s_or_b32 exec_lo, exec_lo, s6
	s_and_saveexec_b32 s6, s11
	s_cbranch_execz .LBB298_95
.LBB298_144:                            ;   in Loop: Header=BB298_21 Depth=1
	v_add_nc_u64_e32 v[66:67], 0x600, v[100:101]
	v_add_nc_u64_e32 v[68:69], 0xe00, v[86:87]
	v_dual_mov_b32 v76, v98 :: v_dual_add_nc_u32 v77, 0x60, v99
	s_delay_alu instid0(VALU_DEP_1) | instskip(NEXT) | instid1(VALU_DEP_3)
	v_ashrrev_i64 v[82:83], 29, v[76:77]
	v_dual_cndmask_b32 v67, v69, v67 :: v_dual_cndmask_b32 v66, v68, v66
	v_ashrrev_i64 v[76:77], 28, v[76:77]
	global_load_b128 v[66:69], v[66:67], off
	v_add_nc_u64_e32 v[82:83], s[28:29], v[82:83]
	v_add_nc_u64_e32 v[76:77], s[24:25], v[76:77]
	global_store_b64 v[82:83], v[70:71], off
	s_wait_loadcnt 0x0
	global_store_b128 v[76:77], v[66:69], off
	s_wait_xcnt 0x0
	s_or_b32 exec_lo, exec_lo, s6
	s_and_saveexec_b32 s6, s12
	s_cbranch_execz .LBB298_96
.LBB298_145:                            ;   in Loop: Header=BB298_21 Depth=1
	v_add_nc_u64_e32 v[66:67], 0x800, v[100:101]
	v_add_nc_u64_e32 v[68:69], 0xe00, v[88:89]
	v_dual_mov_b32 v70, v98 :: v_dual_add_nc_u32 v71, 0x80, v99
	s_delay_alu instid0(VALU_DEP_1) | instskip(NEXT) | instid1(VALU_DEP_3)
	v_ashrrev_i64 v[76:77], 29, v[70:71]
	v_dual_cndmask_b32 v67, v69, v67 :: v_dual_cndmask_b32 v66, v68, v66
	v_ashrrev_i64 v[70:71], 28, v[70:71]
	global_load_b128 v[66:69], v[66:67], off
	v_add_nc_u64_e32 v[76:77], s[28:29], v[76:77]
	v_add_nc_u64_e32 v[70:71], s[24:25], v[70:71]
	global_store_b64 v[76:77], v[72:73], off
	s_wait_loadcnt 0x0
	global_store_b128 v[70:71], v[66:69], off
	s_wait_xcnt 0x0
	s_or_b32 exec_lo, exec_lo, s6
	s_and_saveexec_b32 s6, s13
	s_cbranch_execz .LBB298_97
.LBB298_146:                            ;   in Loop: Header=BB298_21 Depth=1
	v_add_nc_u64_e32 v[66:67], 0xa00, v[100:101]
	v_add_nc_u64_e32 v[68:69], 0xe00, v[92:93]
	v_dual_mov_b32 v70, v98 :: v_dual_add_nc_u32 v71, 0xa0, v99
	s_delay_alu instid0(VALU_DEP_1) | instskip(NEXT) | instid1(VALU_DEP_3)
	v_ashrrev_i64 v[72:73], 29, v[70:71]
	v_dual_cndmask_b32 v67, v69, v67 :: v_dual_cndmask_b32 v66, v68, v66
	v_ashrrev_i64 v[70:71], 28, v[70:71]
	global_load_b128 v[66:69], v[66:67], off
	v_add_nc_u64_e32 v[72:73], s[28:29], v[72:73]
	v_add_nc_u64_e32 v[70:71], s[24:25], v[70:71]
	global_store_b64 v[72:73], v[74:75], off
	s_wait_loadcnt 0x0
	global_store_b128 v[70:71], v[66:69], off
	s_wait_xcnt 0x0
	s_or_b32 exec_lo, exec_lo, s6
	s_and_saveexec_b32 s6, s14
	s_cbranch_execz .LBB298_98
.LBB298_147:                            ;   in Loop: Header=BB298_21 Depth=1
	v_add_nc_u64_e32 v[66:67], 0xc00, v[100:101]
	v_add_nc_u64_e32 v[68:69], 0xe00, v[94:95]
	v_dual_mov_b32 v70, v98 :: v_dual_add_nc_u32 v71, 0xc0, v99
	s_delay_alu instid0(VALU_DEP_1) | instskip(NEXT) | instid1(VALU_DEP_3)
	v_ashrrev_i64 v[72:73], 29, v[70:71]
	v_dual_cndmask_b32 v67, v69, v67 :: v_dual_cndmask_b32 v66, v68, v66
	v_ashrrev_i64 v[70:71], 28, v[70:71]
	global_load_b128 v[66:69], v[66:67], off
	v_add_nc_u64_e32 v[72:73], s[28:29], v[72:73]
	v_add_nc_u64_e32 v[70:71], s[24:25], v[70:71]
	global_store_b64 v[72:73], v[78:79], off
	s_wait_loadcnt 0x0
	global_store_b128 v[70:71], v[66:69], off
	s_wait_xcnt 0x0
	s_or_b32 exec_lo, exec_lo, s6
	s_and_saveexec_b32 s6, s9
	s_cbranch_execz .LBB298_20
.LBB298_148:                            ;   in Loop: Header=BB298_21 Depth=1
	v_add_nc_u64_e32 v[66:67], 0xe00, v[100:101]
	v_add_nc_u64_e32 v[68:69], 0xe00, v[96:97]
	v_add_nc_u32_e32 v99, 0xe0, v99
	s_delay_alu instid0(VALU_DEP_1) | instskip(NEXT) | instid1(VALU_DEP_3)
	v_ashrrev_i64 v[70:71], 29, v[98:99]
	v_dual_cndmask_b32 v67, v69, v67 :: v_dual_cndmask_b32 v66, v68, v66
	v_ashrrev_i64 v[72:73], 28, v[98:99]
	global_load_b128 v[66:69], v[66:67], off
	v_add_nc_u64_e32 v[70:71], s[28:29], v[70:71]
	v_add_nc_u64_e32 v[72:73], s[24:25], v[72:73]
	global_store_b64 v[70:71], v[80:81], off
	s_wait_loadcnt 0x0
	global_store_b128 v[72:73], v[66:69], off
	s_branch .LBB298_20
.LBB298_149:
	s_sendmsg sendmsg(MSG_DEALLOC_VGPRS)
	s_endpgm
	.section	.rodata,"a",@progbits
	.p2align	6, 0x0
	.amdhsa_kernel _ZN9rocsparseL35bsr2csr_block_per_row_33_256_kernelILj1024ELj256ELj32E21rocsparse_complex_numIdEilEEv20rocsparse_direction_T4_S4_21rocsparse_index_base_PKT2_PKT3_PKS4_S4_S5_PS6_PS9_PS4_
		.amdhsa_group_segment_fixed_size 0
		.amdhsa_private_segment_fixed_size 0
		.amdhsa_kernarg_size 96
		.amdhsa_user_sgpr_count 2
		.amdhsa_user_sgpr_dispatch_ptr 0
		.amdhsa_user_sgpr_queue_ptr 0
		.amdhsa_user_sgpr_kernarg_segment_ptr 1
		.amdhsa_user_sgpr_dispatch_id 0
		.amdhsa_user_sgpr_kernarg_preload_length 0
		.amdhsa_user_sgpr_kernarg_preload_offset 0
		.amdhsa_user_sgpr_private_segment_size 0
		.amdhsa_wavefront_size32 1
		.amdhsa_uses_dynamic_stack 0
		.amdhsa_enable_private_segment 0
		.amdhsa_system_sgpr_workgroup_id_x 1
		.amdhsa_system_sgpr_workgroup_id_y 0
		.amdhsa_system_sgpr_workgroup_id_z 0
		.amdhsa_system_sgpr_workgroup_info 0
		.amdhsa_system_vgpr_workitem_id 0
		.amdhsa_next_free_vgpr 110
		.amdhsa_next_free_sgpr 95
		.amdhsa_named_barrier_count 0
		.amdhsa_reserve_vcc 1
		.amdhsa_float_round_mode_32 0
		.amdhsa_float_round_mode_16_64 0
		.amdhsa_float_denorm_mode_32 3
		.amdhsa_float_denorm_mode_16_64 3
		.amdhsa_fp16_overflow 0
		.amdhsa_memory_ordered 1
		.amdhsa_forward_progress 1
		.amdhsa_inst_pref_size 81
		.amdhsa_round_robin_scheduling 0
		.amdhsa_exception_fp_ieee_invalid_op 0
		.amdhsa_exception_fp_denorm_src 0
		.amdhsa_exception_fp_ieee_div_zero 0
		.amdhsa_exception_fp_ieee_overflow 0
		.amdhsa_exception_fp_ieee_underflow 0
		.amdhsa_exception_fp_ieee_inexact 0
		.amdhsa_exception_int_div_zero 0
	.end_amdhsa_kernel
	.section	.text._ZN9rocsparseL35bsr2csr_block_per_row_33_256_kernelILj1024ELj256ELj32E21rocsparse_complex_numIdEilEEv20rocsparse_direction_T4_S4_21rocsparse_index_base_PKT2_PKT3_PKS4_S4_S5_PS6_PS9_PS4_,"axG",@progbits,_ZN9rocsparseL35bsr2csr_block_per_row_33_256_kernelILj1024ELj256ELj32E21rocsparse_complex_numIdEilEEv20rocsparse_direction_T4_S4_21rocsparse_index_base_PKT2_PKT3_PKS4_S4_S5_PS6_PS9_PS4_,comdat
.Lfunc_end298:
	.size	_ZN9rocsparseL35bsr2csr_block_per_row_33_256_kernelILj1024ELj256ELj32E21rocsparse_complex_numIdEilEEv20rocsparse_direction_T4_S4_21rocsparse_index_base_PKT2_PKT3_PKS4_S4_S5_PS6_PS9_PS4_, .Lfunc_end298-_ZN9rocsparseL35bsr2csr_block_per_row_33_256_kernelILj1024ELj256ELj32E21rocsparse_complex_numIdEilEEv20rocsparse_direction_T4_S4_21rocsparse_index_base_PKT2_PKT3_PKS4_S4_S5_PS6_PS9_PS4_
                                        ; -- End function
	.set _ZN9rocsparseL35bsr2csr_block_per_row_33_256_kernelILj1024ELj256ELj32E21rocsparse_complex_numIdEilEEv20rocsparse_direction_T4_S4_21rocsparse_index_base_PKT2_PKT3_PKS4_S4_S5_PS6_PS9_PS4_.num_vgpr, 110
	.set _ZN9rocsparseL35bsr2csr_block_per_row_33_256_kernelILj1024ELj256ELj32E21rocsparse_complex_numIdEilEEv20rocsparse_direction_T4_S4_21rocsparse_index_base_PKT2_PKT3_PKS4_S4_S5_PS6_PS9_PS4_.num_agpr, 0
	.set _ZN9rocsparseL35bsr2csr_block_per_row_33_256_kernelILj1024ELj256ELj32E21rocsparse_complex_numIdEilEEv20rocsparse_direction_T4_S4_21rocsparse_index_base_PKT2_PKT3_PKS4_S4_S5_PS6_PS9_PS4_.numbered_sgpr, 95
	.set _ZN9rocsparseL35bsr2csr_block_per_row_33_256_kernelILj1024ELj256ELj32E21rocsparse_complex_numIdEilEEv20rocsparse_direction_T4_S4_21rocsparse_index_base_PKT2_PKT3_PKS4_S4_S5_PS6_PS9_PS4_.num_named_barrier, 0
	.set _ZN9rocsparseL35bsr2csr_block_per_row_33_256_kernelILj1024ELj256ELj32E21rocsparse_complex_numIdEilEEv20rocsparse_direction_T4_S4_21rocsparse_index_base_PKT2_PKT3_PKS4_S4_S5_PS6_PS9_PS4_.private_seg_size, 0
	.set _ZN9rocsparseL35bsr2csr_block_per_row_33_256_kernelILj1024ELj256ELj32E21rocsparse_complex_numIdEilEEv20rocsparse_direction_T4_S4_21rocsparse_index_base_PKT2_PKT3_PKS4_S4_S5_PS6_PS9_PS4_.uses_vcc, 1
	.set _ZN9rocsparseL35bsr2csr_block_per_row_33_256_kernelILj1024ELj256ELj32E21rocsparse_complex_numIdEilEEv20rocsparse_direction_T4_S4_21rocsparse_index_base_PKT2_PKT3_PKS4_S4_S5_PS6_PS9_PS4_.uses_flat_scratch, 0
	.set _ZN9rocsparseL35bsr2csr_block_per_row_33_256_kernelILj1024ELj256ELj32E21rocsparse_complex_numIdEilEEv20rocsparse_direction_T4_S4_21rocsparse_index_base_PKT2_PKT3_PKS4_S4_S5_PS6_PS9_PS4_.has_dyn_sized_stack, 0
	.set _ZN9rocsparseL35bsr2csr_block_per_row_33_256_kernelILj1024ELj256ELj32E21rocsparse_complex_numIdEilEEv20rocsparse_direction_T4_S4_21rocsparse_index_base_PKT2_PKT3_PKS4_S4_S5_PS6_PS9_PS4_.has_recursion, 0
	.set _ZN9rocsparseL35bsr2csr_block_per_row_33_256_kernelILj1024ELj256ELj32E21rocsparse_complex_numIdEilEEv20rocsparse_direction_T4_S4_21rocsparse_index_base_PKT2_PKT3_PKS4_S4_S5_PS6_PS9_PS4_.has_indirect_call, 0
	.section	.AMDGPU.csdata,"",@progbits
; Kernel info:
; codeLenInByte = 10280
; TotalNumSgprs: 97
; NumVgprs: 110
; ScratchSize: 0
; MemoryBound: 0
; FloatMode: 240
; IeeeMode: 1
; LDSByteSize: 0 bytes/workgroup (compile time only)
; SGPRBlocks: 0
; VGPRBlocks: 6
; NumSGPRsForWavesPerEU: 97
; NumVGPRsForWavesPerEU: 110
; NamedBarCnt: 0
; Occupancy: 9
; WaveLimiterHint : 0
; COMPUTE_PGM_RSRC2:SCRATCH_EN: 0
; COMPUTE_PGM_RSRC2:USER_SGPR: 2
; COMPUTE_PGM_RSRC2:TRAP_HANDLER: 0
; COMPUTE_PGM_RSRC2:TGID_X_EN: 1
; COMPUTE_PGM_RSRC2:TGID_Y_EN: 0
; COMPUTE_PGM_RSRC2:TGID_Z_EN: 0
; COMPUTE_PGM_RSRC2:TIDIG_COMP_CNT: 0
	.section	.text._ZN9rocsparseL35bsr2csr_block_dim_equals_one_kernelILj1024E21rocsparse_complex_numIdEllEEvT2_S3_21rocsparse_index_base_PKT0_PKT1_PKS3_S4_PS5_PS8_PS3_,"axG",@progbits,_ZN9rocsparseL35bsr2csr_block_dim_equals_one_kernelILj1024E21rocsparse_complex_numIdEllEEvT2_S3_21rocsparse_index_base_PKT0_PKT1_PKS3_S4_PS5_PS8_PS3_,comdat
	.globl	_ZN9rocsparseL35bsr2csr_block_dim_equals_one_kernelILj1024E21rocsparse_complex_numIdEllEEvT2_S3_21rocsparse_index_base_PKT0_PKT1_PKS3_S4_PS5_PS8_PS3_ ; -- Begin function _ZN9rocsparseL35bsr2csr_block_dim_equals_one_kernelILj1024E21rocsparse_complex_numIdEllEEvT2_S3_21rocsparse_index_base_PKT0_PKT1_PKS3_S4_PS5_PS8_PS3_
	.p2align	8
	.type	_ZN9rocsparseL35bsr2csr_block_dim_equals_one_kernelILj1024E21rocsparse_complex_numIdEllEEvT2_S3_21rocsparse_index_base_PKT0_PKT1_PKS3_S4_PS5_PS8_PS3_,@function
_ZN9rocsparseL35bsr2csr_block_dim_equals_one_kernelILj1024E21rocsparse_complex_numIdEllEEvT2_S3_21rocsparse_index_base_PKT0_PKT1_PKS3_S4_PS5_PS8_PS3_: ; @_ZN9rocsparseL35bsr2csr_block_dim_equals_one_kernelILj1024E21rocsparse_complex_numIdEllEEvT2_S3_21rocsparse_index_base_PKT0_PKT1_PKS3_S4_PS5_PS8_PS3_
; %bb.0:
	s_clause 0x3
	s_load_b32 s2, s[0:1], 0x10
	s_load_b64 s[8:9], s[0:1], 0x20
	s_load_b32 s4, s[0:1], 0x30
	s_load_b64 s[6:7], s[0:1], 0x0
	s_bfe_u32 s3, ttmp6, 0x4000c
	s_and_b32 s5, ttmp6, 15
	s_add_co_i32 s3, s3, 1
	s_getreg_b32 s10, hwreg(HW_REG_IB_STS2, 6, 4)
	s_mul_i32 s3, ttmp9, s3
	v_mov_b32_e32 v1, 0
	s_add_co_i32 s5, s5, s3
	s_cmp_eq_u32 s10, 0
	s_mov_b32 s14, exec_lo
	s_cselect_b32 s3, ttmp9, s5
	s_delay_alu instid0(SALU_CYCLE_1) | instskip(SKIP_1) | instid1(VALU_DEP_1)
	v_lshl_or_b32 v0, s3, 10, v0
	s_wait_kmcnt 0x0
	v_cmpx_gt_i64_e64 s[6:7], v[0:1]
	s_cbranch_execz .LBB299_6
; %bb.1:
                                        ; implicit-def: $sgpr12_sgpr13
	s_mov_b32 s3, exec_lo
	v_cmpx_ne_u32_e32 0, v0
	s_xor_b32 s10, exec_lo, s3
; %bb.2:
	s_mov_b32 s3, 0
	s_delay_alu instid0(SALU_CYCLE_1) | instskip(NEXT) | instid1(SALU_CYCLE_1)
	s_mov_b32 s5, s3
	s_sub_nc_u64 s[12:13], s[4:5], s[2:3]
; %bb.3:
	s_or_saveexec_b32 s15, s10
	s_load_b64 s[10:11], s[0:1], 0x40
	v_mov_b64_e32 v[2:3], s[12:13]
	s_xor_b32 exec_lo, exec_lo, s15
	s_cbranch_execz .LBB299_5
; %bb.4:
	s_load_b64 s[12:13], s[8:9], 0x0
	s_mov_b32 s5, 0
	v_mov_b32_e32 v6, 0
	s_mov_b32 s3, s5
	s_delay_alu instid0(SALU_CYCLE_1) | instskip(NEXT) | instid1(SALU_CYCLE_1)
	s_sub_nc_u64 s[16:17], s[4:5], s[2:3]
	v_mov_b64_e32 v[2:3], s[16:17]
	s_wait_kmcnt 0x0
	s_add_nc_u64 s[12:13], s[16:17], s[12:13]
	s_delay_alu instid0(SALU_CYCLE_1)
	v_mov_b64_e32 v[4:5], s[12:13]
	global_store_b64 v6, v[4:5], s[10:11]
.LBB299_5:
	s_wait_xcnt 0x0
	s_or_b32 exec_lo, exec_lo, s15
	v_lshlrev_b64_e32 v[4:5], 3, v[0:1]
	s_delay_alu instid0(VALU_DEP_1)
	v_add_nc_u64_e32 v[6:7], s[8:9], v[4:5]
	s_wait_kmcnt 0x0
	v_add_nc_u64_e32 v[4:5], s[10:11], v[4:5]
	global_load_b64 v[6:7], v[6:7], off offset:8
	s_wait_loadcnt 0x0
	v_add_nc_u64_e32 v[2:3], v[2:3], v[6:7]
	global_store_b64 v[4:5], v[2:3], off offset:8
.LBB299_6:
	s_wait_xcnt 0x0
	s_or_b32 exec_lo, exec_lo, s14
	s_lshl_b64 s[6:7], s[6:7], 3
	s_clause 0x3
	s_load_b64 s[10:11], s[0:1], 0x48
	s_load_b64 s[12:13], s[0:1], 0x18
	;; [unrolled: 1-line block ×4, first 2 shown]
	s_add_nc_u64 s[6:7], s[8:9], s[6:7]
	s_mov_b32 s3, exec_lo
	s_clause 0x1
	s_load_b64 s[18:19], s[6:7], 0x0
	s_load_b64 s[20:21], s[8:9], 0x0
	s_wait_kmcnt 0x0
	s_sub_nc_u64 s[6:7], s[18:19], s[20:21]
	s_delay_alu instid0(SALU_CYCLE_1)
	v_cmpx_gt_i64_e64 s[6:7], v[0:1]
	s_cbranch_execz .LBB299_9
; %bb.7:
	s_load_b32 s8, s[0:1], 0x50
	s_mov_b32 s3, 0
	v_lshlrev_b64_e32 v[2:3], 4, v[0:1]
	v_lshlrev_b64_e32 v[4:5], 3, v[0:1]
	s_mov_b32 s5, s3
	s_mov_b32 s18, s3
	s_wait_xcnt 0x0
	s_sub_nc_u64 s[0:1], s[4:5], s[2:3]
	s_wait_kmcnt 0x0
	s_lshl_b32 s2, s8, 10
	s_delay_alu instid0(SALU_CYCLE_1)
	s_lshl_b64 s[4:5], s[2:3], 4
	s_lshl_b64 s[8:9], s[2:3], 3
.LBB299_8:                              ; =>This Inner Loop Header: Depth=1
	v_add_nc_u64_e32 v[10:11], s[14:15], v[4:5]
	v_add_nc_u64_e32 v[12:13], s[12:13], v[2:3]
	;; [unrolled: 1-line block ×3, first 2 shown]
	global_load_b64 v[14:15], v[10:11], off
	global_load_b128 v[6:9], v[12:13], off
	s_wait_xcnt 0x1
	v_add_nc_u64_e32 v[10:11], s[10:11], v[4:5]
	v_cmp_le_i64_e32 vcc_lo, s[6:7], v[0:1]
	s_wait_xcnt 0x0
	v_add_nc_u64_e32 v[12:13], s[16:17], v[2:3]
	v_add_nc_u64_e32 v[2:3], s[4:5], v[2:3]
	;; [unrolled: 1-line block ×3, first 2 shown]
	s_or_b32 s18, vcc_lo, s18
	s_wait_loadcnt 0x1
	v_add_nc_u64_e32 v[14:15], s[0:1], v[14:15]
	s_wait_loadcnt 0x0
	global_store_b128 v[12:13], v[6:9], off
	global_store_b64 v[10:11], v[14:15], off
	s_wait_xcnt 0x0
	s_and_not1_b32 exec_lo, exec_lo, s18
	s_cbranch_execnz .LBB299_8
.LBB299_9:
	s_endpgm
	.section	.rodata,"a",@progbits
	.p2align	6, 0x0
	.amdhsa_kernel _ZN9rocsparseL35bsr2csr_block_dim_equals_one_kernelILj1024E21rocsparse_complex_numIdEllEEvT2_S3_21rocsparse_index_base_PKT0_PKT1_PKS3_S4_PS5_PS8_PS3_
		.amdhsa_group_segment_fixed_size 0
		.amdhsa_private_segment_fixed_size 0
		.amdhsa_kernarg_size 336
		.amdhsa_user_sgpr_count 2
		.amdhsa_user_sgpr_dispatch_ptr 0
		.amdhsa_user_sgpr_queue_ptr 0
		.amdhsa_user_sgpr_kernarg_segment_ptr 1
		.amdhsa_user_sgpr_dispatch_id 0
		.amdhsa_user_sgpr_kernarg_preload_length 0
		.amdhsa_user_sgpr_kernarg_preload_offset 0
		.amdhsa_user_sgpr_private_segment_size 0
		.amdhsa_wavefront_size32 1
		.amdhsa_uses_dynamic_stack 0
		.amdhsa_enable_private_segment 0
		.amdhsa_system_sgpr_workgroup_id_x 1
		.amdhsa_system_sgpr_workgroup_id_y 0
		.amdhsa_system_sgpr_workgroup_id_z 0
		.amdhsa_system_sgpr_workgroup_info 0
		.amdhsa_system_vgpr_workitem_id 0
		.amdhsa_next_free_vgpr 16
		.amdhsa_next_free_sgpr 22
		.amdhsa_named_barrier_count 0
		.amdhsa_reserve_vcc 1
		.amdhsa_float_round_mode_32 0
		.amdhsa_float_round_mode_16_64 0
		.amdhsa_float_denorm_mode_32 3
		.amdhsa_float_denorm_mode_16_64 3
		.amdhsa_fp16_overflow 0
		.amdhsa_memory_ordered 1
		.amdhsa_forward_progress 1
		.amdhsa_inst_pref_size 5
		.amdhsa_round_robin_scheduling 0
		.amdhsa_exception_fp_ieee_invalid_op 0
		.amdhsa_exception_fp_denorm_src 0
		.amdhsa_exception_fp_ieee_div_zero 0
		.amdhsa_exception_fp_ieee_overflow 0
		.amdhsa_exception_fp_ieee_underflow 0
		.amdhsa_exception_fp_ieee_inexact 0
		.amdhsa_exception_int_div_zero 0
	.end_amdhsa_kernel
	.section	.text._ZN9rocsparseL35bsr2csr_block_dim_equals_one_kernelILj1024E21rocsparse_complex_numIdEllEEvT2_S3_21rocsparse_index_base_PKT0_PKT1_PKS3_S4_PS5_PS8_PS3_,"axG",@progbits,_ZN9rocsparseL35bsr2csr_block_dim_equals_one_kernelILj1024E21rocsparse_complex_numIdEllEEvT2_S3_21rocsparse_index_base_PKT0_PKT1_PKS3_S4_PS5_PS8_PS3_,comdat
.Lfunc_end299:
	.size	_ZN9rocsparseL35bsr2csr_block_dim_equals_one_kernelILj1024E21rocsparse_complex_numIdEllEEvT2_S3_21rocsparse_index_base_PKT0_PKT1_PKS3_S4_PS5_PS8_PS3_, .Lfunc_end299-_ZN9rocsparseL35bsr2csr_block_dim_equals_one_kernelILj1024E21rocsparse_complex_numIdEllEEvT2_S3_21rocsparse_index_base_PKT0_PKT1_PKS3_S4_PS5_PS8_PS3_
                                        ; -- End function
	.set _ZN9rocsparseL35bsr2csr_block_dim_equals_one_kernelILj1024E21rocsparse_complex_numIdEllEEvT2_S3_21rocsparse_index_base_PKT0_PKT1_PKS3_S4_PS5_PS8_PS3_.num_vgpr, 16
	.set _ZN9rocsparseL35bsr2csr_block_dim_equals_one_kernelILj1024E21rocsparse_complex_numIdEllEEvT2_S3_21rocsparse_index_base_PKT0_PKT1_PKS3_S4_PS5_PS8_PS3_.num_agpr, 0
	.set _ZN9rocsparseL35bsr2csr_block_dim_equals_one_kernelILj1024E21rocsparse_complex_numIdEllEEvT2_S3_21rocsparse_index_base_PKT0_PKT1_PKS3_S4_PS5_PS8_PS3_.numbered_sgpr, 22
	.set _ZN9rocsparseL35bsr2csr_block_dim_equals_one_kernelILj1024E21rocsparse_complex_numIdEllEEvT2_S3_21rocsparse_index_base_PKT0_PKT1_PKS3_S4_PS5_PS8_PS3_.num_named_barrier, 0
	.set _ZN9rocsparseL35bsr2csr_block_dim_equals_one_kernelILj1024E21rocsparse_complex_numIdEllEEvT2_S3_21rocsparse_index_base_PKT0_PKT1_PKS3_S4_PS5_PS8_PS3_.private_seg_size, 0
	.set _ZN9rocsparseL35bsr2csr_block_dim_equals_one_kernelILj1024E21rocsparse_complex_numIdEllEEvT2_S3_21rocsparse_index_base_PKT0_PKT1_PKS3_S4_PS5_PS8_PS3_.uses_vcc, 1
	.set _ZN9rocsparseL35bsr2csr_block_dim_equals_one_kernelILj1024E21rocsparse_complex_numIdEllEEvT2_S3_21rocsparse_index_base_PKT0_PKT1_PKS3_S4_PS5_PS8_PS3_.uses_flat_scratch, 0
	.set _ZN9rocsparseL35bsr2csr_block_dim_equals_one_kernelILj1024E21rocsparse_complex_numIdEllEEvT2_S3_21rocsparse_index_base_PKT0_PKT1_PKS3_S4_PS5_PS8_PS3_.has_dyn_sized_stack, 0
	.set _ZN9rocsparseL35bsr2csr_block_dim_equals_one_kernelILj1024E21rocsparse_complex_numIdEllEEvT2_S3_21rocsparse_index_base_PKT0_PKT1_PKS3_S4_PS5_PS8_PS3_.has_recursion, 0
	.set _ZN9rocsparseL35bsr2csr_block_dim_equals_one_kernelILj1024E21rocsparse_complex_numIdEllEEvT2_S3_21rocsparse_index_base_PKT0_PKT1_PKS3_S4_PS5_PS8_PS3_.has_indirect_call, 0
	.section	.AMDGPU.csdata,"",@progbits
; Kernel info:
; codeLenInByte = 556
; TotalNumSgprs: 24
; NumVgprs: 16
; ScratchSize: 0
; MemoryBound: 0
; FloatMode: 240
; IeeeMode: 1
; LDSByteSize: 0 bytes/workgroup (compile time only)
; SGPRBlocks: 0
; VGPRBlocks: 0
; NumSGPRsForWavesPerEU: 24
; NumVGPRsForWavesPerEU: 16
; NamedBarCnt: 0
; Occupancy: 16
; WaveLimiterHint : 0
; COMPUTE_PGM_RSRC2:SCRATCH_EN: 0
; COMPUTE_PGM_RSRC2:USER_SGPR: 2
; COMPUTE_PGM_RSRC2:TRAP_HANDLER: 0
; COMPUTE_PGM_RSRC2:TGID_X_EN: 1
; COMPUTE_PGM_RSRC2:TGID_Y_EN: 0
; COMPUTE_PGM_RSRC2:TGID_Z_EN: 0
; COMPUTE_PGM_RSRC2:TIDIG_COMP_CNT: 0
	.section	.text._ZN9rocsparseL32bsr2csr_block_per_row_2_7_kernelILj256ELj2E21rocsparse_complex_numIdEllEEv20rocsparse_direction_T3_S4_21rocsparse_index_base_PKT1_PKT2_PKS4_S4_S5_PS6_PS9_PS4_,"axG",@progbits,_ZN9rocsparseL32bsr2csr_block_per_row_2_7_kernelILj256ELj2E21rocsparse_complex_numIdEllEEv20rocsparse_direction_T3_S4_21rocsparse_index_base_PKT1_PKT2_PKS4_S4_S5_PS6_PS9_PS4_,comdat
	.globl	_ZN9rocsparseL32bsr2csr_block_per_row_2_7_kernelILj256ELj2E21rocsparse_complex_numIdEllEEv20rocsparse_direction_T3_S4_21rocsparse_index_base_PKT1_PKT2_PKS4_S4_S5_PS6_PS9_PS4_ ; -- Begin function _ZN9rocsparseL32bsr2csr_block_per_row_2_7_kernelILj256ELj2E21rocsparse_complex_numIdEllEEv20rocsparse_direction_T3_S4_21rocsparse_index_base_PKT1_PKT2_PKS4_S4_S5_PS6_PS9_PS4_
	.p2align	8
	.type	_ZN9rocsparseL32bsr2csr_block_per_row_2_7_kernelILj256ELj2E21rocsparse_complex_numIdEllEEv20rocsparse_direction_T3_S4_21rocsparse_index_base_PKT1_PKT2_PKS4_S4_S5_PS6_PS9_PS4_,@function
_ZN9rocsparseL32bsr2csr_block_per_row_2_7_kernelILj256ELj2E21rocsparse_complex_numIdEllEEv20rocsparse_direction_T3_S4_21rocsparse_index_base_PKT1_PKT2_PKS4_S4_S5_PS6_PS9_PS4_: ; @_ZN9rocsparseL32bsr2csr_block_per_row_2_7_kernelILj256ELj2E21rocsparse_complex_numIdEllEEv20rocsparse_direction_T3_S4_21rocsparse_index_base_PKT1_PKT2_PKS4_S4_S5_PS6_PS9_PS4_
; %bb.0:
	s_load_b64 s[4:5], s[0:1], 0x28
	s_bfe_u32 s2, ttmp6, 0x4000c
	s_and_b32 s3, ttmp6, 15
	s_add_co_i32 s2, s2, 1
	s_getreg_b32 s6, hwreg(HW_REG_IB_STS2, 6, 4)
	s_mul_i32 s2, ttmp9, s2
	s_clause 0x1
	s_load_b32 s8, s[0:1], 0x40
	s_load_b64 s[12:13], s[0:1], 0x50
	s_add_co_i32 s2, s3, s2
	s_cmp_eq_u32 s6, 0
	s_mov_b32 s3, 0
	s_cselect_b32 s10, ttmp9, s2
	s_mov_b32 s11, s3
	v_or_b32_e32 v1, s10, v0
	s_lshl_b64 s[6:7], s[10:11], 3
	s_mov_b32 s9, s3
	s_mov_b32 s2, exec_lo
	s_wait_kmcnt 0x0
	s_add_nc_u64 s[14:15], s[4:5], s[6:7]
	s_load_b128 s[4:7], s[14:15], 0x0
	v_cmpx_eq_u32_e32 0, v1
	s_cbranch_execz .LBB300_2
; %bb.1:
	v_mov_b64_e32 v[2:3], s[8:9]
	v_mov_b32_e32 v1, 0
	global_store_b64 v1, v[2:3], s[12:13]
.LBB300_2:
	s_wait_xcnt 0x0
	s_or_b32 exec_lo, exec_lo, s2
	s_load_b32 s2, s[0:1], 0x18
	v_dual_mov_b32 v3, 0 :: v_dual_bitop2_b32 v2, 1, v0 bitop3:0x40
	v_lshrrev_b32_e32 v6, 1, v0
	s_lshl_b64 s[10:11], s[10:11], 4
	s_delay_alu instid0(SALU_CYCLE_1) | instskip(NEXT) | instid1(VALU_DEP_2)
	s_add_nc_u64 s[10:11], s[12:13], s[10:11]
	v_mov_b32_e32 v7, v3
	s_wait_kmcnt 0x0
	s_sub_nc_u64 s[14:15], s[4:5], s[2:3]
	s_sub_nc_u64 s[6:7], s[6:7], s[2:3]
	s_delay_alu instid0(VALU_DEP_1) | instskip(SKIP_3) | instid1(SALU_CYCLE_1)
	v_add_nc_u64_e32 v[0:1], s[14:15], v[6:7]
	s_sub_nc_u64 s[16:17], s[6:7], s[14:15]
	s_lshl_b64 s[14:15], s[14:15], 2
	s_lshl_b64 s[16:17], s[16:17], 1
	v_mul_u64_e32 v[4:5], s[16:17], v[2:3]
	s_add_nc_u64 s[16:17], s[16:17], s[8:9]
	s_delay_alu instid0(SALU_CYCLE_1)
	s_add_nc_u64 s[14:15], s[16:17], s[14:15]
	s_delay_alu instid0(VALU_DEP_1) | instid1(SALU_CYCLE_1)
	v_add_nc_u64_e32 v[8:9], s[14:15], v[4:5]
	global_store_b64 v2, v[8:9], s[10:11] offset:8 scale_offset
	s_wait_xcnt 0x0
	s_mov_b32 s10, exec_lo
	v_cmpx_gt_i64_e64 s[6:7], v[0:1]
	s_cbranch_execz .LBB300_5
; %bb.3:
	s_clause 0x3
	s_load_b64 s[10:11], s[0:1], 0x30
	s_load_b64 s[12:13], s[0:1], 0x48
	s_load_b32 s16, s[0:1], 0x0
	s_load_b64 s[14:15], s[0:1], 0x58
	v_lshl_add_u64 v[4:5], s[4:5], 2, v[4:5]
	v_dual_mov_b32 v7, v3 :: v_dual_lshlrev_b32 v6, 1, v6
	s_wait_xcnt 0x0
	s_load_b64 s[0:1], s[0:1], 0x20
	s_delay_alu instid0(VALU_DEP_1)
	v_add_nc_u64_e32 v[4:5], v[4:5], v[6:7]
	v_lshlrev_b64_e32 v[6:7], 6, v[0:1]
	s_wait_kmcnt 0x0
	v_lshl_add_u64 v[12:13], v[0:1], 3, s[10:11]
	s_cmp_eq_u32 s16, 0
	s_cselect_b32 vcc_lo, -1, 0
	s_lshl_b64 s[4:5], s[2:3], 2
	s_delay_alu instid0(SALU_CYCLE_1) | instskip(SKIP_2) | instid1(VALU_DEP_2)
	v_sub_nc_u64_e64 v[4:5], v[4:5], s[4:5]
	v_add_nc_u64_e32 v[6:7], s[0:1], v[6:7]
	s_mov_b32 s1, 0
	v_lshl_add_u64 v[8:9], v[4:5], 3, s[14:15]
	v_lshl_add_u64 v[10:11], v[4:5], 4, s[12:13]
	v_dual_mov_b32 v5, v3 :: v_dual_lshlrev_b32 v4, 4, v2
	v_lshlrev_b32_e32 v2, 5, v2
	s_delay_alu instid0(VALU_DEP_4) | instskip(NEXT) | instid1(VALU_DEP_4)
	v_add_nc_u64_e32 v[8:9], 8, v[8:9]
	v_add_nc_u64_e32 v[10:11], 16, v[10:11]
.LBB300_4:                              ; =>This Inner Loop Header: Depth=1
	global_load_b64 v[22:23], v[12:13], off
	v_add_nc_u64_e32 v[14:15], v[6:7], v[2:3]
	v_add_nc_u64_e32 v[16:17], v[6:7], v[4:5]
	;; [unrolled: 1-line block ×3, first 2 shown]
	s_wait_xcnt 0x0
	v_add_nc_u64_e32 v[12:13], 0x400, v[12:13]
	v_add_nc_u64_e32 v[6:7], 0x2000, v[6:7]
	v_add_nc_u64_e32 v[18:19], 16, v[14:15]
	v_add_nc_u64_e32 v[20:21], 32, v[16:17]
	v_dual_cndmask_b32 v25, v17, v15 :: v_dual_cndmask_b32 v24, v16, v14
	v_cmp_le_i64_e64 s0, s[6:7], v[0:1]
	s_delay_alu instid0(VALU_DEP_3)
	v_dual_cndmask_b32 v27, v21, v19 :: v_dual_cndmask_b32 v26, v20, v18
	global_load_b128 v[14:17], v[24:25], off
	global_load_b128 v[18:21], v[26:27], off
	s_or_b32 s1, s0, s1
	s_wait_loadcnt 0x2
	v_sub_nc_u64_e64 v[22:23], v[22:23], s[2:3]
	s_delay_alu instid0(VALU_DEP_1) | instskip(SKIP_1) | instid1(VALU_DEP_1)
	v_lshl_add_u64 v[22:23], v[22:23], 1, s[8:9]
	s_wait_xcnt 0x1
	v_add_nc_u64_e32 v[24:25], 1, v[22:23]
	s_wait_loadcnt 0x1
	global_store_b128 v[10:11], v[14:17], off offset:-16
	global_store_b128 v[8:9], v[22:25], off offset:-8
	s_wait_loadcnt 0x0
	global_store_b128 v[10:11], v[18:21], off
	s_wait_xcnt 0x1
	v_add_nc_u64_e32 v[8:9], 0x800, v[8:9]
	s_wait_xcnt 0x0
	v_add_nc_u64_e32 v[10:11], 0x1000, v[10:11]
	s_and_not1_b32 exec_lo, exec_lo, s1
	s_cbranch_execnz .LBB300_4
.LBB300_5:
	s_endpgm
	.section	.rodata,"a",@progbits
	.p2align	6, 0x0
	.amdhsa_kernel _ZN9rocsparseL32bsr2csr_block_per_row_2_7_kernelILj256ELj2E21rocsparse_complex_numIdEllEEv20rocsparse_direction_T3_S4_21rocsparse_index_base_PKT1_PKT2_PKS4_S4_S5_PS6_PS9_PS4_
		.amdhsa_group_segment_fixed_size 0
		.amdhsa_private_segment_fixed_size 0
		.amdhsa_kernarg_size 96
		.amdhsa_user_sgpr_count 2
		.amdhsa_user_sgpr_dispatch_ptr 0
		.amdhsa_user_sgpr_queue_ptr 0
		.amdhsa_user_sgpr_kernarg_segment_ptr 1
		.amdhsa_user_sgpr_dispatch_id 0
		.amdhsa_user_sgpr_kernarg_preload_length 0
		.amdhsa_user_sgpr_kernarg_preload_offset 0
		.amdhsa_user_sgpr_private_segment_size 0
		.amdhsa_wavefront_size32 1
		.amdhsa_uses_dynamic_stack 0
		.amdhsa_enable_private_segment 0
		.amdhsa_system_sgpr_workgroup_id_x 1
		.amdhsa_system_sgpr_workgroup_id_y 0
		.amdhsa_system_sgpr_workgroup_id_z 0
		.amdhsa_system_sgpr_workgroup_info 0
		.amdhsa_system_vgpr_workitem_id 0
		.amdhsa_next_free_vgpr 28
		.amdhsa_next_free_sgpr 18
		.amdhsa_named_barrier_count 0
		.amdhsa_reserve_vcc 1
		.amdhsa_float_round_mode_32 0
		.amdhsa_float_round_mode_16_64 0
		.amdhsa_float_denorm_mode_32 3
		.amdhsa_float_denorm_mode_16_64 3
		.amdhsa_fp16_overflow 0
		.amdhsa_memory_ordered 1
		.amdhsa_forward_progress 1
		.amdhsa_inst_pref_size 6
		.amdhsa_round_robin_scheduling 0
		.amdhsa_exception_fp_ieee_invalid_op 0
		.amdhsa_exception_fp_denorm_src 0
		.amdhsa_exception_fp_ieee_div_zero 0
		.amdhsa_exception_fp_ieee_overflow 0
		.amdhsa_exception_fp_ieee_underflow 0
		.amdhsa_exception_fp_ieee_inexact 0
		.amdhsa_exception_int_div_zero 0
	.end_amdhsa_kernel
	.section	.text._ZN9rocsparseL32bsr2csr_block_per_row_2_7_kernelILj256ELj2E21rocsparse_complex_numIdEllEEv20rocsparse_direction_T3_S4_21rocsparse_index_base_PKT1_PKT2_PKS4_S4_S5_PS6_PS9_PS4_,"axG",@progbits,_ZN9rocsparseL32bsr2csr_block_per_row_2_7_kernelILj256ELj2E21rocsparse_complex_numIdEllEEv20rocsparse_direction_T3_S4_21rocsparse_index_base_PKT1_PKT2_PKS4_S4_S5_PS6_PS9_PS4_,comdat
.Lfunc_end300:
	.size	_ZN9rocsparseL32bsr2csr_block_per_row_2_7_kernelILj256ELj2E21rocsparse_complex_numIdEllEEv20rocsparse_direction_T3_S4_21rocsparse_index_base_PKT1_PKT2_PKS4_S4_S5_PS6_PS9_PS4_, .Lfunc_end300-_ZN9rocsparseL32bsr2csr_block_per_row_2_7_kernelILj256ELj2E21rocsparse_complex_numIdEllEEv20rocsparse_direction_T3_S4_21rocsparse_index_base_PKT1_PKT2_PKS4_S4_S5_PS6_PS9_PS4_
                                        ; -- End function
	.set _ZN9rocsparseL32bsr2csr_block_per_row_2_7_kernelILj256ELj2E21rocsparse_complex_numIdEllEEv20rocsparse_direction_T3_S4_21rocsparse_index_base_PKT1_PKT2_PKS4_S4_S5_PS6_PS9_PS4_.num_vgpr, 28
	.set _ZN9rocsparseL32bsr2csr_block_per_row_2_7_kernelILj256ELj2E21rocsparse_complex_numIdEllEEv20rocsparse_direction_T3_S4_21rocsparse_index_base_PKT1_PKT2_PKS4_S4_S5_PS6_PS9_PS4_.num_agpr, 0
	.set _ZN9rocsparseL32bsr2csr_block_per_row_2_7_kernelILj256ELj2E21rocsparse_complex_numIdEllEEv20rocsparse_direction_T3_S4_21rocsparse_index_base_PKT1_PKT2_PKS4_S4_S5_PS6_PS9_PS4_.numbered_sgpr, 18
	.set _ZN9rocsparseL32bsr2csr_block_per_row_2_7_kernelILj256ELj2E21rocsparse_complex_numIdEllEEv20rocsparse_direction_T3_S4_21rocsparse_index_base_PKT1_PKT2_PKS4_S4_S5_PS6_PS9_PS4_.num_named_barrier, 0
	.set _ZN9rocsparseL32bsr2csr_block_per_row_2_7_kernelILj256ELj2E21rocsparse_complex_numIdEllEEv20rocsparse_direction_T3_S4_21rocsparse_index_base_PKT1_PKT2_PKS4_S4_S5_PS6_PS9_PS4_.private_seg_size, 0
	.set _ZN9rocsparseL32bsr2csr_block_per_row_2_7_kernelILj256ELj2E21rocsparse_complex_numIdEllEEv20rocsparse_direction_T3_S4_21rocsparse_index_base_PKT1_PKT2_PKS4_S4_S5_PS6_PS9_PS4_.uses_vcc, 1
	.set _ZN9rocsparseL32bsr2csr_block_per_row_2_7_kernelILj256ELj2E21rocsparse_complex_numIdEllEEv20rocsparse_direction_T3_S4_21rocsparse_index_base_PKT1_PKT2_PKS4_S4_S5_PS6_PS9_PS4_.uses_flat_scratch, 0
	.set _ZN9rocsparseL32bsr2csr_block_per_row_2_7_kernelILj256ELj2E21rocsparse_complex_numIdEllEEv20rocsparse_direction_T3_S4_21rocsparse_index_base_PKT1_PKT2_PKS4_S4_S5_PS6_PS9_PS4_.has_dyn_sized_stack, 0
	.set _ZN9rocsparseL32bsr2csr_block_per_row_2_7_kernelILj256ELj2E21rocsparse_complex_numIdEllEEv20rocsparse_direction_T3_S4_21rocsparse_index_base_PKT1_PKT2_PKS4_S4_S5_PS6_PS9_PS4_.has_recursion, 0
	.set _ZN9rocsparseL32bsr2csr_block_per_row_2_7_kernelILj256ELj2E21rocsparse_complex_numIdEllEEv20rocsparse_direction_T3_S4_21rocsparse_index_base_PKT1_PKT2_PKS4_S4_S5_PS6_PS9_PS4_.has_indirect_call, 0
	.section	.AMDGPU.csdata,"",@progbits
; Kernel info:
; codeLenInByte = 652
; TotalNumSgprs: 20
; NumVgprs: 28
; ScratchSize: 0
; MemoryBound: 0
; FloatMode: 240
; IeeeMode: 1
; LDSByteSize: 0 bytes/workgroup (compile time only)
; SGPRBlocks: 0
; VGPRBlocks: 1
; NumSGPRsForWavesPerEU: 20
; NumVGPRsForWavesPerEU: 28
; NamedBarCnt: 0
; Occupancy: 16
; WaveLimiterHint : 0
; COMPUTE_PGM_RSRC2:SCRATCH_EN: 0
; COMPUTE_PGM_RSRC2:USER_SGPR: 2
; COMPUTE_PGM_RSRC2:TRAP_HANDLER: 0
; COMPUTE_PGM_RSRC2:TGID_X_EN: 1
; COMPUTE_PGM_RSRC2:TGID_Y_EN: 0
; COMPUTE_PGM_RSRC2:TGID_Z_EN: 0
; COMPUTE_PGM_RSRC2:TIDIG_COMP_CNT: 0
	.section	.text._ZN9rocsparseL32bsr2csr_block_per_row_2_7_kernelILj256ELj3E21rocsparse_complex_numIdEllEEv20rocsparse_direction_T3_S4_21rocsparse_index_base_PKT1_PKT2_PKS4_S4_S5_PS6_PS9_PS4_,"axG",@progbits,_ZN9rocsparseL32bsr2csr_block_per_row_2_7_kernelILj256ELj3E21rocsparse_complex_numIdEllEEv20rocsparse_direction_T3_S4_21rocsparse_index_base_PKT1_PKT2_PKS4_S4_S5_PS6_PS9_PS4_,comdat
	.globl	_ZN9rocsparseL32bsr2csr_block_per_row_2_7_kernelILj256ELj3E21rocsparse_complex_numIdEllEEv20rocsparse_direction_T3_S4_21rocsparse_index_base_PKT1_PKT2_PKS4_S4_S5_PS6_PS9_PS4_ ; -- Begin function _ZN9rocsparseL32bsr2csr_block_per_row_2_7_kernelILj256ELj3E21rocsparse_complex_numIdEllEEv20rocsparse_direction_T3_S4_21rocsparse_index_base_PKT1_PKT2_PKS4_S4_S5_PS6_PS9_PS4_
	.p2align	8
	.type	_ZN9rocsparseL32bsr2csr_block_per_row_2_7_kernelILj256ELj3E21rocsparse_complex_numIdEllEEv20rocsparse_direction_T3_S4_21rocsparse_index_base_PKT1_PKT2_PKS4_S4_S5_PS6_PS9_PS4_,@function
_ZN9rocsparseL32bsr2csr_block_per_row_2_7_kernelILj256ELj3E21rocsparse_complex_numIdEllEEv20rocsparse_direction_T3_S4_21rocsparse_index_base_PKT1_PKT2_PKS4_S4_S5_PS6_PS9_PS4_: ; @_ZN9rocsparseL32bsr2csr_block_per_row_2_7_kernelILj256ELj3E21rocsparse_complex_numIdEllEEv20rocsparse_direction_T3_S4_21rocsparse_index_base_PKT1_PKT2_PKS4_S4_S5_PS6_PS9_PS4_
; %bb.0:
	s_clause 0x1
	s_load_b32 s2, s[0:1], 0x40
	s_load_b64 s[10:11], s[0:1], 0x50
	s_bfe_u32 s3, ttmp6, 0x4000c
	s_and_b32 s4, ttmp6, 15
	s_add_co_i32 s3, s3, 1
	s_getreg_b32 s5, hwreg(HW_REG_IB_STS2, 6, 4)
	s_mul_i32 s3, ttmp9, s3
	s_mov_b32 s13, 0
	s_add_co_i32 s4, s4, s3
	s_cmp_eq_u32 s5, 0
	s_mov_b32 s3, exec_lo
	s_cselect_b32 s12, ttmp9, s4
	s_delay_alu instid0(SALU_CYCLE_1) | instskip(NEXT) | instid1(VALU_DEP_1)
	v_or_b32_e32 v1, s12, v0
	v_cmpx_eq_u32_e32 0, v1
	s_cbranch_execz .LBB301_2
; %bb.1:
	s_wait_kmcnt 0x0
	v_dual_mov_b32 v2, s2 :: v_dual_mov_b32 v3, 0
	global_store_b64 v3, v[2:3], s[10:11]
.LBB301_2:
	s_wait_xcnt 0x0
	s_or_b32 exec_lo, exec_lo, s3
	v_and_b32_e32 v2, 3, v0
	s_mov_b32 s3, exec_lo
	s_delay_alu instid0(VALU_DEP_1)
	v_cmpx_ne_u32_e32 3, v2
	s_cbranch_execz .LBB301_6
; %bb.3:
	s_clause 0x1
	s_load_b64 s[4:5], s[0:1], 0x28
	s_load_b32 s8, s[0:1], 0x18
	s_lshl_b64 s[6:7], s[12:13], 3
	s_mov_b32 s9, 0
	v_dual_mov_b32 v3, 0 :: v_dual_lshrrev_b32 v4, 2, v0
	s_mov_b32 s3, s9
	s_mul_u64 s[12:13], s[12:13], 24
	s_delay_alu instid0(VALU_DEP_1)
	v_mov_b32_e32 v5, v3
	s_wait_kmcnt 0x0
	s_add_nc_u64 s[10:11], s[10:11], s[12:13]
	s_add_nc_u64 s[14:15], s[4:5], s[6:7]
	s_load_b128 s[4:7], s[14:15], 0x0
	s_wait_kmcnt 0x0
	s_sub_nc_u64 s[14:15], s[4:5], s[8:9]
	s_sub_nc_u64 s[6:7], s[6:7], s[8:9]
	v_add_nc_u64_e32 v[0:1], s[14:15], v[4:5]
	s_sub_nc_u64 s[16:17], s[6:7], s[14:15]
	s_mul_u64 s[14:15], s[14:15], 9
	s_mul_u64 s[16:17], s[16:17], 3
	s_delay_alu instid0(SALU_CYCLE_1) | instskip(SKIP_1) | instid1(VALU_DEP_2)
	v_mul_u64_e32 v[6:7], s[16:17], v[2:3]
	s_add_nc_u64 s[16:17], s[16:17], s[2:3]
	v_cmp_gt_i64_e32 vcc_lo, s[6:7], v[0:1]
	s_add_nc_u64 s[14:15], s[16:17], s[14:15]
	s_delay_alu instid0(VALU_DEP_2) | instid1(SALU_CYCLE_1)
	v_add_nc_u64_e32 v[8:9], s[14:15], v[6:7]
	global_store_b64 v2, v[8:9], s[10:11] offset:8 scale_offset
	s_wait_xcnt 0x0
	s_and_b32 exec_lo, exec_lo, vcc_lo
	s_cbranch_execz .LBB301_6
; %bb.4:
	v_mad_nc_u64_u32 v[6:7], s4, 9, v[6:7]
	s_delay_alu instid0(VALU_DEP_1)
	v_mad_u32 v7, s5, 9, v7
	s_clause 0x4
	s_load_b64 s[4:5], s[0:1], 0x20
	s_load_b64 s[10:11], s[0:1], 0x48
	;; [unrolled: 1-line block ×4, first 2 shown]
	s_load_b32 s16, s[0:1], 0x0
	s_wait_xcnt 0x0
	s_mul_u64 s[0:1], s[8:9], 9
	s_delay_alu instid0(VALU_DEP_1) | instskip(SKIP_3) | instid1(VALU_DEP_2)
	v_mad_nc_u64_u32 v[6:7], v4, 3, v[6:7]
	s_wait_kmcnt 0x0
	v_mad_nc_u64_u32 v[4:5], 0x90, v0, s[4:5]
	s_cmp_eq_u32 s16, 0
	v_sub_nc_u64_e64 v[8:9], v[6:7], s[0:1]
	v_dual_mov_b32 v7, v3 :: v_dual_lshlrev_b32 v6, 4, v2
	v_mul_hi_u32_u24_e32 v3, 48, v2
	v_mul_u32_u24_e32 v2, 48, v2
	s_cselect_b32 vcc_lo, -1, 0
	s_mov_b32 s1, s9
	s_delay_alu instid0(VALU_DEP_4) | instskip(SKIP_3) | instid1(VALU_DEP_4)
	v_lshl_add_u64 v[10:11], v[8:9], 4, s[10:11]
	v_lshl_add_u64 v[12:13], v[8:9], 3, s[12:13]
	v_mad_u32 v5, 0x90, v1, v5
	v_lshl_add_u64 v[8:9], v[0:1], 3, s[14:15]
	v_add_nc_u64_e32 v[10:11], 16, v[10:11]
	s_delay_alu instid0(VALU_DEP_4)
	v_add_nc_u64_e32 v[12:13], 8, v[12:13]
.LBB301_5:                              ; =>This Inner Loop Header: Depth=1
	global_load_b64 v[26:27], v[8:9], off
	v_add_nc_u64_e32 v[14:15], v[4:5], v[6:7]
	v_add_nc_u64_e32 v[16:17], v[4:5], v[2:3]
	;; [unrolled: 1-line block ×3, first 2 shown]
	s_wait_xcnt 0x0
	v_add_nc_u64_e32 v[8:9], 0x200, v[8:9]
	v_add_nc_u64_e32 v[4:5], 0x2400, v[4:5]
	;; [unrolled: 1-line block ×6, first 2 shown]
	v_dual_cndmask_b32 v19, v15, v17 :: v_dual_cndmask_b32 v18, v14, v16
	v_cmp_le_i64_e64 s0, s[6:7], v[0:1]
	v_dual_cndmask_b32 v31, v23, v21 :: v_dual_cndmask_b32 v30, v22, v20
	s_delay_alu instid0(VALU_DEP_4)
	v_dual_cndmask_b32 v29, v29, v25 :: v_dual_cndmask_b32 v28, v28, v24
	global_load_b128 v[14:17], v[18:19], off
	global_load_b128 v[18:21], v[30:31], off
	;; [unrolled: 1-line block ×3, first 2 shown]
	s_or_b32 s1, s0, s1
	s_wait_loadcnt 0x2
	global_store_b128 v[10:11], v[14:17], off offset:-16
	s_wait_loadcnt 0x1
	global_store_b128 v[10:11], v[18:21], off
	s_wait_loadcnt 0x0
	global_store_b128 v[10:11], v[22:25], off offset:16
	s_wait_xcnt 0x3
	v_sub_nc_u64_e64 v[28:29], v[26:27], s[8:9]
	s_wait_xcnt 0x0
	v_add_nc_u64_e32 v[10:11], 0xc00, v[10:11]
	s_delay_alu instid0(VALU_DEP_2) | instskip(NEXT) | instid1(VALU_DEP_1)
	v_mad_nc_u64_u32 v[26:27], v28, 3, s[2:3]
	v_mad_u32 v27, v29, 3, v27
	s_delay_alu instid0(VALU_DEP_1)
	v_add_nc_u64_e32 v[28:29], 1, v[26:27]
	v_add_nc_u64_e32 v[30:31], 2, v[26:27]
	s_clause 0x1
	global_store_b128 v[12:13], v[26:29], off offset:-8
	global_store_b64 v[12:13], v[30:31], off offset:8
	s_wait_xcnt 0x0
	v_add_nc_u64_e32 v[12:13], 0x600, v[12:13]
	s_and_not1_b32 exec_lo, exec_lo, s1
	s_cbranch_execnz .LBB301_5
.LBB301_6:
	s_endpgm
	.section	.rodata,"a",@progbits
	.p2align	6, 0x0
	.amdhsa_kernel _ZN9rocsparseL32bsr2csr_block_per_row_2_7_kernelILj256ELj3E21rocsparse_complex_numIdEllEEv20rocsparse_direction_T3_S4_21rocsparse_index_base_PKT1_PKT2_PKS4_S4_S5_PS6_PS9_PS4_
		.amdhsa_group_segment_fixed_size 0
		.amdhsa_private_segment_fixed_size 0
		.amdhsa_kernarg_size 96
		.amdhsa_user_sgpr_count 2
		.amdhsa_user_sgpr_dispatch_ptr 0
		.amdhsa_user_sgpr_queue_ptr 0
		.amdhsa_user_sgpr_kernarg_segment_ptr 1
		.amdhsa_user_sgpr_dispatch_id 0
		.amdhsa_user_sgpr_kernarg_preload_length 0
		.amdhsa_user_sgpr_kernarg_preload_offset 0
		.amdhsa_user_sgpr_private_segment_size 0
		.amdhsa_wavefront_size32 1
		.amdhsa_uses_dynamic_stack 0
		.amdhsa_enable_private_segment 0
		.amdhsa_system_sgpr_workgroup_id_x 1
		.amdhsa_system_sgpr_workgroup_id_y 0
		.amdhsa_system_sgpr_workgroup_id_z 0
		.amdhsa_system_sgpr_workgroup_info 0
		.amdhsa_system_vgpr_workitem_id 0
		.amdhsa_next_free_vgpr 32
		.amdhsa_next_free_sgpr 18
		.amdhsa_named_barrier_count 0
		.amdhsa_reserve_vcc 1
		.amdhsa_float_round_mode_32 0
		.amdhsa_float_round_mode_16_64 0
		.amdhsa_float_denorm_mode_32 3
		.amdhsa_float_denorm_mode_16_64 3
		.amdhsa_fp16_overflow 0
		.amdhsa_memory_ordered 1
		.amdhsa_forward_progress 1
		.amdhsa_inst_pref_size 6
		.amdhsa_round_robin_scheduling 0
		.amdhsa_exception_fp_ieee_invalid_op 0
		.amdhsa_exception_fp_denorm_src 0
		.amdhsa_exception_fp_ieee_div_zero 0
		.amdhsa_exception_fp_ieee_overflow 0
		.amdhsa_exception_fp_ieee_underflow 0
		.amdhsa_exception_fp_ieee_inexact 0
		.amdhsa_exception_int_div_zero 0
	.end_amdhsa_kernel
	.section	.text._ZN9rocsparseL32bsr2csr_block_per_row_2_7_kernelILj256ELj3E21rocsparse_complex_numIdEllEEv20rocsparse_direction_T3_S4_21rocsparse_index_base_PKT1_PKT2_PKS4_S4_S5_PS6_PS9_PS4_,"axG",@progbits,_ZN9rocsparseL32bsr2csr_block_per_row_2_7_kernelILj256ELj3E21rocsparse_complex_numIdEllEEv20rocsparse_direction_T3_S4_21rocsparse_index_base_PKT1_PKT2_PKS4_S4_S5_PS6_PS9_PS4_,comdat
.Lfunc_end301:
	.size	_ZN9rocsparseL32bsr2csr_block_per_row_2_7_kernelILj256ELj3E21rocsparse_complex_numIdEllEEv20rocsparse_direction_T3_S4_21rocsparse_index_base_PKT1_PKT2_PKS4_S4_S5_PS6_PS9_PS4_, .Lfunc_end301-_ZN9rocsparseL32bsr2csr_block_per_row_2_7_kernelILj256ELj3E21rocsparse_complex_numIdEllEEv20rocsparse_direction_T3_S4_21rocsparse_index_base_PKT1_PKT2_PKS4_S4_S5_PS6_PS9_PS4_
                                        ; -- End function
	.set _ZN9rocsparseL32bsr2csr_block_per_row_2_7_kernelILj256ELj3E21rocsparse_complex_numIdEllEEv20rocsparse_direction_T3_S4_21rocsparse_index_base_PKT1_PKT2_PKS4_S4_S5_PS6_PS9_PS4_.num_vgpr, 32
	.set _ZN9rocsparseL32bsr2csr_block_per_row_2_7_kernelILj256ELj3E21rocsparse_complex_numIdEllEEv20rocsparse_direction_T3_S4_21rocsparse_index_base_PKT1_PKT2_PKS4_S4_S5_PS6_PS9_PS4_.num_agpr, 0
	.set _ZN9rocsparseL32bsr2csr_block_per_row_2_7_kernelILj256ELj3E21rocsparse_complex_numIdEllEEv20rocsparse_direction_T3_S4_21rocsparse_index_base_PKT1_PKT2_PKS4_S4_S5_PS6_PS9_PS4_.numbered_sgpr, 18
	.set _ZN9rocsparseL32bsr2csr_block_per_row_2_7_kernelILj256ELj3E21rocsparse_complex_numIdEllEEv20rocsparse_direction_T3_S4_21rocsparse_index_base_PKT1_PKT2_PKS4_S4_S5_PS6_PS9_PS4_.num_named_barrier, 0
	.set _ZN9rocsparseL32bsr2csr_block_per_row_2_7_kernelILj256ELj3E21rocsparse_complex_numIdEllEEv20rocsparse_direction_T3_S4_21rocsparse_index_base_PKT1_PKT2_PKS4_S4_S5_PS6_PS9_PS4_.private_seg_size, 0
	.set _ZN9rocsparseL32bsr2csr_block_per_row_2_7_kernelILj256ELj3E21rocsparse_complex_numIdEllEEv20rocsparse_direction_T3_S4_21rocsparse_index_base_PKT1_PKT2_PKS4_S4_S5_PS6_PS9_PS4_.uses_vcc, 1
	.set _ZN9rocsparseL32bsr2csr_block_per_row_2_7_kernelILj256ELj3E21rocsparse_complex_numIdEllEEv20rocsparse_direction_T3_S4_21rocsparse_index_base_PKT1_PKT2_PKS4_S4_S5_PS6_PS9_PS4_.uses_flat_scratch, 0
	.set _ZN9rocsparseL32bsr2csr_block_per_row_2_7_kernelILj256ELj3E21rocsparse_complex_numIdEllEEv20rocsparse_direction_T3_S4_21rocsparse_index_base_PKT1_PKT2_PKS4_S4_S5_PS6_PS9_PS4_.has_dyn_sized_stack, 0
	.set _ZN9rocsparseL32bsr2csr_block_per_row_2_7_kernelILj256ELj3E21rocsparse_complex_numIdEllEEv20rocsparse_direction_T3_S4_21rocsparse_index_base_PKT1_PKT2_PKS4_S4_S5_PS6_PS9_PS4_.has_recursion, 0
	.set _ZN9rocsparseL32bsr2csr_block_per_row_2_7_kernelILj256ELj3E21rocsparse_complex_numIdEllEEv20rocsparse_direction_T3_S4_21rocsparse_index_base_PKT1_PKT2_PKS4_S4_S5_PS6_PS9_PS4_.has_indirect_call, 0
	.section	.AMDGPU.csdata,"",@progbits
; Kernel info:
; codeLenInByte = 768
; TotalNumSgprs: 20
; NumVgprs: 32
; ScratchSize: 0
; MemoryBound: 0
; FloatMode: 240
; IeeeMode: 1
; LDSByteSize: 0 bytes/workgroup (compile time only)
; SGPRBlocks: 0
; VGPRBlocks: 1
; NumSGPRsForWavesPerEU: 20
; NumVGPRsForWavesPerEU: 32
; NamedBarCnt: 0
; Occupancy: 16
; WaveLimiterHint : 0
; COMPUTE_PGM_RSRC2:SCRATCH_EN: 0
; COMPUTE_PGM_RSRC2:USER_SGPR: 2
; COMPUTE_PGM_RSRC2:TRAP_HANDLER: 0
; COMPUTE_PGM_RSRC2:TGID_X_EN: 1
; COMPUTE_PGM_RSRC2:TGID_Y_EN: 0
; COMPUTE_PGM_RSRC2:TGID_Z_EN: 0
; COMPUTE_PGM_RSRC2:TIDIG_COMP_CNT: 0
	.section	.text._ZN9rocsparseL32bsr2csr_block_per_row_2_7_kernelILj256ELj4E21rocsparse_complex_numIdEllEEv20rocsparse_direction_T3_S4_21rocsparse_index_base_PKT1_PKT2_PKS4_S4_S5_PS6_PS9_PS4_,"axG",@progbits,_ZN9rocsparseL32bsr2csr_block_per_row_2_7_kernelILj256ELj4E21rocsparse_complex_numIdEllEEv20rocsparse_direction_T3_S4_21rocsparse_index_base_PKT1_PKT2_PKS4_S4_S5_PS6_PS9_PS4_,comdat
	.globl	_ZN9rocsparseL32bsr2csr_block_per_row_2_7_kernelILj256ELj4E21rocsparse_complex_numIdEllEEv20rocsparse_direction_T3_S4_21rocsparse_index_base_PKT1_PKT2_PKS4_S4_S5_PS6_PS9_PS4_ ; -- Begin function _ZN9rocsparseL32bsr2csr_block_per_row_2_7_kernelILj256ELj4E21rocsparse_complex_numIdEllEEv20rocsparse_direction_T3_S4_21rocsparse_index_base_PKT1_PKT2_PKS4_S4_S5_PS6_PS9_PS4_
	.p2align	8
	.type	_ZN9rocsparseL32bsr2csr_block_per_row_2_7_kernelILj256ELj4E21rocsparse_complex_numIdEllEEv20rocsparse_direction_T3_S4_21rocsparse_index_base_PKT1_PKT2_PKS4_S4_S5_PS6_PS9_PS4_,@function
_ZN9rocsparseL32bsr2csr_block_per_row_2_7_kernelILj256ELj4E21rocsparse_complex_numIdEllEEv20rocsparse_direction_T3_S4_21rocsparse_index_base_PKT1_PKT2_PKS4_S4_S5_PS6_PS9_PS4_: ; @_ZN9rocsparseL32bsr2csr_block_per_row_2_7_kernelILj256ELj4E21rocsparse_complex_numIdEllEEv20rocsparse_direction_T3_S4_21rocsparse_index_base_PKT1_PKT2_PKS4_S4_S5_PS6_PS9_PS4_
; %bb.0:
	s_load_b64 s[4:5], s[0:1], 0x28
	s_bfe_u32 s2, ttmp6, 0x4000c
	s_and_b32 s3, ttmp6, 15
	s_add_co_i32 s2, s2, 1
	s_getreg_b32 s6, hwreg(HW_REG_IB_STS2, 6, 4)
	s_mul_i32 s2, ttmp9, s2
	s_clause 0x1
	s_load_b32 s8, s[0:1], 0x40
	s_load_b64 s[12:13], s[0:1], 0x50
	s_add_co_i32 s2, s3, s2
	s_cmp_eq_u32 s6, 0
	s_mov_b32 s3, 0
	s_cselect_b32 s10, ttmp9, s2
	s_mov_b32 s11, s3
	v_or_b32_e32 v1, s10, v0
	s_lshl_b64 s[6:7], s[10:11], 3
	s_mov_b32 s9, s3
	s_mov_b32 s2, exec_lo
	s_wait_kmcnt 0x0
	s_add_nc_u64 s[14:15], s[4:5], s[6:7]
	s_load_b128 s[4:7], s[14:15], 0x0
	v_cmpx_eq_u32_e32 0, v1
	s_cbranch_execz .LBB302_2
; %bb.1:
	v_mov_b64_e32 v[2:3], s[8:9]
	v_mov_b32_e32 v1, 0
	global_store_b64 v1, v[2:3], s[12:13]
.LBB302_2:
	s_wait_xcnt 0x0
	s_or_b32 exec_lo, exec_lo, s2
	s_load_b32 s2, s[0:1], 0x18
	v_dual_mov_b32 v5, 0 :: v_dual_bitop2_b32 v4, 3, v0 bitop3:0x40
	v_lshrrev_b32_e32 v6, 2, v0
	s_lshl_b64 s[10:11], s[10:11], 5
	s_delay_alu instid0(SALU_CYCLE_1) | instskip(NEXT) | instid1(VALU_DEP_2)
	s_add_nc_u64 s[10:11], s[12:13], s[10:11]
	v_mov_b32_e32 v7, v5
	s_wait_kmcnt 0x0
	s_sub_nc_u64 s[14:15], s[4:5], s[2:3]
	s_sub_nc_u64 s[6:7], s[6:7], s[2:3]
	s_delay_alu instid0(VALU_DEP_1) | instskip(SKIP_3) | instid1(SALU_CYCLE_1)
	v_add_nc_u64_e32 v[0:1], s[14:15], v[6:7]
	s_sub_nc_u64 s[16:17], s[6:7], s[14:15]
	s_lshl_b64 s[14:15], s[14:15], 4
	s_lshl_b64 s[16:17], s[16:17], 2
	v_mul_u64_e32 v[8:9], s[16:17], v[4:5]
	s_add_nc_u64 s[16:17], s[16:17], s[8:9]
	s_delay_alu instid0(SALU_CYCLE_1)
	s_add_nc_u64 s[14:15], s[16:17], s[14:15]
	s_delay_alu instid0(VALU_DEP_1) | instid1(SALU_CYCLE_1)
	v_add_nc_u64_e32 v[2:3], s[14:15], v[8:9]
	global_store_b64 v4, v[2:3], s[10:11] offset:8 scale_offset
	s_wait_xcnt 0x0
	s_mov_b32 s10, exec_lo
	v_cmpx_gt_i64_e64 s[6:7], v[0:1]
	s_cbranch_execz .LBB302_5
; %bb.3:
	s_clause 0x2
	s_load_b64 s[10:11], s[0:1], 0x30
	s_load_b64 s[12:13], s[0:1], 0x48
	s_load_b32 s16, s[0:1], 0x0
	v_lshlrev_b64_e32 v[10:11], 8, v[0:1]
	s_load_b64 s[14:15], s[0:1], 0x58
	v_mul_hi_u32_u24_e32 v3, 48, v4
	v_mul_u32_u24_e32 v2, 48, v4
	v_lshl_add_u64 v[8:9], s[4:5], 4, v[8:9]
	s_wait_xcnt 0x0
	s_load_b64 s[0:1], s[0:1], 0x20
	v_lshl_or_b32 v10, v4, 4, v10
	v_lshlrev_b32_e32 v4, 2, v6
	s_delay_alu instid0(VALU_DEP_1)
	v_add_nc_u64_e32 v[4:5], v[8:9], v[4:5]
	s_wait_kmcnt 0x0
	s_cmp_eq_u32 s16, 0
	s_cselect_b32 vcc_lo, -1, 0
	s_lshl_b64 s[4:5], s[2:3], 4
	s_delay_alu instid0(VALU_DEP_1) | instid1(SALU_CYCLE_1)
	v_sub_nc_u64_e64 v[4:5], v[4:5], s[4:5]
	s_delay_alu instid0(VALU_DEP_1)
	v_lshl_add_u64 v[6:7], v[4:5], 3, s[14:15]
	v_lshl_add_u64 v[8:9], v[4:5], 4, s[12:13]
	v_add_nc_u64_e32 v[4:5], s[0:1], v[10:11]
	v_lshl_add_u64 v[10:11], v[0:1], 3, s[10:11]
	s_mov_b32 s1, 0
	v_add_nc_u64_e32 v[6:7], 16, v[6:7]
	v_add_nc_u64_e32 v[8:9], 32, v[8:9]
.LBB302_4:                              ; =>This Inner Loop Header: Depth=1
	s_delay_alu instid0(VALU_DEP_4)
	v_add_nc_u64_e32 v[12:13], v[4:5], v[2:3]
	global_load_b64 v[28:29], v[10:11], off
	v_add_nc_u64_e32 v[16:17], 64, v[4:5]
	v_add_nc_u64_e32 v[18:19], 0x80, v[4:5]
	;; [unrolled: 1-line block ×4, first 2 shown]
	s_wait_xcnt 0x0
	v_add_nc_u64_e32 v[10:11], 0x200, v[10:11]
	v_add_nc_u64_e32 v[22:23], 16, v[12:13]
	;; [unrolled: 1-line block ×4, first 2 shown]
	v_dual_cndmask_b32 v15, v5, v13 :: v_dual_cndmask_b32 v14, v4, v12
	v_cmp_le_i64_e64 s0, s[6:7], v[0:1]
	v_add_nc_u64_e32 v[4:5], 0x4000, v[4:5]
	v_dual_cndmask_b32 v31, v17, v23 :: v_dual_cndmask_b32 v30, v16, v22
	v_dual_cndmask_b32 v33, v19, v25 :: v_dual_cndmask_b32 v32, v18, v24
	;; [unrolled: 1-line block ×3, first 2 shown]
	global_load_b128 v[12:15], v[14:15], off
	global_load_b128 v[16:19], v[30:31], off
	;; [unrolled: 1-line block ×4, first 2 shown]
	s_or_b32 s1, s0, s1
	s_wait_loadcnt 0x4
	v_sub_nc_u64_e64 v[28:29], v[28:29], s[2:3]
	s_delay_alu instid0(VALU_DEP_1) | instskip(SKIP_1) | instid1(VALU_DEP_1)
	v_lshl_add_u64 v[28:29], v[28:29], 2, s[8:9]
	s_wait_xcnt 0x2
	v_add_nc_u64_e32 v[30:31], 1, v[28:29]
	s_wait_xcnt 0x1
	v_add_nc_u64_e32 v[32:33], 2, v[28:29]
	;; [unrolled: 2-line block ×3, first 2 shown]
	s_wait_loadcnt 0x3
	global_store_b128 v[8:9], v[12:15], off offset:-32
	s_wait_loadcnt 0x2
	global_store_b128 v[8:9], v[16:19], off offset:-16
	s_clause 0x1
	global_store_b128 v[6:7], v[28:31], off offset:-16
	global_store_b128 v[6:7], v[32:35], off
	s_wait_loadcnt 0x1
	global_store_b128 v[8:9], v[20:23], off
	s_wait_loadcnt 0x0
	global_store_b128 v[8:9], v[24:27], off offset:16
	s_wait_xcnt 0x2
	v_add_nc_u64_e32 v[6:7], 0x800, v[6:7]
	s_wait_xcnt 0x0
	v_add_nc_u64_e32 v[8:9], 0x1000, v[8:9]
	s_and_not1_b32 exec_lo, exec_lo, s1
	s_cbranch_execnz .LBB302_4
.LBB302_5:
	s_endpgm
	.section	.rodata,"a",@progbits
	.p2align	6, 0x0
	.amdhsa_kernel _ZN9rocsparseL32bsr2csr_block_per_row_2_7_kernelILj256ELj4E21rocsparse_complex_numIdEllEEv20rocsparse_direction_T3_S4_21rocsparse_index_base_PKT1_PKT2_PKS4_S4_S5_PS6_PS9_PS4_
		.amdhsa_group_segment_fixed_size 0
		.amdhsa_private_segment_fixed_size 0
		.amdhsa_kernarg_size 96
		.amdhsa_user_sgpr_count 2
		.amdhsa_user_sgpr_dispatch_ptr 0
		.amdhsa_user_sgpr_queue_ptr 0
		.amdhsa_user_sgpr_kernarg_segment_ptr 1
		.amdhsa_user_sgpr_dispatch_id 0
		.amdhsa_user_sgpr_kernarg_preload_length 0
		.amdhsa_user_sgpr_kernarg_preload_offset 0
		.amdhsa_user_sgpr_private_segment_size 0
		.amdhsa_wavefront_size32 1
		.amdhsa_uses_dynamic_stack 0
		.amdhsa_enable_private_segment 0
		.amdhsa_system_sgpr_workgroup_id_x 1
		.amdhsa_system_sgpr_workgroup_id_y 0
		.amdhsa_system_sgpr_workgroup_id_z 0
		.amdhsa_system_sgpr_workgroup_info 0
		.amdhsa_system_vgpr_workitem_id 0
		.amdhsa_next_free_vgpr 36
		.amdhsa_next_free_sgpr 18
		.amdhsa_named_barrier_count 0
		.amdhsa_reserve_vcc 1
		.amdhsa_float_round_mode_32 0
		.amdhsa_float_round_mode_16_64 0
		.amdhsa_float_denorm_mode_32 3
		.amdhsa_float_denorm_mode_16_64 3
		.amdhsa_fp16_overflow 0
		.amdhsa_memory_ordered 1
		.amdhsa_forward_progress 1
		.amdhsa_inst_pref_size 7
		.amdhsa_round_robin_scheduling 0
		.amdhsa_exception_fp_ieee_invalid_op 0
		.amdhsa_exception_fp_denorm_src 0
		.amdhsa_exception_fp_ieee_div_zero 0
		.amdhsa_exception_fp_ieee_overflow 0
		.amdhsa_exception_fp_ieee_underflow 0
		.amdhsa_exception_fp_ieee_inexact 0
		.amdhsa_exception_int_div_zero 0
	.end_amdhsa_kernel
	.section	.text._ZN9rocsparseL32bsr2csr_block_per_row_2_7_kernelILj256ELj4E21rocsparse_complex_numIdEllEEv20rocsparse_direction_T3_S4_21rocsparse_index_base_PKT1_PKT2_PKS4_S4_S5_PS6_PS9_PS4_,"axG",@progbits,_ZN9rocsparseL32bsr2csr_block_per_row_2_7_kernelILj256ELj4E21rocsparse_complex_numIdEllEEv20rocsparse_direction_T3_S4_21rocsparse_index_base_PKT1_PKT2_PKS4_S4_S5_PS6_PS9_PS4_,comdat
.Lfunc_end302:
	.size	_ZN9rocsparseL32bsr2csr_block_per_row_2_7_kernelILj256ELj4E21rocsparse_complex_numIdEllEEv20rocsparse_direction_T3_S4_21rocsparse_index_base_PKT1_PKT2_PKS4_S4_S5_PS6_PS9_PS4_, .Lfunc_end302-_ZN9rocsparseL32bsr2csr_block_per_row_2_7_kernelILj256ELj4E21rocsparse_complex_numIdEllEEv20rocsparse_direction_T3_S4_21rocsparse_index_base_PKT1_PKT2_PKS4_S4_S5_PS6_PS9_PS4_
                                        ; -- End function
	.set _ZN9rocsparseL32bsr2csr_block_per_row_2_7_kernelILj256ELj4E21rocsparse_complex_numIdEllEEv20rocsparse_direction_T3_S4_21rocsparse_index_base_PKT1_PKT2_PKS4_S4_S5_PS6_PS9_PS4_.num_vgpr, 36
	.set _ZN9rocsparseL32bsr2csr_block_per_row_2_7_kernelILj256ELj4E21rocsparse_complex_numIdEllEEv20rocsparse_direction_T3_S4_21rocsparse_index_base_PKT1_PKT2_PKS4_S4_S5_PS6_PS9_PS4_.num_agpr, 0
	.set _ZN9rocsparseL32bsr2csr_block_per_row_2_7_kernelILj256ELj4E21rocsparse_complex_numIdEllEEv20rocsparse_direction_T3_S4_21rocsparse_index_base_PKT1_PKT2_PKS4_S4_S5_PS6_PS9_PS4_.numbered_sgpr, 18
	.set _ZN9rocsparseL32bsr2csr_block_per_row_2_7_kernelILj256ELj4E21rocsparse_complex_numIdEllEEv20rocsparse_direction_T3_S4_21rocsparse_index_base_PKT1_PKT2_PKS4_S4_S5_PS6_PS9_PS4_.num_named_barrier, 0
	.set _ZN9rocsparseL32bsr2csr_block_per_row_2_7_kernelILj256ELj4E21rocsparse_complex_numIdEllEEv20rocsparse_direction_T3_S4_21rocsparse_index_base_PKT1_PKT2_PKS4_S4_S5_PS6_PS9_PS4_.private_seg_size, 0
	.set _ZN9rocsparseL32bsr2csr_block_per_row_2_7_kernelILj256ELj4E21rocsparse_complex_numIdEllEEv20rocsparse_direction_T3_S4_21rocsparse_index_base_PKT1_PKT2_PKS4_S4_S5_PS6_PS9_PS4_.uses_vcc, 1
	.set _ZN9rocsparseL32bsr2csr_block_per_row_2_7_kernelILj256ELj4E21rocsparse_complex_numIdEllEEv20rocsparse_direction_T3_S4_21rocsparse_index_base_PKT1_PKT2_PKS4_S4_S5_PS6_PS9_PS4_.uses_flat_scratch, 0
	.set _ZN9rocsparseL32bsr2csr_block_per_row_2_7_kernelILj256ELj4E21rocsparse_complex_numIdEllEEv20rocsparse_direction_T3_S4_21rocsparse_index_base_PKT1_PKT2_PKS4_S4_S5_PS6_PS9_PS4_.has_dyn_sized_stack, 0
	.set _ZN9rocsparseL32bsr2csr_block_per_row_2_7_kernelILj256ELj4E21rocsparse_complex_numIdEllEEv20rocsparse_direction_T3_S4_21rocsparse_index_base_PKT1_PKT2_PKS4_S4_S5_PS6_PS9_PS4_.has_recursion, 0
	.set _ZN9rocsparseL32bsr2csr_block_per_row_2_7_kernelILj256ELj4E21rocsparse_complex_numIdEllEEv20rocsparse_direction_T3_S4_21rocsparse_index_base_PKT1_PKT2_PKS4_S4_S5_PS6_PS9_PS4_.has_indirect_call, 0
	.section	.AMDGPU.csdata,"",@progbits
; Kernel info:
; codeLenInByte = 772
; TotalNumSgprs: 20
; NumVgprs: 36
; ScratchSize: 0
; MemoryBound: 0
; FloatMode: 240
; IeeeMode: 1
; LDSByteSize: 0 bytes/workgroup (compile time only)
; SGPRBlocks: 0
; VGPRBlocks: 2
; NumSGPRsForWavesPerEU: 20
; NumVGPRsForWavesPerEU: 36
; NamedBarCnt: 0
; Occupancy: 16
; WaveLimiterHint : 0
; COMPUTE_PGM_RSRC2:SCRATCH_EN: 0
; COMPUTE_PGM_RSRC2:USER_SGPR: 2
; COMPUTE_PGM_RSRC2:TRAP_HANDLER: 0
; COMPUTE_PGM_RSRC2:TGID_X_EN: 1
; COMPUTE_PGM_RSRC2:TGID_Y_EN: 0
; COMPUTE_PGM_RSRC2:TGID_Z_EN: 0
; COMPUTE_PGM_RSRC2:TIDIG_COMP_CNT: 0
	.section	.text._ZN9rocsparseL32bsr2csr_block_per_row_2_7_kernelILj256ELj5E21rocsparse_complex_numIdEllEEv20rocsparse_direction_T3_S4_21rocsparse_index_base_PKT1_PKT2_PKS4_S4_S5_PS6_PS9_PS4_,"axG",@progbits,_ZN9rocsparseL32bsr2csr_block_per_row_2_7_kernelILj256ELj5E21rocsparse_complex_numIdEllEEv20rocsparse_direction_T3_S4_21rocsparse_index_base_PKT1_PKT2_PKS4_S4_S5_PS6_PS9_PS4_,comdat
	.globl	_ZN9rocsparseL32bsr2csr_block_per_row_2_7_kernelILj256ELj5E21rocsparse_complex_numIdEllEEv20rocsparse_direction_T3_S4_21rocsparse_index_base_PKT1_PKT2_PKS4_S4_S5_PS6_PS9_PS4_ ; -- Begin function _ZN9rocsparseL32bsr2csr_block_per_row_2_7_kernelILj256ELj5E21rocsparse_complex_numIdEllEEv20rocsparse_direction_T3_S4_21rocsparse_index_base_PKT1_PKT2_PKS4_S4_S5_PS6_PS9_PS4_
	.p2align	8
	.type	_ZN9rocsparseL32bsr2csr_block_per_row_2_7_kernelILj256ELj5E21rocsparse_complex_numIdEllEEv20rocsparse_direction_T3_S4_21rocsparse_index_base_PKT1_PKT2_PKS4_S4_S5_PS6_PS9_PS4_,@function
_ZN9rocsparseL32bsr2csr_block_per_row_2_7_kernelILj256ELj5E21rocsparse_complex_numIdEllEEv20rocsparse_direction_T3_S4_21rocsparse_index_base_PKT1_PKT2_PKS4_S4_S5_PS6_PS9_PS4_: ; @_ZN9rocsparseL32bsr2csr_block_per_row_2_7_kernelILj256ELj5E21rocsparse_complex_numIdEllEEv20rocsparse_direction_T3_S4_21rocsparse_index_base_PKT1_PKT2_PKS4_S4_S5_PS6_PS9_PS4_
; %bb.0:
	s_clause 0x1
	s_load_b32 s2, s[0:1], 0x40
	s_load_b64 s[10:11], s[0:1], 0x50
	s_bfe_u32 s3, ttmp6, 0x4000c
	s_and_b32 s4, ttmp6, 15
	s_add_co_i32 s3, s3, 1
	s_getreg_b32 s5, hwreg(HW_REG_IB_STS2, 6, 4)
	s_mul_i32 s3, ttmp9, s3
	s_mov_b32 s13, 0
	s_add_co_i32 s4, s4, s3
	s_cmp_eq_u32 s5, 0
	s_mov_b32 s3, exec_lo
	s_cselect_b32 s12, ttmp9, s4
	s_delay_alu instid0(SALU_CYCLE_1) | instskip(NEXT) | instid1(VALU_DEP_1)
	v_or_b32_e32 v1, s12, v0
	v_cmpx_eq_u32_e32 0, v1
	s_cbranch_execz .LBB303_2
; %bb.1:
	s_wait_kmcnt 0x0
	v_dual_mov_b32 v2, s2 :: v_dual_mov_b32 v3, 0
	global_store_b64 v3, v[2:3], s[10:11]
.LBB303_2:
	s_wait_xcnt 0x0
	s_or_b32 exec_lo, exec_lo, s3
	v_and_b32_e32 v12, 7, v0
	s_mov_b32 s3, exec_lo
	s_delay_alu instid0(VALU_DEP_1)
	v_cmpx_gt_u32_e32 5, v12
	s_cbranch_execz .LBB303_6
; %bb.3:
	s_clause 0x1
	s_load_b64 s[4:5], s[0:1], 0x28
	s_load_b32 s8, s[0:1], 0x18
	s_lshl_b64 s[6:7], s[12:13], 3
	s_mov_b32 s9, 0
	v_dual_mov_b32 v13, 0 :: v_dual_lshrrev_b32 v2, 3, v0
	s_mov_b32 s3, s9
	s_mul_u64 s[12:13], s[12:13], 40
	s_delay_alu instid0(VALU_DEP_1)
	v_mov_b32_e32 v3, v13
	s_wait_kmcnt 0x0
	s_add_nc_u64 s[10:11], s[10:11], s[12:13]
	s_add_nc_u64 s[14:15], s[4:5], s[6:7]
	s_load_b128 s[4:7], s[14:15], 0x0
	s_wait_kmcnt 0x0
	s_sub_nc_u64 s[14:15], s[4:5], s[8:9]
	s_sub_nc_u64 s[6:7], s[6:7], s[8:9]
	v_add_nc_u64_e32 v[0:1], s[14:15], v[2:3]
	s_sub_nc_u64 s[16:17], s[6:7], s[14:15]
	s_mul_u64 s[14:15], s[14:15], 25
	s_mul_u64 s[16:17], s[16:17], 5
	s_delay_alu instid0(SALU_CYCLE_1) | instskip(SKIP_1) | instid1(VALU_DEP_2)
	v_mul_u64_e32 v[4:5], s[16:17], v[12:13]
	s_add_nc_u64 s[16:17], s[16:17], s[2:3]
	v_cmp_gt_i64_e32 vcc_lo, s[6:7], v[0:1]
	s_add_nc_u64 s[14:15], s[16:17], s[14:15]
	s_delay_alu instid0(VALU_DEP_2) | instid1(SALU_CYCLE_1)
	v_add_nc_u64_e32 v[6:7], s[14:15], v[4:5]
	global_store_b64 v12, v[6:7], s[10:11] offset:8 scale_offset
	s_wait_xcnt 0x0
	s_and_b32 exec_lo, exec_lo, vcc_lo
	s_cbranch_execz .LBB303_6
; %bb.4:
	v_mad_nc_u64_u32 v[4:5], s4, 25, v[4:5]
	s_delay_alu instid0(VALU_DEP_1)
	v_mad_u32 v5, s5, 25, v5
	s_clause 0x4
	s_load_b64 s[4:5], s[0:1], 0x20
	s_load_b64 s[10:11], s[0:1], 0x48
	;; [unrolled: 1-line block ×4, first 2 shown]
	s_load_b32 s16, s[0:1], 0x0
	s_wait_xcnt 0x0
	s_mul_u64 s[0:1], s[8:9], 25
	s_delay_alu instid0(VALU_DEP_1) | instskip(SKIP_3) | instid1(VALU_DEP_2)
	v_mad_nc_u64_u32 v[4:5], v2, 5, v[4:5]
	s_wait_kmcnt 0x0
	v_mad_nc_u64_u32 v[2:3], 0x190, v0, s[4:5]
	s_cmp_eq_u32 s16, 0
	v_sub_nc_u64_e64 v[6:7], v[4:5], s[0:1]
	v_dual_mov_b32 v5, v13 :: v_dual_lshlrev_b32 v4, 4, v12
	v_mul_hi_u32_u24_e32 v13, 0x50, v12
	v_mul_u32_u24_e32 v12, 0x50, v12
	s_cselect_b32 vcc_lo, -1, 0
	s_mov_b32 s1, s9
	s_delay_alu instid0(VALU_DEP_4) | instskip(SKIP_3) | instid1(VALU_DEP_4)
	v_lshl_add_u64 v[8:9], v[6:7], 4, s[10:11]
	v_lshl_add_u64 v[10:11], v[6:7], 3, s[12:13]
	v_mad_u32 v3, 0x190, v1, v3
	v_lshl_add_u64 v[6:7], v[0:1], 3, s[14:15]
	v_add_nc_u64_e32 v[8:9], 32, v[8:9]
	s_delay_alu instid0(VALU_DEP_4)
	v_add_nc_u64_e32 v[10:11], 16, v[10:11]
.LBB303_5:                              ; =>This Inner Loop Header: Depth=1
	global_load_b64 v[34:35], v[6:7], off
	v_add_nc_u64_e32 v[14:15], v[2:3], v[4:5]
	v_add_nc_u64_e32 v[16:17], v[2:3], v[12:13]
	;; [unrolled: 1-line block ×3, first 2 shown]
	s_wait_xcnt 0x0
	v_add_nc_u64_e32 v[6:7], 0x100, v[6:7]
	v_add_nc_u64_e32 v[2:3], 0x3200, v[2:3]
	;; [unrolled: 1-line block ×10, first 2 shown]
	v_dual_cndmask_b32 v19, v15, v17 :: v_dual_cndmask_b32 v18, v14, v16
	v_dual_cndmask_b32 v39, v23, v21 :: v_dual_cndmask_b32 v38, v22, v20
	;; [unrolled: 1-line block ×4, first 2 shown]
	global_load_b128 v[14:17], v[18:19], off
	v_dual_cndmask_b32 v37, v37, v33 :: v_dual_cndmask_b32 v36, v36, v32
	global_load_b128 v[18:21], v[38:39], off
	global_load_b128 v[22:25], v[40:41], off
	;; [unrolled: 1-line block ×4, first 2 shown]
	v_cmp_le_i64_e64 s0, s[6:7], v[0:1]
	s_wait_loadcnt 0x4
	global_store_b128 v[8:9], v[14:17], off offset:-32
	s_wait_loadcnt 0x3
	global_store_b128 v[8:9], v[18:21], off offset:-16
	s_wait_loadcnt 0x2
	global_store_b128 v[8:9], v[22:25], off
	s_wait_xcnt 0x3
	v_sub_nc_u64_e64 v[36:37], v[34:35], s[8:9]
	s_wait_loadcnt 0x1
	global_store_b128 v[8:9], v[26:29], off offset:16
	s_wait_loadcnt 0x0
	global_store_b128 v[8:9], v[30:33], off offset:32
	s_wait_xcnt 0x0
	v_add_nc_u64_e32 v[8:9], 0xa00, v[8:9]
	s_or_b32 s1, s0, s1
	v_mad_nc_u64_u32 v[34:35], v36, 5, s[2:3]
	s_delay_alu instid0(VALU_DEP_1) | instskip(NEXT) | instid1(VALU_DEP_1)
	v_mad_u32 v35, v37, 5, v35
	v_add_nc_u64_e32 v[36:37], 1, v[34:35]
	v_add_nc_u64_e32 v[14:15], 2, v[34:35]
	v_add_nc_u64_e32 v[16:17], 3, v[34:35]
	v_add_nc_u64_e32 v[18:19], 4, v[34:35]
	s_clause 0x2
	global_store_b128 v[10:11], v[34:37], off offset:-16
	global_store_b128 v[10:11], v[14:17], off
	global_store_b64 v[10:11], v[18:19], off offset:16
	s_wait_xcnt 0x0
	v_add_nc_u64_e32 v[10:11], 0x500, v[10:11]
	s_and_not1_b32 exec_lo, exec_lo, s1
	s_cbranch_execnz .LBB303_5
.LBB303_6:
	s_endpgm
	.section	.rodata,"a",@progbits
	.p2align	6, 0x0
	.amdhsa_kernel _ZN9rocsparseL32bsr2csr_block_per_row_2_7_kernelILj256ELj5E21rocsparse_complex_numIdEllEEv20rocsparse_direction_T3_S4_21rocsparse_index_base_PKT1_PKT2_PKS4_S4_S5_PS6_PS9_PS4_
		.amdhsa_group_segment_fixed_size 0
		.amdhsa_private_segment_fixed_size 0
		.amdhsa_kernarg_size 96
		.amdhsa_user_sgpr_count 2
		.amdhsa_user_sgpr_dispatch_ptr 0
		.amdhsa_user_sgpr_queue_ptr 0
		.amdhsa_user_sgpr_kernarg_segment_ptr 1
		.amdhsa_user_sgpr_dispatch_id 0
		.amdhsa_user_sgpr_kernarg_preload_length 0
		.amdhsa_user_sgpr_kernarg_preload_offset 0
		.amdhsa_user_sgpr_private_segment_size 0
		.amdhsa_wavefront_size32 1
		.amdhsa_uses_dynamic_stack 0
		.amdhsa_enable_private_segment 0
		.amdhsa_system_sgpr_workgroup_id_x 1
		.amdhsa_system_sgpr_workgroup_id_y 0
		.amdhsa_system_sgpr_workgroup_id_z 0
		.amdhsa_system_sgpr_workgroup_info 0
		.amdhsa_system_vgpr_workitem_id 0
		.amdhsa_next_free_vgpr 44
		.amdhsa_next_free_sgpr 18
		.amdhsa_named_barrier_count 0
		.amdhsa_reserve_vcc 1
		.amdhsa_float_round_mode_32 0
		.amdhsa_float_round_mode_16_64 0
		.amdhsa_float_denorm_mode_32 3
		.amdhsa_float_denorm_mode_16_64 3
		.amdhsa_fp16_overflow 0
		.amdhsa_memory_ordered 1
		.amdhsa_forward_progress 1
		.amdhsa_inst_pref_size 7
		.amdhsa_round_robin_scheduling 0
		.amdhsa_exception_fp_ieee_invalid_op 0
		.amdhsa_exception_fp_denorm_src 0
		.amdhsa_exception_fp_ieee_div_zero 0
		.amdhsa_exception_fp_ieee_overflow 0
		.amdhsa_exception_fp_ieee_underflow 0
		.amdhsa_exception_fp_ieee_inexact 0
		.amdhsa_exception_int_div_zero 0
	.end_amdhsa_kernel
	.section	.text._ZN9rocsparseL32bsr2csr_block_per_row_2_7_kernelILj256ELj5E21rocsparse_complex_numIdEllEEv20rocsparse_direction_T3_S4_21rocsparse_index_base_PKT1_PKT2_PKS4_S4_S5_PS6_PS9_PS4_,"axG",@progbits,_ZN9rocsparseL32bsr2csr_block_per_row_2_7_kernelILj256ELj5E21rocsparse_complex_numIdEllEEv20rocsparse_direction_T3_S4_21rocsparse_index_base_PKT1_PKT2_PKS4_S4_S5_PS6_PS9_PS4_,comdat
.Lfunc_end303:
	.size	_ZN9rocsparseL32bsr2csr_block_per_row_2_7_kernelILj256ELj5E21rocsparse_complex_numIdEllEEv20rocsparse_direction_T3_S4_21rocsparse_index_base_PKT1_PKT2_PKS4_S4_S5_PS6_PS9_PS4_, .Lfunc_end303-_ZN9rocsparseL32bsr2csr_block_per_row_2_7_kernelILj256ELj5E21rocsparse_complex_numIdEllEEv20rocsparse_direction_T3_S4_21rocsparse_index_base_PKT1_PKT2_PKS4_S4_S5_PS6_PS9_PS4_
                                        ; -- End function
	.set _ZN9rocsparseL32bsr2csr_block_per_row_2_7_kernelILj256ELj5E21rocsparse_complex_numIdEllEEv20rocsparse_direction_T3_S4_21rocsparse_index_base_PKT1_PKT2_PKS4_S4_S5_PS6_PS9_PS4_.num_vgpr, 44
	.set _ZN9rocsparseL32bsr2csr_block_per_row_2_7_kernelILj256ELj5E21rocsparse_complex_numIdEllEEv20rocsparse_direction_T3_S4_21rocsparse_index_base_PKT1_PKT2_PKS4_S4_S5_PS6_PS9_PS4_.num_agpr, 0
	.set _ZN9rocsparseL32bsr2csr_block_per_row_2_7_kernelILj256ELj5E21rocsparse_complex_numIdEllEEv20rocsparse_direction_T3_S4_21rocsparse_index_base_PKT1_PKT2_PKS4_S4_S5_PS6_PS9_PS4_.numbered_sgpr, 18
	.set _ZN9rocsparseL32bsr2csr_block_per_row_2_7_kernelILj256ELj5E21rocsparse_complex_numIdEllEEv20rocsparse_direction_T3_S4_21rocsparse_index_base_PKT1_PKT2_PKS4_S4_S5_PS6_PS9_PS4_.num_named_barrier, 0
	.set _ZN9rocsparseL32bsr2csr_block_per_row_2_7_kernelILj256ELj5E21rocsparse_complex_numIdEllEEv20rocsparse_direction_T3_S4_21rocsparse_index_base_PKT1_PKT2_PKS4_S4_S5_PS6_PS9_PS4_.private_seg_size, 0
	.set _ZN9rocsparseL32bsr2csr_block_per_row_2_7_kernelILj256ELj5E21rocsparse_complex_numIdEllEEv20rocsparse_direction_T3_S4_21rocsparse_index_base_PKT1_PKT2_PKS4_S4_S5_PS6_PS9_PS4_.uses_vcc, 1
	.set _ZN9rocsparseL32bsr2csr_block_per_row_2_7_kernelILj256ELj5E21rocsparse_complex_numIdEllEEv20rocsparse_direction_T3_S4_21rocsparse_index_base_PKT1_PKT2_PKS4_S4_S5_PS6_PS9_PS4_.uses_flat_scratch, 0
	.set _ZN9rocsparseL32bsr2csr_block_per_row_2_7_kernelILj256ELj5E21rocsparse_complex_numIdEllEEv20rocsparse_direction_T3_S4_21rocsparse_index_base_PKT1_PKT2_PKS4_S4_S5_PS6_PS9_PS4_.has_dyn_sized_stack, 0
	.set _ZN9rocsparseL32bsr2csr_block_per_row_2_7_kernelILj256ELj5E21rocsparse_complex_numIdEllEEv20rocsparse_direction_T3_S4_21rocsparse_index_base_PKT1_PKT2_PKS4_S4_S5_PS6_PS9_PS4_.has_recursion, 0
	.set _ZN9rocsparseL32bsr2csr_block_per_row_2_7_kernelILj256ELj5E21rocsparse_complex_numIdEllEEv20rocsparse_direction_T3_S4_21rocsparse_index_base_PKT1_PKT2_PKS4_S4_S5_PS6_PS9_PS4_.has_indirect_call, 0
	.section	.AMDGPU.csdata,"",@progbits
; Kernel info:
; codeLenInByte = 888
; TotalNumSgprs: 20
; NumVgprs: 44
; ScratchSize: 0
; MemoryBound: 0
; FloatMode: 240
; IeeeMode: 1
; LDSByteSize: 0 bytes/workgroup (compile time only)
; SGPRBlocks: 0
; VGPRBlocks: 2
; NumSGPRsForWavesPerEU: 20
; NumVGPRsForWavesPerEU: 44
; NamedBarCnt: 0
; Occupancy: 16
; WaveLimiterHint : 0
; COMPUTE_PGM_RSRC2:SCRATCH_EN: 0
; COMPUTE_PGM_RSRC2:USER_SGPR: 2
; COMPUTE_PGM_RSRC2:TRAP_HANDLER: 0
; COMPUTE_PGM_RSRC2:TGID_X_EN: 1
; COMPUTE_PGM_RSRC2:TGID_Y_EN: 0
; COMPUTE_PGM_RSRC2:TGID_Z_EN: 0
; COMPUTE_PGM_RSRC2:TIDIG_COMP_CNT: 0
	.section	.text._ZN9rocsparseL32bsr2csr_block_per_row_2_7_kernelILj256ELj6E21rocsparse_complex_numIdEllEEv20rocsparse_direction_T3_S4_21rocsparse_index_base_PKT1_PKT2_PKS4_S4_S5_PS6_PS9_PS4_,"axG",@progbits,_ZN9rocsparseL32bsr2csr_block_per_row_2_7_kernelILj256ELj6E21rocsparse_complex_numIdEllEEv20rocsparse_direction_T3_S4_21rocsparse_index_base_PKT1_PKT2_PKS4_S4_S5_PS6_PS9_PS4_,comdat
	.globl	_ZN9rocsparseL32bsr2csr_block_per_row_2_7_kernelILj256ELj6E21rocsparse_complex_numIdEllEEv20rocsparse_direction_T3_S4_21rocsparse_index_base_PKT1_PKT2_PKS4_S4_S5_PS6_PS9_PS4_ ; -- Begin function _ZN9rocsparseL32bsr2csr_block_per_row_2_7_kernelILj256ELj6E21rocsparse_complex_numIdEllEEv20rocsparse_direction_T3_S4_21rocsparse_index_base_PKT1_PKT2_PKS4_S4_S5_PS6_PS9_PS4_
	.p2align	8
	.type	_ZN9rocsparseL32bsr2csr_block_per_row_2_7_kernelILj256ELj6E21rocsparse_complex_numIdEllEEv20rocsparse_direction_T3_S4_21rocsparse_index_base_PKT1_PKT2_PKS4_S4_S5_PS6_PS9_PS4_,@function
_ZN9rocsparseL32bsr2csr_block_per_row_2_7_kernelILj256ELj6E21rocsparse_complex_numIdEllEEv20rocsparse_direction_T3_S4_21rocsparse_index_base_PKT1_PKT2_PKS4_S4_S5_PS6_PS9_PS4_: ; @_ZN9rocsparseL32bsr2csr_block_per_row_2_7_kernelILj256ELj6E21rocsparse_complex_numIdEllEEv20rocsparse_direction_T3_S4_21rocsparse_index_base_PKT1_PKT2_PKS4_S4_S5_PS6_PS9_PS4_
; %bb.0:
	s_clause 0x1
	s_load_b32 s2, s[0:1], 0x40
	s_load_b64 s[10:11], s[0:1], 0x50
	s_bfe_u32 s3, ttmp6, 0x4000c
	s_and_b32 s4, ttmp6, 15
	s_add_co_i32 s3, s3, 1
	s_getreg_b32 s5, hwreg(HW_REG_IB_STS2, 6, 4)
	s_mul_i32 s3, ttmp9, s3
	s_mov_b32 s13, 0
	s_add_co_i32 s4, s4, s3
	s_cmp_eq_u32 s5, 0
	s_mov_b32 s3, exec_lo
	s_cselect_b32 s12, ttmp9, s4
	s_delay_alu instid0(SALU_CYCLE_1) | instskip(NEXT) | instid1(VALU_DEP_1)
	v_or_b32_e32 v1, s12, v0
	v_cmpx_eq_u32_e32 0, v1
	s_cbranch_execz .LBB304_2
; %bb.1:
	s_wait_kmcnt 0x0
	v_dual_mov_b32 v2, s2 :: v_dual_mov_b32 v3, 0
	global_store_b64 v3, v[2:3], s[10:11]
.LBB304_2:
	s_wait_xcnt 0x0
	s_or_b32 exec_lo, exec_lo, s3
	v_and_b32_e32 v4, 7, v0
	s_mov_b32 s3, exec_lo
	s_delay_alu instid0(VALU_DEP_1)
	v_cmpx_gt_u32_e32 6, v4
	s_cbranch_execz .LBB304_6
; %bb.3:
	s_clause 0x1
	s_load_b64 s[4:5], s[0:1], 0x28
	s_load_b32 s8, s[0:1], 0x18
	s_lshl_b64 s[6:7], s[12:13], 3
	s_mov_b32 s9, 0
	v_dual_mov_b32 v5, 0 :: v_dual_lshrrev_b32 v6, 3, v0
	s_mov_b32 s3, s9
	s_mul_u64 s[12:13], s[12:13], 48
	s_delay_alu instid0(VALU_DEP_1)
	v_mov_b32_e32 v7, v5
	s_wait_kmcnt 0x0
	s_add_nc_u64 s[10:11], s[10:11], s[12:13]
	s_add_nc_u64 s[14:15], s[4:5], s[6:7]
	s_load_b128 s[4:7], s[14:15], 0x0
	s_wait_kmcnt 0x0
	s_sub_nc_u64 s[14:15], s[4:5], s[8:9]
	s_sub_nc_u64 s[6:7], s[6:7], s[8:9]
	v_add_nc_u64_e32 v[0:1], s[14:15], v[6:7]
	s_sub_nc_u64 s[16:17], s[6:7], s[14:15]
	s_mul_u64 s[14:15], s[14:15], 36
	s_mul_u64 s[16:17], s[16:17], 6
	s_delay_alu instid0(SALU_CYCLE_1) | instskip(SKIP_1) | instid1(VALU_DEP_2)
	v_mul_u64_e32 v[2:3], s[16:17], v[4:5]
	s_add_nc_u64 s[16:17], s[16:17], s[2:3]
	v_cmp_gt_i64_e32 vcc_lo, s[6:7], v[0:1]
	s_add_nc_u64 s[14:15], s[16:17], s[14:15]
	s_delay_alu instid0(VALU_DEP_2) | instid1(SALU_CYCLE_1)
	v_add_nc_u64_e32 v[8:9], s[14:15], v[2:3]
	global_store_b64 v4, v[8:9], s[10:11] offset:8 scale_offset
	s_wait_xcnt 0x0
	s_and_b32 exec_lo, exec_lo, vcc_lo
	s_cbranch_execz .LBB304_6
; %bb.4:
	v_mad_nc_u64_u32 v[8:9], s4, 36, v[2:3]
	v_mul_hi_u32_u24_e32 v3, 0x50, v4
	v_mul_u32_u24_e32 v2, 0x50, v4
	v_lshlrev_b32_e32 v4, 4, v4
	s_delay_alu instid0(VALU_DEP_1)
	v_mad_nc_u64_u32 v[4:5], 0x240, v0, v[4:5]
	v_mad_u32 v9, s5, 36, v9
	s_clause 0x4
	s_load_b64 s[4:5], s[0:1], 0x48
	s_load_b64 s[10:11], s[0:1], 0x58
	;; [unrolled: 1-line block ×4, first 2 shown]
	s_load_b32 s16, s[0:1], 0x0
	s_wait_xcnt 0x0
	s_mul_u64 s[0:1], s[8:9], 36
	s_delay_alu instid0(VALU_DEP_2) | instskip(NEXT) | instid1(VALU_DEP_2)
	v_mad_u32 v5, 0x240, v1, v5
	v_mad_nc_u64_u32 v[6:7], v6, 6, v[8:9]
	s_wait_kmcnt 0x0
	s_delay_alu instid0(VALU_DEP_2) | instskip(SKIP_1) | instid1(VALU_DEP_2)
	v_add_nc_u64_e32 v[4:5], s[12:13], v[4:5]
	s_cmp_eq_u32 s16, 0
	v_sub_nc_u64_e64 v[6:7], v[6:7], s[0:1]
	s_cselect_b32 vcc_lo, -1, 0
	s_mov_b32 s1, s9
	s_delay_alu instid0(VALU_DEP_1) | instskip(SKIP_1) | instid1(VALU_DEP_2)
	v_lshl_add_u64 v[8:9], v[6:7], 4, s[4:5]
	v_lshl_add_u64 v[10:11], v[6:7], 3, s[10:11]
	v_add_nc_u64_e32 v[6:7], 48, v[8:9]
	s_delay_alu instid0(VALU_DEP_2)
	v_add_nc_u64_e32 v[8:9], 24, v[10:11]
	v_lshl_add_u64 v[10:11], v[0:1], 3, s[14:15]
.LBB304_5:                              ; =>This Inner Loop Header: Depth=1
	global_load_b64 v[36:37], v[10:11], off
	v_add_nc_u64_e32 v[12:13], v[4:5], v[2:3]
	v_add_nc_u64_e32 v[16:17], 0x60, v[4:5]
	;; [unrolled: 1-line block ×12, first 2 shown]
	v_dual_cndmask_b32 v15, v5, v13 :: v_dual_cndmask_b32 v14, v4, v12
	v_dual_cndmask_b32 v39, v17, v27 :: v_dual_cndmask_b32 v38, v16, v26
	;; [unrolled: 1-line block ×4, first 2 shown]
	global_load_b128 v[12:15], v[14:15], off
	v_dual_cndmask_b32 v45, v23, v33 :: v_dual_cndmask_b32 v44, v22, v32
	v_dual_cndmask_b32 v47, v25, v35 :: v_dual_cndmask_b32 v46, v24, v34
	global_load_b128 v[16:19], v[38:39], off
	global_load_b128 v[20:23], v[40:41], off
	;; [unrolled: 1-line block ×5, first 2 shown]
	v_cmp_le_i64_e64 s0, s[6:7], v[0:1]
	s_wait_xcnt 0x6
	v_add_nc_u64_e32 v[10:11], 0x100, v[10:11]
	v_add_nc_u64_e32 v[4:5], 0x4800, v[4:5]
	s_wait_loadcnt 0x5
	global_store_b128 v[6:7], v[12:15], off offset:-48
	s_wait_loadcnt 0x4
	global_store_b128 v[6:7], v[16:19], off offset:-32
	;; [unrolled: 2-line block ×3, first 2 shown]
	s_wait_loadcnt 0x2
	global_store_b128 v[6:7], v[24:27], off
	s_wait_xcnt 0x8
	v_sub_nc_u64_e64 v[38:39], v[36:37], s[8:9]
	s_wait_loadcnt 0x1
	global_store_b128 v[6:7], v[28:31], off offset:16
	s_wait_loadcnt 0x0
	global_store_b128 v[6:7], v[32:35], off offset:32
	s_wait_xcnt 0x0
	v_add_nc_u64_e32 v[6:7], 0xc00, v[6:7]
	s_or_b32 s1, s0, s1
	v_mad_nc_u64_u32 v[36:37], v38, 6, s[2:3]
	s_delay_alu instid0(VALU_DEP_1) | instskip(NEXT) | instid1(VALU_DEP_1)
	v_mad_u32 v37, v39, 6, v37
	v_add_nc_u64_e32 v[38:39], 1, v[36:37]
	v_add_nc_u64_e32 v[12:13], 2, v[36:37]
	;; [unrolled: 1-line block ×5, first 2 shown]
	s_clause 0x2
	global_store_b128 v[8:9], v[36:39], off offset:-24
	global_store_b128 v[8:9], v[12:15], off offset:-8
	global_store_b128 v[8:9], v[16:19], off offset:8
	s_wait_xcnt 0x0
	v_add_nc_u64_e32 v[8:9], 0x600, v[8:9]
	s_and_not1_b32 exec_lo, exec_lo, s1
	s_cbranch_execnz .LBB304_5
.LBB304_6:
	s_endpgm
	.section	.rodata,"a",@progbits
	.p2align	6, 0x0
	.amdhsa_kernel _ZN9rocsparseL32bsr2csr_block_per_row_2_7_kernelILj256ELj6E21rocsparse_complex_numIdEllEEv20rocsparse_direction_T3_S4_21rocsparse_index_base_PKT1_PKT2_PKS4_S4_S5_PS6_PS9_PS4_
		.amdhsa_group_segment_fixed_size 0
		.amdhsa_private_segment_fixed_size 0
		.amdhsa_kernarg_size 96
		.amdhsa_user_sgpr_count 2
		.amdhsa_user_sgpr_dispatch_ptr 0
		.amdhsa_user_sgpr_queue_ptr 0
		.amdhsa_user_sgpr_kernarg_segment_ptr 1
		.amdhsa_user_sgpr_dispatch_id 0
		.amdhsa_user_sgpr_kernarg_preload_length 0
		.amdhsa_user_sgpr_kernarg_preload_offset 0
		.amdhsa_user_sgpr_private_segment_size 0
		.amdhsa_wavefront_size32 1
		.amdhsa_uses_dynamic_stack 0
		.amdhsa_enable_private_segment 0
		.amdhsa_system_sgpr_workgroup_id_x 1
		.amdhsa_system_sgpr_workgroup_id_y 0
		.amdhsa_system_sgpr_workgroup_id_z 0
		.amdhsa_system_sgpr_workgroup_info 0
		.amdhsa_system_vgpr_workitem_id 0
		.amdhsa_next_free_vgpr 48
		.amdhsa_next_free_sgpr 18
		.amdhsa_named_barrier_count 0
		.amdhsa_reserve_vcc 1
		.amdhsa_float_round_mode_32 0
		.amdhsa_float_round_mode_16_64 0
		.amdhsa_float_denorm_mode_32 3
		.amdhsa_float_denorm_mode_16_64 3
		.amdhsa_fp16_overflow 0
		.amdhsa_memory_ordered 1
		.amdhsa_forward_progress 1
		.amdhsa_inst_pref_size 8
		.amdhsa_round_robin_scheduling 0
		.amdhsa_exception_fp_ieee_invalid_op 0
		.amdhsa_exception_fp_denorm_src 0
		.amdhsa_exception_fp_ieee_div_zero 0
		.amdhsa_exception_fp_ieee_overflow 0
		.amdhsa_exception_fp_ieee_underflow 0
		.amdhsa_exception_fp_ieee_inexact 0
		.amdhsa_exception_int_div_zero 0
	.end_amdhsa_kernel
	.section	.text._ZN9rocsparseL32bsr2csr_block_per_row_2_7_kernelILj256ELj6E21rocsparse_complex_numIdEllEEv20rocsparse_direction_T3_S4_21rocsparse_index_base_PKT1_PKT2_PKS4_S4_S5_PS6_PS9_PS4_,"axG",@progbits,_ZN9rocsparseL32bsr2csr_block_per_row_2_7_kernelILj256ELj6E21rocsparse_complex_numIdEllEEv20rocsparse_direction_T3_S4_21rocsparse_index_base_PKT1_PKT2_PKS4_S4_S5_PS6_PS9_PS4_,comdat
.Lfunc_end304:
	.size	_ZN9rocsparseL32bsr2csr_block_per_row_2_7_kernelILj256ELj6E21rocsparse_complex_numIdEllEEv20rocsparse_direction_T3_S4_21rocsparse_index_base_PKT1_PKT2_PKS4_S4_S5_PS6_PS9_PS4_, .Lfunc_end304-_ZN9rocsparseL32bsr2csr_block_per_row_2_7_kernelILj256ELj6E21rocsparse_complex_numIdEllEEv20rocsparse_direction_T3_S4_21rocsparse_index_base_PKT1_PKT2_PKS4_S4_S5_PS6_PS9_PS4_
                                        ; -- End function
	.set _ZN9rocsparseL32bsr2csr_block_per_row_2_7_kernelILj256ELj6E21rocsparse_complex_numIdEllEEv20rocsparse_direction_T3_S4_21rocsparse_index_base_PKT1_PKT2_PKS4_S4_S5_PS6_PS9_PS4_.num_vgpr, 48
	.set _ZN9rocsparseL32bsr2csr_block_per_row_2_7_kernelILj256ELj6E21rocsparse_complex_numIdEllEEv20rocsparse_direction_T3_S4_21rocsparse_index_base_PKT1_PKT2_PKS4_S4_S5_PS6_PS9_PS4_.num_agpr, 0
	.set _ZN9rocsparseL32bsr2csr_block_per_row_2_7_kernelILj256ELj6E21rocsparse_complex_numIdEllEEv20rocsparse_direction_T3_S4_21rocsparse_index_base_PKT1_PKT2_PKS4_S4_S5_PS6_PS9_PS4_.numbered_sgpr, 18
	.set _ZN9rocsparseL32bsr2csr_block_per_row_2_7_kernelILj256ELj6E21rocsparse_complex_numIdEllEEv20rocsparse_direction_T3_S4_21rocsparse_index_base_PKT1_PKT2_PKS4_S4_S5_PS6_PS9_PS4_.num_named_barrier, 0
	.set _ZN9rocsparseL32bsr2csr_block_per_row_2_7_kernelILj256ELj6E21rocsparse_complex_numIdEllEEv20rocsparse_direction_T3_S4_21rocsparse_index_base_PKT1_PKT2_PKS4_S4_S5_PS6_PS9_PS4_.private_seg_size, 0
	.set _ZN9rocsparseL32bsr2csr_block_per_row_2_7_kernelILj256ELj6E21rocsparse_complex_numIdEllEEv20rocsparse_direction_T3_S4_21rocsparse_index_base_PKT1_PKT2_PKS4_S4_S5_PS6_PS9_PS4_.uses_vcc, 1
	.set _ZN9rocsparseL32bsr2csr_block_per_row_2_7_kernelILj256ELj6E21rocsparse_complex_numIdEllEEv20rocsparse_direction_T3_S4_21rocsparse_index_base_PKT1_PKT2_PKS4_S4_S5_PS6_PS9_PS4_.uses_flat_scratch, 0
	.set _ZN9rocsparseL32bsr2csr_block_per_row_2_7_kernelILj256ELj6E21rocsparse_complex_numIdEllEEv20rocsparse_direction_T3_S4_21rocsparse_index_base_PKT1_PKT2_PKS4_S4_S5_PS6_PS9_PS4_.has_dyn_sized_stack, 0
	.set _ZN9rocsparseL32bsr2csr_block_per_row_2_7_kernelILj256ELj6E21rocsparse_complex_numIdEllEEv20rocsparse_direction_T3_S4_21rocsparse_index_base_PKT1_PKT2_PKS4_S4_S5_PS6_PS9_PS4_.has_recursion, 0
	.set _ZN9rocsparseL32bsr2csr_block_per_row_2_7_kernelILj256ELj6E21rocsparse_complex_numIdEllEEv20rocsparse_direction_T3_S4_21rocsparse_index_base_PKT1_PKT2_PKS4_S4_S5_PS6_PS9_PS4_.has_indirect_call, 0
	.section	.AMDGPU.csdata,"",@progbits
; Kernel info:
; codeLenInByte = 944
; TotalNumSgprs: 20
; NumVgprs: 48
; ScratchSize: 0
; MemoryBound: 0
; FloatMode: 240
; IeeeMode: 1
; LDSByteSize: 0 bytes/workgroup (compile time only)
; SGPRBlocks: 0
; VGPRBlocks: 2
; NumSGPRsForWavesPerEU: 20
; NumVGPRsForWavesPerEU: 48
; NamedBarCnt: 0
; Occupancy: 16
; WaveLimiterHint : 0
; COMPUTE_PGM_RSRC2:SCRATCH_EN: 0
; COMPUTE_PGM_RSRC2:USER_SGPR: 2
; COMPUTE_PGM_RSRC2:TRAP_HANDLER: 0
; COMPUTE_PGM_RSRC2:TGID_X_EN: 1
; COMPUTE_PGM_RSRC2:TGID_Y_EN: 0
; COMPUTE_PGM_RSRC2:TGID_Z_EN: 0
; COMPUTE_PGM_RSRC2:TIDIG_COMP_CNT: 0
	.section	.text._ZN9rocsparseL32bsr2csr_block_per_row_2_7_kernelILj256ELj7E21rocsparse_complex_numIdEllEEv20rocsparse_direction_T3_S4_21rocsparse_index_base_PKT1_PKT2_PKS4_S4_S5_PS6_PS9_PS4_,"axG",@progbits,_ZN9rocsparseL32bsr2csr_block_per_row_2_7_kernelILj256ELj7E21rocsparse_complex_numIdEllEEv20rocsparse_direction_T3_S4_21rocsparse_index_base_PKT1_PKT2_PKS4_S4_S5_PS6_PS9_PS4_,comdat
	.globl	_ZN9rocsparseL32bsr2csr_block_per_row_2_7_kernelILj256ELj7E21rocsparse_complex_numIdEllEEv20rocsparse_direction_T3_S4_21rocsparse_index_base_PKT1_PKT2_PKS4_S4_S5_PS6_PS9_PS4_ ; -- Begin function _ZN9rocsparseL32bsr2csr_block_per_row_2_7_kernelILj256ELj7E21rocsparse_complex_numIdEllEEv20rocsparse_direction_T3_S4_21rocsparse_index_base_PKT1_PKT2_PKS4_S4_S5_PS6_PS9_PS4_
	.p2align	8
	.type	_ZN9rocsparseL32bsr2csr_block_per_row_2_7_kernelILj256ELj7E21rocsparse_complex_numIdEllEEv20rocsparse_direction_T3_S4_21rocsparse_index_base_PKT1_PKT2_PKS4_S4_S5_PS6_PS9_PS4_,@function
_ZN9rocsparseL32bsr2csr_block_per_row_2_7_kernelILj256ELj7E21rocsparse_complex_numIdEllEEv20rocsparse_direction_T3_S4_21rocsparse_index_base_PKT1_PKT2_PKS4_S4_S5_PS6_PS9_PS4_: ; @_ZN9rocsparseL32bsr2csr_block_per_row_2_7_kernelILj256ELj7E21rocsparse_complex_numIdEllEEv20rocsparse_direction_T3_S4_21rocsparse_index_base_PKT1_PKT2_PKS4_S4_S5_PS6_PS9_PS4_
; %bb.0:
	s_clause 0x1
	s_load_b32 s2, s[0:1], 0x40
	s_load_b64 s[10:11], s[0:1], 0x50
	s_bfe_u32 s3, ttmp6, 0x4000c
	s_and_b32 s4, ttmp6, 15
	s_add_co_i32 s3, s3, 1
	s_getreg_b32 s5, hwreg(HW_REG_IB_STS2, 6, 4)
	s_mul_i32 s3, ttmp9, s3
	s_mov_b32 s13, 0
	s_add_co_i32 s4, s4, s3
	s_cmp_eq_u32 s5, 0
	s_mov_b32 s3, exec_lo
	s_cselect_b32 s12, ttmp9, s4
	s_delay_alu instid0(SALU_CYCLE_1) | instskip(NEXT) | instid1(VALU_DEP_1)
	v_or_b32_e32 v1, s12, v0
	v_cmpx_eq_u32_e32 0, v1
	s_cbranch_execz .LBB305_2
; %bb.1:
	s_wait_kmcnt 0x0
	v_dual_mov_b32 v2, s2 :: v_dual_mov_b32 v3, 0
	global_store_b64 v3, v[2:3], s[10:11]
.LBB305_2:
	s_wait_xcnt 0x0
	s_or_b32 exec_lo, exec_lo, s3
	v_and_b32_e32 v4, 7, v0
	s_mov_b32 s3, exec_lo
	s_delay_alu instid0(VALU_DEP_1)
	v_cmpx_ne_u32_e32 7, v4
	s_cbranch_execz .LBB305_6
; %bb.3:
	s_clause 0x1
	s_load_b64 s[4:5], s[0:1], 0x28
	s_load_b32 s8, s[0:1], 0x18
	s_lshl_b64 s[6:7], s[12:13], 3
	s_mov_b32 s9, 0
	v_dual_mov_b32 v5, 0 :: v_dual_lshrrev_b32 v6, 3, v0
	s_mov_b32 s3, s9
	s_mul_u64 s[12:13], s[12:13], 56
	s_delay_alu instid0(VALU_DEP_1)
	v_mov_b32_e32 v7, v5
	s_wait_kmcnt 0x0
	s_add_nc_u64 s[10:11], s[10:11], s[12:13]
	s_add_nc_u64 s[14:15], s[4:5], s[6:7]
	s_load_b128 s[4:7], s[14:15], 0x0
	s_wait_kmcnt 0x0
	s_sub_nc_u64 s[14:15], s[4:5], s[8:9]
	s_sub_nc_u64 s[6:7], s[6:7], s[8:9]
	v_add_nc_u64_e32 v[0:1], s[14:15], v[6:7]
	s_sub_nc_u64 s[16:17], s[6:7], s[14:15]
	s_mul_u64 s[14:15], s[14:15], 49
	s_mul_u64 s[16:17], s[16:17], 7
	s_delay_alu instid0(SALU_CYCLE_1) | instskip(SKIP_1) | instid1(VALU_DEP_2)
	v_mul_u64_e32 v[2:3], s[16:17], v[4:5]
	s_add_nc_u64 s[16:17], s[16:17], s[2:3]
	v_cmp_gt_i64_e32 vcc_lo, s[6:7], v[0:1]
	s_add_nc_u64 s[14:15], s[16:17], s[14:15]
	s_delay_alu instid0(VALU_DEP_2) | instid1(SALU_CYCLE_1)
	v_add_nc_u64_e32 v[8:9], s[14:15], v[2:3]
	global_store_b64 v4, v[8:9], s[10:11] offset:8 scale_offset
	s_wait_xcnt 0x0
	s_and_b32 exec_lo, exec_lo, vcc_lo
	s_cbranch_execz .LBB305_6
; %bb.4:
	v_mad_nc_u64_u32 v[8:9], s4, 49, v[2:3]
	v_mul_hi_u32_u24_e32 v3, 0x60, v4
	v_mul_u32_u24_e32 v2, 0x60, v4
	v_lshlrev_b32_e32 v4, 4, v4
	s_delay_alu instid0(VALU_DEP_1)
	v_mad_nc_u64_u32 v[4:5], 0x310, v0, v[4:5]
	v_mad_u32 v9, s5, 49, v9
	s_clause 0x4
	s_load_b64 s[4:5], s[0:1], 0x48
	s_load_b64 s[10:11], s[0:1], 0x58
	;; [unrolled: 1-line block ×4, first 2 shown]
	s_load_b32 s16, s[0:1], 0x0
	s_wait_xcnt 0x0
	s_mul_u64 s[0:1], s[8:9], 49
	s_delay_alu instid0(VALU_DEP_2) | instskip(NEXT) | instid1(VALU_DEP_2)
	v_mad_u32 v5, 0x310, v1, v5
	v_mad_nc_u64_u32 v[6:7], v6, 7, v[8:9]
	s_wait_kmcnt 0x0
	s_delay_alu instid0(VALU_DEP_2) | instskip(SKIP_1) | instid1(VALU_DEP_2)
	v_add_nc_u64_e32 v[4:5], s[12:13], v[4:5]
	s_cmp_eq_u32 s16, 0
	v_sub_nc_u64_e64 v[6:7], v[6:7], s[0:1]
	s_cselect_b32 vcc_lo, -1, 0
	s_mov_b32 s1, s9
	s_delay_alu instid0(VALU_DEP_1) | instskip(SKIP_1) | instid1(VALU_DEP_2)
	v_lshl_add_u64 v[8:9], v[6:7], 4, s[4:5]
	v_lshl_add_u64 v[10:11], v[6:7], 3, s[10:11]
	v_add_nc_u64_e32 v[6:7], 48, v[8:9]
	s_delay_alu instid0(VALU_DEP_2)
	v_add_nc_u64_e32 v[8:9], 24, v[10:11]
	v_lshl_add_u64 v[10:11], v[0:1], 3, s[14:15]
.LBB305_5:                              ; =>This Inner Loop Header: Depth=1
	global_load_b64 v[40:41], v[10:11], off
	v_add_nc_u64_e32 v[12:13], v[4:5], v[2:3]
	v_add_nc_u64_e32 v[16:17], 0x70, v[4:5]
	v_add_nc_u64_e32 v[18:19], 0xe0, v[4:5]
	v_add_nc_u64_e32 v[20:21], 0x150, v[4:5]
	v_add_nc_u64_e32 v[22:23], 0x1c0, v[4:5]
	v_add_nc_u64_e32 v[24:25], 0x230, v[4:5]
	v_add_nc_u64_e32 v[26:27], 0x2a0, v[4:5]
	v_add_nc_u64_e32 v[28:29], 16, v[12:13]
	v_add_nc_u64_e32 v[30:31], 32, v[12:13]
	v_add_nc_u64_e32 v[32:33], 48, v[12:13]
	v_add_nc_u64_e32 v[34:35], 64, v[12:13]
	v_add_nc_u64_e32 v[36:37], 0x50, v[12:13]
	v_dual_cndmask_b32 v15, v5, v13 :: v_dual_cndmask_b32 v14, v4, v12
	v_add_nc_u64_e32 v[38:39], 0x60, v[12:13]
	v_dual_cndmask_b32 v43, v17, v29 :: v_dual_cndmask_b32 v42, v16, v28
	v_dual_cndmask_b32 v45, v19, v31 :: v_dual_cndmask_b32 v44, v18, v30
	;; [unrolled: 1-line block ×3, first 2 shown]
	global_load_b128 v[12:15], v[14:15], off
	v_dual_cndmask_b32 v49, v23, v35 :: v_dual_cndmask_b32 v48, v22, v34
	v_dual_cndmask_b32 v51, v25, v37 :: v_dual_cndmask_b32 v50, v24, v36
	;; [unrolled: 1-line block ×3, first 2 shown]
	global_load_b128 v[16:19], v[42:43], off
	global_load_b128 v[20:23], v[44:45], off
	;; [unrolled: 1-line block ×6, first 2 shown]
	v_add_nc_u64_e32 v[0:1], 32, v[0:1]
	s_wait_xcnt 0x7
	v_add_nc_u64_e32 v[10:11], 0x100, v[10:11]
	v_add_nc_u64_e32 v[4:5], 0x6200, v[4:5]
	s_delay_alu instid0(VALU_DEP_3) | instskip(SKIP_4) | instid1(VALU_DEP_1)
	v_cmp_le_i64_e64 s0, s[6:7], v[0:1]
	s_or_b32 s1, s0, s1
	s_wait_loadcnt 0x7
	s_wait_xcnt 0x5
	v_sub_nc_u64_e64 v[42:43], v[40:41], s[8:9]
	v_mad_nc_u64_u32 v[40:41], v42, 7, s[2:3]
	s_delay_alu instid0(VALU_DEP_1)
	v_mad_u32 v41, v43, 7, v41
	s_wait_loadcnt 0x6
	global_store_b128 v[6:7], v[12:15], off offset:-48
	s_wait_loadcnt 0x5
	global_store_b128 v[6:7], v[16:19], off offset:-32
	;; [unrolled: 2-line block ×3, first 2 shown]
	s_wait_loadcnt 0x3
	global_store_b128 v[6:7], v[24:27], off
	s_wait_loadcnt 0x2
	global_store_b128 v[6:7], v[28:31], off offset:16
	s_wait_loadcnt 0x1
	global_store_b128 v[6:7], v[32:35], off offset:32
	v_add_nc_u64_e32 v[42:43], 1, v[40:41]
	s_wait_xcnt 0x5
	v_add_nc_u64_e32 v[12:13], 2, v[40:41]
	v_add_nc_u64_e32 v[14:15], 3, v[40:41]
	s_wait_xcnt 0x4
	v_add_nc_u64_e32 v[16:17], 4, v[40:41]
	;; [unrolled: 3-line block ×3, first 2 shown]
	s_wait_loadcnt 0x0
	global_store_b128 v[6:7], v[36:39], off offset:48
	s_wait_xcnt 0x0
	v_add_nc_u64_e32 v[6:7], 0xe00, v[6:7]
	s_clause 0x3
	global_store_b128 v[8:9], v[40:43], off offset:-24
	global_store_b128 v[8:9], v[12:15], off offset:-8
	global_store_b128 v[8:9], v[16:19], off offset:8
	global_store_b64 v[8:9], v[20:21], off offset:24
	s_wait_xcnt 0x0
	v_add_nc_u64_e32 v[8:9], 0x700, v[8:9]
	s_and_not1_b32 exec_lo, exec_lo, s1
	s_cbranch_execnz .LBB305_5
.LBB305_6:
	s_endpgm
	.section	.rodata,"a",@progbits
	.p2align	6, 0x0
	.amdhsa_kernel _ZN9rocsparseL32bsr2csr_block_per_row_2_7_kernelILj256ELj7E21rocsparse_complex_numIdEllEEv20rocsparse_direction_T3_S4_21rocsparse_index_base_PKT1_PKT2_PKS4_S4_S5_PS6_PS9_PS4_
		.amdhsa_group_segment_fixed_size 0
		.amdhsa_private_segment_fixed_size 0
		.amdhsa_kernarg_size 96
		.amdhsa_user_sgpr_count 2
		.amdhsa_user_sgpr_dispatch_ptr 0
		.amdhsa_user_sgpr_queue_ptr 0
		.amdhsa_user_sgpr_kernarg_segment_ptr 1
		.amdhsa_user_sgpr_dispatch_id 0
		.amdhsa_user_sgpr_kernarg_preload_length 0
		.amdhsa_user_sgpr_kernarg_preload_offset 0
		.amdhsa_user_sgpr_private_segment_size 0
		.amdhsa_wavefront_size32 1
		.amdhsa_uses_dynamic_stack 0
		.amdhsa_enable_private_segment 0
		.amdhsa_system_sgpr_workgroup_id_x 1
		.amdhsa_system_sgpr_workgroup_id_y 0
		.amdhsa_system_sgpr_workgroup_id_z 0
		.amdhsa_system_sgpr_workgroup_info 0
		.amdhsa_system_vgpr_workitem_id 0
		.amdhsa_next_free_vgpr 54
		.amdhsa_next_free_sgpr 18
		.amdhsa_named_barrier_count 0
		.amdhsa_reserve_vcc 1
		.amdhsa_float_round_mode_32 0
		.amdhsa_float_round_mode_16_64 0
		.amdhsa_float_denorm_mode_32 3
		.amdhsa_float_denorm_mode_16_64 3
		.amdhsa_fp16_overflow 0
		.amdhsa_memory_ordered 1
		.amdhsa_forward_progress 1
		.amdhsa_inst_pref_size 9
		.amdhsa_round_robin_scheduling 0
		.amdhsa_exception_fp_ieee_invalid_op 0
		.amdhsa_exception_fp_denorm_src 0
		.amdhsa_exception_fp_ieee_div_zero 0
		.amdhsa_exception_fp_ieee_overflow 0
		.amdhsa_exception_fp_ieee_underflow 0
		.amdhsa_exception_fp_ieee_inexact 0
		.amdhsa_exception_int_div_zero 0
	.end_amdhsa_kernel
	.section	.text._ZN9rocsparseL32bsr2csr_block_per_row_2_7_kernelILj256ELj7E21rocsparse_complex_numIdEllEEv20rocsparse_direction_T3_S4_21rocsparse_index_base_PKT1_PKT2_PKS4_S4_S5_PS6_PS9_PS4_,"axG",@progbits,_ZN9rocsparseL32bsr2csr_block_per_row_2_7_kernelILj256ELj7E21rocsparse_complex_numIdEllEEv20rocsparse_direction_T3_S4_21rocsparse_index_base_PKT1_PKT2_PKS4_S4_S5_PS6_PS9_PS4_,comdat
.Lfunc_end305:
	.size	_ZN9rocsparseL32bsr2csr_block_per_row_2_7_kernelILj256ELj7E21rocsparse_complex_numIdEllEEv20rocsparse_direction_T3_S4_21rocsparse_index_base_PKT1_PKT2_PKS4_S4_S5_PS6_PS9_PS4_, .Lfunc_end305-_ZN9rocsparseL32bsr2csr_block_per_row_2_7_kernelILj256ELj7E21rocsparse_complex_numIdEllEEv20rocsparse_direction_T3_S4_21rocsparse_index_base_PKT1_PKT2_PKS4_S4_S5_PS6_PS9_PS4_
                                        ; -- End function
	.set _ZN9rocsparseL32bsr2csr_block_per_row_2_7_kernelILj256ELj7E21rocsparse_complex_numIdEllEEv20rocsparse_direction_T3_S4_21rocsparse_index_base_PKT1_PKT2_PKS4_S4_S5_PS6_PS9_PS4_.num_vgpr, 54
	.set _ZN9rocsparseL32bsr2csr_block_per_row_2_7_kernelILj256ELj7E21rocsparse_complex_numIdEllEEv20rocsparse_direction_T3_S4_21rocsparse_index_base_PKT1_PKT2_PKS4_S4_S5_PS6_PS9_PS4_.num_agpr, 0
	.set _ZN9rocsparseL32bsr2csr_block_per_row_2_7_kernelILj256ELj7E21rocsparse_complex_numIdEllEEv20rocsparse_direction_T3_S4_21rocsparse_index_base_PKT1_PKT2_PKS4_S4_S5_PS6_PS9_PS4_.numbered_sgpr, 18
	.set _ZN9rocsparseL32bsr2csr_block_per_row_2_7_kernelILj256ELj7E21rocsparse_complex_numIdEllEEv20rocsparse_direction_T3_S4_21rocsparse_index_base_PKT1_PKT2_PKS4_S4_S5_PS6_PS9_PS4_.num_named_barrier, 0
	.set _ZN9rocsparseL32bsr2csr_block_per_row_2_7_kernelILj256ELj7E21rocsparse_complex_numIdEllEEv20rocsparse_direction_T3_S4_21rocsparse_index_base_PKT1_PKT2_PKS4_S4_S5_PS6_PS9_PS4_.private_seg_size, 0
	.set _ZN9rocsparseL32bsr2csr_block_per_row_2_7_kernelILj256ELj7E21rocsparse_complex_numIdEllEEv20rocsparse_direction_T3_S4_21rocsparse_index_base_PKT1_PKT2_PKS4_S4_S5_PS6_PS9_PS4_.uses_vcc, 1
	.set _ZN9rocsparseL32bsr2csr_block_per_row_2_7_kernelILj256ELj7E21rocsparse_complex_numIdEllEEv20rocsparse_direction_T3_S4_21rocsparse_index_base_PKT1_PKT2_PKS4_S4_S5_PS6_PS9_PS4_.uses_flat_scratch, 0
	.set _ZN9rocsparseL32bsr2csr_block_per_row_2_7_kernelILj256ELj7E21rocsparse_complex_numIdEllEEv20rocsparse_direction_T3_S4_21rocsparse_index_base_PKT1_PKT2_PKS4_S4_S5_PS6_PS9_PS4_.has_dyn_sized_stack, 0
	.set _ZN9rocsparseL32bsr2csr_block_per_row_2_7_kernelILj256ELj7E21rocsparse_complex_numIdEllEEv20rocsparse_direction_T3_S4_21rocsparse_index_base_PKT1_PKT2_PKS4_S4_S5_PS6_PS9_PS4_.has_recursion, 0
	.set _ZN9rocsparseL32bsr2csr_block_per_row_2_7_kernelILj256ELj7E21rocsparse_complex_numIdEllEEv20rocsparse_direction_T3_S4_21rocsparse_index_base_PKT1_PKT2_PKS4_S4_S5_PS6_PS9_PS4_.has_indirect_call, 0
	.section	.AMDGPU.csdata,"",@progbits
; Kernel info:
; codeLenInByte = 1032
; TotalNumSgprs: 20
; NumVgprs: 54
; ScratchSize: 0
; MemoryBound: 0
; FloatMode: 240
; IeeeMode: 1
; LDSByteSize: 0 bytes/workgroup (compile time only)
; SGPRBlocks: 0
; VGPRBlocks: 3
; NumSGPRsForWavesPerEU: 20
; NumVGPRsForWavesPerEU: 54
; NamedBarCnt: 0
; Occupancy: 16
; WaveLimiterHint : 0
; COMPUTE_PGM_RSRC2:SCRATCH_EN: 0
; COMPUTE_PGM_RSRC2:USER_SGPR: 2
; COMPUTE_PGM_RSRC2:TRAP_HANDLER: 0
; COMPUTE_PGM_RSRC2:TGID_X_EN: 1
; COMPUTE_PGM_RSRC2:TGID_Y_EN: 0
; COMPUTE_PGM_RSRC2:TGID_Z_EN: 0
; COMPUTE_PGM_RSRC2:TIDIG_COMP_CNT: 0
	.section	.text._ZN9rocsparseL33bsr2csr_block_per_row_8_32_kernelILj1024ELj8E21rocsparse_complex_numIdEllEEv20rocsparse_direction_T3_S4_21rocsparse_index_base_PKT1_PKT2_PKS4_S4_S5_PS6_PS9_PS4_,"axG",@progbits,_ZN9rocsparseL33bsr2csr_block_per_row_8_32_kernelILj1024ELj8E21rocsparse_complex_numIdEllEEv20rocsparse_direction_T3_S4_21rocsparse_index_base_PKT1_PKT2_PKS4_S4_S5_PS6_PS9_PS4_,comdat
	.globl	_ZN9rocsparseL33bsr2csr_block_per_row_8_32_kernelILj1024ELj8E21rocsparse_complex_numIdEllEEv20rocsparse_direction_T3_S4_21rocsparse_index_base_PKT1_PKT2_PKS4_S4_S5_PS6_PS9_PS4_ ; -- Begin function _ZN9rocsparseL33bsr2csr_block_per_row_8_32_kernelILj1024ELj8E21rocsparse_complex_numIdEllEEv20rocsparse_direction_T3_S4_21rocsparse_index_base_PKT1_PKT2_PKS4_S4_S5_PS6_PS9_PS4_
	.p2align	8
	.type	_ZN9rocsparseL33bsr2csr_block_per_row_8_32_kernelILj1024ELj8E21rocsparse_complex_numIdEllEEv20rocsparse_direction_T3_S4_21rocsparse_index_base_PKT1_PKT2_PKS4_S4_S5_PS6_PS9_PS4_,@function
_ZN9rocsparseL33bsr2csr_block_per_row_8_32_kernelILj1024ELj8E21rocsparse_complex_numIdEllEEv20rocsparse_direction_T3_S4_21rocsparse_index_base_PKT1_PKT2_PKS4_S4_S5_PS6_PS9_PS4_: ; @_ZN9rocsparseL33bsr2csr_block_per_row_8_32_kernelILj1024ELj8E21rocsparse_complex_numIdEllEEv20rocsparse_direction_T3_S4_21rocsparse_index_base_PKT1_PKT2_PKS4_S4_S5_PS6_PS9_PS4_
; %bb.0:
	s_clause 0x1
	s_load_b32 s6, s[0:1], 0x40
	s_load_b64 s[12:13], s[0:1], 0x50
	s_bfe_u32 s2, ttmp6, 0x4000c
	s_and_b32 s3, ttmp6, 15
	s_add_co_i32 s2, s2, 1
	s_getreg_b32 s4, hwreg(HW_REG_IB_STS2, 6, 4)
	s_mul_i32 s2, ttmp9, s2
	s_mov_b32 s15, 0
	s_add_co_i32 s3, s3, s2
	s_cmp_eq_u32 s4, 0
	s_mov_b32 s2, exec_lo
	s_cselect_b32 s14, ttmp9, s3
	s_delay_alu instid0(SALU_CYCLE_1) | instskip(NEXT) | instid1(VALU_DEP_1)
	v_or_b32_e32 v1, s14, v0
	v_cmpx_eq_u32_e32 0, v1
	s_cbranch_execz .LBB306_2
; %bb.1:
	s_wait_kmcnt 0x0
	v_dual_mov_b32 v2, s6 :: v_dual_mov_b32 v3, 0
	global_store_b64 v3, v[2:3], s[12:13]
.LBB306_2:
	s_wait_xcnt 0x0
	s_or_b32 exec_lo, exec_lo, s2
	v_dual_mov_b32 v3, 0 :: v_dual_bitop2_b32 v2, 7, v0 bitop3:0x40
	v_bfe_u32 v4, v0, 3, 3
	s_load_b64 s[2:3], s[0:1], 0x38
	s_mov_b32 s4, exec_lo
	s_delay_alu instid0(VALU_DEP_2) | instskip(NEXT) | instid1(VALU_DEP_1)
	v_mov_b32_e32 v5, v3
	v_max_i64 v[6:7], v[4:5], v[2:3]
	s_wait_kmcnt 0x0
	s_delay_alu instid0(VALU_DEP_1)
	v_cmpx_gt_i64_e64 s[2:3], v[6:7]
	s_cbranch_execz .LBB306_6
; %bb.3:
	s_clause 0x1
	s_load_b64 s[8:9], s[0:1], 0x28
	s_load_b32 s4, s[0:1], 0x18
	s_lshl_b64 s[10:11], s[14:15], 3
	s_mov_b32 s5, 0
	v_dual_mov_b32 v7, v3 :: v_dual_lshrrev_b32 v6, 6, v0
	s_mov_b32 s7, s5
	s_mul_u64 s[14:15], s[2:3], s[14:15]
	s_delay_alu instid0(SALU_CYCLE_1) | instskip(NEXT) | instid1(SALU_CYCLE_1)
	s_lshl_b64 s[14:15], s[14:15], 3
	s_add_nc_u64 s[12:13], s[12:13], s[14:15]
	s_wait_kmcnt 0x0
	s_add_nc_u64 s[16:17], s[8:9], s[10:11]
	s_load_b128 s[8:11], s[16:17], 0x0
	s_wait_kmcnt 0x0
	s_sub_nc_u64 s[16:17], s[8:9], s[4:5]
	s_sub_nc_u64 s[8:9], s[10:11], s[4:5]
	s_mul_u64 s[10:11], s[2:3], s[2:3]
	s_sub_nc_u64 s[18:19], s[8:9], s[16:17]
	s_mul_u64 s[22:23], s[16:17], s[10:11]
	s_mul_u64 s[20:21], s[18:19], s[2:3]
	v_add_nc_u64_e32 v[0:1], s[16:17], v[6:7]
	s_add_nc_u64 s[24:25], s[20:21], s[6:7]
	s_delay_alu instid0(SALU_CYCLE_1) | instskip(NEXT) | instid1(SALU_CYCLE_1)
	s_add_nc_u64 s[22:23], s[24:25], s[22:23]
	v_mad_nc_u64_u32 v[8:9], s20, v4, s[22:23]
	s_delay_alu instid0(VALU_DEP_2) | instskip(NEXT) | instid1(VALU_DEP_2)
	v_cmp_gt_i64_e32 vcc_lo, s[8:9], v[0:1]
	v_mad_u32 v9, s21, v4, v9
	global_store_b64 v4, v[8:9], s[12:13] offset:8 scale_offset
	s_wait_xcnt 0x0
	s_and_b32 exec_lo, exec_lo, vcc_lo
	s_cbranch_execz .LBB306_6
; %bb.4:
	v_mad_nc_u64_u32 v[6:7], s2, s16, v[6:7]
	s_mul_i32 s12, s3, s16
	s_mul_i32 s13, s2, s17
	v_mul_u64_e32 v[8:9], s[2:3], v[2:3]
	v_mul_u64_e32 v[10:11], s[2:3], v[4:5]
	;; [unrolled: 1-line block ×3, first 2 shown]
	v_dual_mov_b32 v5, 0 :: v_dual_lshlrev_b32 v14, 3, v2
	v_add3_u32 v7, s13, s12, v7
	s_load_b64 s[12:13], s[0:1], 0x20
	s_delay_alu instid0(VALU_DEP_1) | instskip(SKIP_4) | instid1(VALU_DEP_1)
	v_mad_nc_u64_u32 v[6:7], s18, v4, v[6:7]
	s_clause 0x2
	s_load_b64 s[14:15], s[0:1], 0x30
	s_load_b64 s[16:17], s[0:1], 0x48
	s_load_b32 s18, s[0:1], 0x0
	v_mad_u32 v7, s19, v4, v7
	v_lshlrev_b32_e32 v4, 4, v4
	s_wait_xcnt 0x0
	s_load_b64 s[0:1], s[0:1], 0x58
	s_wait_kmcnt 0x0
	v_lshl_add_u64 v[8:9], v[8:9], 4, s[12:13]
	v_lshl_add_u64 v[10:11], v[10:11], 4, s[12:13]
	s_cmp_eq_u32 s18, 0
	s_delay_alu instid0(VALU_DEP_4)
	v_mul_u64_e32 v[6:7], s[2:3], v[6:7]
	s_cselect_b32 vcc_lo, -1, 0
	v_add_nc_u64_e32 v[8:9], v[8:9], v[4:5]
	v_lshlrev_b32_e32 v4, 4, v2
	v_add_nc_u64_e32 v[2:3], s[6:7], v[2:3]
	s_lshl_b64 s[6:7], s[2:3], 7
	s_mov_b32 s12, s5
	s_delay_alu instid0(VALU_DEP_2) | instskip(NEXT) | instid1(VALU_DEP_1)
	v_add_nc_u64_e32 v[10:11], v[10:11], v[4:5]
	v_dual_mov_b32 v15, v5 :: v_dual_cndmask_b32 v8, v8, v10
	s_delay_alu instid0(VALU_DEP_2) | instskip(NEXT) | instid1(VALU_DEP_2)
	v_cndmask_b32_e32 v9, v9, v11, vcc_lo
	v_lshl_add_u64 v[10:11], v[6:7], 3, v[14:15]
	v_lshl_add_u64 v[14:15], v[6:7], 4, v[4:5]
	s_delay_alu instid0(VALU_DEP_3) | instskip(NEXT) | instid1(VALU_DEP_3)
	v_lshl_add_u64 v[4:5], v[12:13], 4, v[8:9]
	v_add_nc_u64_e32 v[6:7], s[0:1], v[10:11]
	s_delay_alu instid0(VALU_DEP_3)
	v_add_nc_u64_e32 v[8:9], s[16:17], v[14:15]
	v_lshl_add_u64 v[10:11], v[0:1], 3, s[14:15]
	s_lshl_b64 s[0:1], s[10:11], 8
	s_lshl_b64 s[10:11], s[2:3], 8
.LBB306_5:                              ; =>This Inner Loop Header: Depth=1
	global_load_b64 v[16:17], v[10:11], off
	global_load_b128 v[12:15], v[4:5], off
	v_add_nc_u64_e32 v[0:1], 16, v[0:1]
	s_wait_xcnt 0x0
	v_add_nc_u64_e32 v[4:5], s[0:1], v[4:5]
	v_add_nc_u64_e32 v[10:11], 0x80, v[10:11]
	s_delay_alu instid0(VALU_DEP_3)
	v_cmp_le_i64_e32 vcc_lo, s[8:9], v[0:1]
	s_or_b32 s12, vcc_lo, s12
	s_wait_loadcnt 0x1
	v_sub_nc_u64_e64 v[16:17], v[16:17], s[4:5]
	s_wait_loadcnt 0x0
	global_store_b128 v[8:9], v[12:15], off
	s_wait_xcnt 0x0
	v_add_nc_u64_e32 v[8:9], s[10:11], v[8:9]
	v_mad_nc_u64_u32 v[18:19], v16, s2, v[2:3]
	s_delay_alu instid0(VALU_DEP_1) | instskip(NEXT) | instid1(VALU_DEP_1)
	v_mad_u32 v17, v17, s2, v19
	v_mad_u32 v19, v16, s3, v17
	global_store_b64 v[6:7], v[18:19], off
	s_wait_xcnt 0x0
	v_add_nc_u64_e32 v[6:7], s[6:7], v[6:7]
	s_and_not1_b32 exec_lo, exec_lo, s12
	s_cbranch_execnz .LBB306_5
.LBB306_6:
	s_endpgm
	.section	.rodata,"a",@progbits
	.p2align	6, 0x0
	.amdhsa_kernel _ZN9rocsparseL33bsr2csr_block_per_row_8_32_kernelILj1024ELj8E21rocsparse_complex_numIdEllEEv20rocsparse_direction_T3_S4_21rocsparse_index_base_PKT1_PKT2_PKS4_S4_S5_PS6_PS9_PS4_
		.amdhsa_group_segment_fixed_size 0
		.amdhsa_private_segment_fixed_size 0
		.amdhsa_kernarg_size 96
		.amdhsa_user_sgpr_count 2
		.amdhsa_user_sgpr_dispatch_ptr 0
		.amdhsa_user_sgpr_queue_ptr 0
		.amdhsa_user_sgpr_kernarg_segment_ptr 1
		.amdhsa_user_sgpr_dispatch_id 0
		.amdhsa_user_sgpr_kernarg_preload_length 0
		.amdhsa_user_sgpr_kernarg_preload_offset 0
		.amdhsa_user_sgpr_private_segment_size 0
		.amdhsa_wavefront_size32 1
		.amdhsa_uses_dynamic_stack 0
		.amdhsa_enable_private_segment 0
		.amdhsa_system_sgpr_workgroup_id_x 1
		.amdhsa_system_sgpr_workgroup_id_y 0
		.amdhsa_system_sgpr_workgroup_id_z 0
		.amdhsa_system_sgpr_workgroup_info 0
		.amdhsa_system_vgpr_workitem_id 0
		.amdhsa_next_free_vgpr 20
		.amdhsa_next_free_sgpr 26
		.amdhsa_named_barrier_count 0
		.amdhsa_reserve_vcc 1
		.amdhsa_float_round_mode_32 0
		.amdhsa_float_round_mode_16_64 0
		.amdhsa_float_denorm_mode_32 3
		.amdhsa_float_denorm_mode_16_64 3
		.amdhsa_fp16_overflow 0
		.amdhsa_memory_ordered 1
		.amdhsa_forward_progress 1
		.amdhsa_inst_pref_size 6
		.amdhsa_round_robin_scheduling 0
		.amdhsa_exception_fp_ieee_invalid_op 0
		.amdhsa_exception_fp_denorm_src 0
		.amdhsa_exception_fp_ieee_div_zero 0
		.amdhsa_exception_fp_ieee_overflow 0
		.amdhsa_exception_fp_ieee_underflow 0
		.amdhsa_exception_fp_ieee_inexact 0
		.amdhsa_exception_int_div_zero 0
	.end_amdhsa_kernel
	.section	.text._ZN9rocsparseL33bsr2csr_block_per_row_8_32_kernelILj1024ELj8E21rocsparse_complex_numIdEllEEv20rocsparse_direction_T3_S4_21rocsparse_index_base_PKT1_PKT2_PKS4_S4_S5_PS6_PS9_PS4_,"axG",@progbits,_ZN9rocsparseL33bsr2csr_block_per_row_8_32_kernelILj1024ELj8E21rocsparse_complex_numIdEllEEv20rocsparse_direction_T3_S4_21rocsparse_index_base_PKT1_PKT2_PKS4_S4_S5_PS6_PS9_PS4_,comdat
.Lfunc_end306:
	.size	_ZN9rocsparseL33bsr2csr_block_per_row_8_32_kernelILj1024ELj8E21rocsparse_complex_numIdEllEEv20rocsparse_direction_T3_S4_21rocsparse_index_base_PKT1_PKT2_PKS4_S4_S5_PS6_PS9_PS4_, .Lfunc_end306-_ZN9rocsparseL33bsr2csr_block_per_row_8_32_kernelILj1024ELj8E21rocsparse_complex_numIdEllEEv20rocsparse_direction_T3_S4_21rocsparse_index_base_PKT1_PKT2_PKS4_S4_S5_PS6_PS9_PS4_
                                        ; -- End function
	.set _ZN9rocsparseL33bsr2csr_block_per_row_8_32_kernelILj1024ELj8E21rocsparse_complex_numIdEllEEv20rocsparse_direction_T3_S4_21rocsparse_index_base_PKT1_PKT2_PKS4_S4_S5_PS6_PS9_PS4_.num_vgpr, 20
	.set _ZN9rocsparseL33bsr2csr_block_per_row_8_32_kernelILj1024ELj8E21rocsparse_complex_numIdEllEEv20rocsparse_direction_T3_S4_21rocsparse_index_base_PKT1_PKT2_PKS4_S4_S5_PS6_PS9_PS4_.num_agpr, 0
	.set _ZN9rocsparseL33bsr2csr_block_per_row_8_32_kernelILj1024ELj8E21rocsparse_complex_numIdEllEEv20rocsparse_direction_T3_S4_21rocsparse_index_base_PKT1_PKT2_PKS4_S4_S5_PS6_PS9_PS4_.numbered_sgpr, 26
	.set _ZN9rocsparseL33bsr2csr_block_per_row_8_32_kernelILj1024ELj8E21rocsparse_complex_numIdEllEEv20rocsparse_direction_T3_S4_21rocsparse_index_base_PKT1_PKT2_PKS4_S4_S5_PS6_PS9_PS4_.num_named_barrier, 0
	.set _ZN9rocsparseL33bsr2csr_block_per_row_8_32_kernelILj1024ELj8E21rocsparse_complex_numIdEllEEv20rocsparse_direction_T3_S4_21rocsparse_index_base_PKT1_PKT2_PKS4_S4_S5_PS6_PS9_PS4_.private_seg_size, 0
	.set _ZN9rocsparseL33bsr2csr_block_per_row_8_32_kernelILj1024ELj8E21rocsparse_complex_numIdEllEEv20rocsparse_direction_T3_S4_21rocsparse_index_base_PKT1_PKT2_PKS4_S4_S5_PS6_PS9_PS4_.uses_vcc, 1
	.set _ZN9rocsparseL33bsr2csr_block_per_row_8_32_kernelILj1024ELj8E21rocsparse_complex_numIdEllEEv20rocsparse_direction_T3_S4_21rocsparse_index_base_PKT1_PKT2_PKS4_S4_S5_PS6_PS9_PS4_.uses_flat_scratch, 0
	.set _ZN9rocsparseL33bsr2csr_block_per_row_8_32_kernelILj1024ELj8E21rocsparse_complex_numIdEllEEv20rocsparse_direction_T3_S4_21rocsparse_index_base_PKT1_PKT2_PKS4_S4_S5_PS6_PS9_PS4_.has_dyn_sized_stack, 0
	.set _ZN9rocsparseL33bsr2csr_block_per_row_8_32_kernelILj1024ELj8E21rocsparse_complex_numIdEllEEv20rocsparse_direction_T3_S4_21rocsparse_index_base_PKT1_PKT2_PKS4_S4_S5_PS6_PS9_PS4_.has_recursion, 0
	.set _ZN9rocsparseL33bsr2csr_block_per_row_8_32_kernelILj1024ELj8E21rocsparse_complex_numIdEllEEv20rocsparse_direction_T3_S4_21rocsparse_index_base_PKT1_PKT2_PKS4_S4_S5_PS6_PS9_PS4_.has_indirect_call, 0
	.section	.AMDGPU.csdata,"",@progbits
; Kernel info:
; codeLenInByte = 748
; TotalNumSgprs: 28
; NumVgprs: 20
; ScratchSize: 0
; MemoryBound: 0
; FloatMode: 240
; IeeeMode: 1
; LDSByteSize: 0 bytes/workgroup (compile time only)
; SGPRBlocks: 0
; VGPRBlocks: 1
; NumSGPRsForWavesPerEU: 28
; NumVGPRsForWavesPerEU: 20
; NamedBarCnt: 0
; Occupancy: 16
; WaveLimiterHint : 0
; COMPUTE_PGM_RSRC2:SCRATCH_EN: 0
; COMPUTE_PGM_RSRC2:USER_SGPR: 2
; COMPUTE_PGM_RSRC2:TRAP_HANDLER: 0
; COMPUTE_PGM_RSRC2:TGID_X_EN: 1
; COMPUTE_PGM_RSRC2:TGID_Y_EN: 0
; COMPUTE_PGM_RSRC2:TGID_Z_EN: 0
; COMPUTE_PGM_RSRC2:TIDIG_COMP_CNT: 0
	.section	.text._ZN9rocsparseL33bsr2csr_block_per_row_8_32_kernelILj1024ELj16E21rocsparse_complex_numIdEllEEv20rocsparse_direction_T3_S4_21rocsparse_index_base_PKT1_PKT2_PKS4_S4_S5_PS6_PS9_PS4_,"axG",@progbits,_ZN9rocsparseL33bsr2csr_block_per_row_8_32_kernelILj1024ELj16E21rocsparse_complex_numIdEllEEv20rocsparse_direction_T3_S4_21rocsparse_index_base_PKT1_PKT2_PKS4_S4_S5_PS6_PS9_PS4_,comdat
	.globl	_ZN9rocsparseL33bsr2csr_block_per_row_8_32_kernelILj1024ELj16E21rocsparse_complex_numIdEllEEv20rocsparse_direction_T3_S4_21rocsparse_index_base_PKT1_PKT2_PKS4_S4_S5_PS6_PS9_PS4_ ; -- Begin function _ZN9rocsparseL33bsr2csr_block_per_row_8_32_kernelILj1024ELj16E21rocsparse_complex_numIdEllEEv20rocsparse_direction_T3_S4_21rocsparse_index_base_PKT1_PKT2_PKS4_S4_S5_PS6_PS9_PS4_
	.p2align	8
	.type	_ZN9rocsparseL33bsr2csr_block_per_row_8_32_kernelILj1024ELj16E21rocsparse_complex_numIdEllEEv20rocsparse_direction_T3_S4_21rocsparse_index_base_PKT1_PKT2_PKS4_S4_S5_PS6_PS9_PS4_,@function
_ZN9rocsparseL33bsr2csr_block_per_row_8_32_kernelILj1024ELj16E21rocsparse_complex_numIdEllEEv20rocsparse_direction_T3_S4_21rocsparse_index_base_PKT1_PKT2_PKS4_S4_S5_PS6_PS9_PS4_: ; @_ZN9rocsparseL33bsr2csr_block_per_row_8_32_kernelILj1024ELj16E21rocsparse_complex_numIdEllEEv20rocsparse_direction_T3_S4_21rocsparse_index_base_PKT1_PKT2_PKS4_S4_S5_PS6_PS9_PS4_
; %bb.0:
	s_clause 0x1
	s_load_b32 s6, s[0:1], 0x40
	s_load_b64 s[12:13], s[0:1], 0x50
	s_bfe_u32 s2, ttmp6, 0x4000c
	s_and_b32 s3, ttmp6, 15
	s_add_co_i32 s2, s2, 1
	s_getreg_b32 s4, hwreg(HW_REG_IB_STS2, 6, 4)
	s_mul_i32 s2, ttmp9, s2
	s_mov_b32 s15, 0
	s_add_co_i32 s3, s3, s2
	s_cmp_eq_u32 s4, 0
	s_mov_b32 s2, exec_lo
	s_cselect_b32 s14, ttmp9, s3
	s_delay_alu instid0(SALU_CYCLE_1) | instskip(NEXT) | instid1(VALU_DEP_1)
	v_or_b32_e32 v1, s14, v0
	v_cmpx_eq_u32_e32 0, v1
	s_cbranch_execz .LBB307_2
; %bb.1:
	s_wait_kmcnt 0x0
	v_dual_mov_b32 v2, s6 :: v_dual_mov_b32 v3, 0
	global_store_b64 v3, v[2:3], s[12:13]
.LBB307_2:
	s_wait_xcnt 0x0
	s_or_b32 exec_lo, exec_lo, s2
	v_dual_mov_b32 v3, 0 :: v_dual_bitop2_b32 v2, 15, v0 bitop3:0x40
	v_bfe_u32 v4, v0, 4, 4
	s_load_b64 s[2:3], s[0:1], 0x38
	s_mov_b32 s4, exec_lo
	s_delay_alu instid0(VALU_DEP_2) | instskip(NEXT) | instid1(VALU_DEP_1)
	v_mov_b32_e32 v5, v3
	v_max_i64 v[6:7], v[4:5], v[2:3]
	s_wait_kmcnt 0x0
	s_delay_alu instid0(VALU_DEP_1)
	v_cmpx_gt_i64_e64 s[2:3], v[6:7]
	s_cbranch_execz .LBB307_6
; %bb.3:
	s_clause 0x1
	s_load_b64 s[8:9], s[0:1], 0x28
	s_load_b32 s4, s[0:1], 0x18
	s_lshl_b64 s[10:11], s[14:15], 3
	s_mov_b32 s5, 0
	v_dual_mov_b32 v7, v3 :: v_dual_lshrrev_b32 v6, 8, v0
	s_mov_b32 s7, s5
	s_mul_u64 s[14:15], s[2:3], s[14:15]
	s_delay_alu instid0(SALU_CYCLE_1) | instskip(NEXT) | instid1(SALU_CYCLE_1)
	s_lshl_b64 s[14:15], s[14:15], 3
	s_add_nc_u64 s[12:13], s[12:13], s[14:15]
	s_wait_kmcnt 0x0
	s_add_nc_u64 s[16:17], s[8:9], s[10:11]
	s_load_b128 s[8:11], s[16:17], 0x0
	s_wait_kmcnt 0x0
	s_sub_nc_u64 s[16:17], s[8:9], s[4:5]
	s_sub_nc_u64 s[8:9], s[10:11], s[4:5]
	s_mul_u64 s[10:11], s[2:3], s[2:3]
	s_sub_nc_u64 s[18:19], s[8:9], s[16:17]
	s_mul_u64 s[22:23], s[16:17], s[10:11]
	s_mul_u64 s[20:21], s[18:19], s[2:3]
	v_add_nc_u64_e32 v[0:1], s[16:17], v[6:7]
	s_add_nc_u64 s[24:25], s[20:21], s[6:7]
	s_delay_alu instid0(SALU_CYCLE_1) | instskip(NEXT) | instid1(SALU_CYCLE_1)
	s_add_nc_u64 s[22:23], s[24:25], s[22:23]
	v_mad_nc_u64_u32 v[8:9], s20, v4, s[22:23]
	s_delay_alu instid0(VALU_DEP_2) | instskip(NEXT) | instid1(VALU_DEP_2)
	v_cmp_gt_i64_e32 vcc_lo, s[8:9], v[0:1]
	v_mad_u32 v9, s21, v4, v9
	global_store_b64 v4, v[8:9], s[12:13] offset:8 scale_offset
	s_wait_xcnt 0x0
	s_and_b32 exec_lo, exec_lo, vcc_lo
	s_cbranch_execz .LBB307_6
; %bb.4:
	v_mad_nc_u64_u32 v[6:7], s2, s16, v[6:7]
	s_mul_i32 s12, s3, s16
	s_mul_i32 s13, s2, s17
	v_mul_u64_e32 v[8:9], s[2:3], v[2:3]
	v_mul_u64_e32 v[10:11], s[2:3], v[4:5]
	;; [unrolled: 1-line block ×3, first 2 shown]
	v_dual_mov_b32 v5, 0 :: v_dual_lshlrev_b32 v14, 3, v2
	v_add3_u32 v7, s13, s12, v7
	s_load_b64 s[12:13], s[0:1], 0x20
	s_delay_alu instid0(VALU_DEP_1) | instskip(SKIP_4) | instid1(VALU_DEP_1)
	v_mad_nc_u64_u32 v[6:7], s18, v4, v[6:7]
	s_clause 0x2
	s_load_b64 s[14:15], s[0:1], 0x30
	s_load_b64 s[16:17], s[0:1], 0x48
	s_load_b32 s18, s[0:1], 0x0
	v_mad_u32 v7, s19, v4, v7
	v_lshlrev_b32_e32 v4, 4, v4
	s_wait_xcnt 0x0
	s_load_b64 s[0:1], s[0:1], 0x58
	s_wait_kmcnt 0x0
	v_lshl_add_u64 v[8:9], v[8:9], 4, s[12:13]
	v_lshl_add_u64 v[10:11], v[10:11], 4, s[12:13]
	s_cmp_eq_u32 s18, 0
	s_delay_alu instid0(VALU_DEP_4)
	v_mul_u64_e32 v[6:7], s[2:3], v[6:7]
	s_cselect_b32 vcc_lo, -1, 0
	v_add_nc_u64_e32 v[8:9], v[8:9], v[4:5]
	v_lshlrev_b32_e32 v4, 4, v2
	v_add_nc_u64_e32 v[2:3], s[6:7], v[2:3]
	s_lshl_b64 s[6:7], s[2:3], 5
	s_mov_b32 s12, s5
	s_delay_alu instid0(VALU_DEP_2) | instskip(NEXT) | instid1(VALU_DEP_1)
	v_add_nc_u64_e32 v[10:11], v[10:11], v[4:5]
	v_dual_mov_b32 v15, v5 :: v_dual_cndmask_b32 v8, v8, v10
	s_delay_alu instid0(VALU_DEP_2) | instskip(NEXT) | instid1(VALU_DEP_2)
	v_cndmask_b32_e32 v9, v9, v11, vcc_lo
	v_lshl_add_u64 v[10:11], v[6:7], 3, v[14:15]
	v_lshl_add_u64 v[14:15], v[6:7], 4, v[4:5]
	s_delay_alu instid0(VALU_DEP_3) | instskip(NEXT) | instid1(VALU_DEP_3)
	v_lshl_add_u64 v[4:5], v[12:13], 4, v[8:9]
	v_add_nc_u64_e32 v[6:7], s[0:1], v[10:11]
	s_delay_alu instid0(VALU_DEP_3)
	v_add_nc_u64_e32 v[8:9], s[16:17], v[14:15]
	v_lshl_add_u64 v[10:11], v[0:1], 3, s[14:15]
	s_lshl_b64 s[0:1], s[10:11], 6
	s_lshl_b64 s[10:11], s[2:3], 6
.LBB307_5:                              ; =>This Inner Loop Header: Depth=1
	global_load_b64 v[16:17], v[10:11], off
	global_load_b128 v[12:15], v[4:5], off
	v_add_nc_u64_e32 v[0:1], 4, v[0:1]
	s_wait_xcnt 0x0
	v_add_nc_u64_e32 v[4:5], s[0:1], v[4:5]
	v_add_nc_u64_e32 v[10:11], 32, v[10:11]
	s_delay_alu instid0(VALU_DEP_3)
	v_cmp_le_i64_e32 vcc_lo, s[8:9], v[0:1]
	s_or_b32 s12, vcc_lo, s12
	s_wait_loadcnt 0x1
	v_sub_nc_u64_e64 v[16:17], v[16:17], s[4:5]
	s_wait_loadcnt 0x0
	global_store_b128 v[8:9], v[12:15], off
	s_wait_xcnt 0x0
	v_add_nc_u64_e32 v[8:9], s[10:11], v[8:9]
	v_mad_nc_u64_u32 v[18:19], v16, s2, v[2:3]
	s_delay_alu instid0(VALU_DEP_1) | instskip(NEXT) | instid1(VALU_DEP_1)
	v_mad_u32 v17, v17, s2, v19
	v_mad_u32 v19, v16, s3, v17
	global_store_b64 v[6:7], v[18:19], off
	s_wait_xcnt 0x0
	v_add_nc_u64_e32 v[6:7], s[6:7], v[6:7]
	s_and_not1_b32 exec_lo, exec_lo, s12
	s_cbranch_execnz .LBB307_5
.LBB307_6:
	s_endpgm
	.section	.rodata,"a",@progbits
	.p2align	6, 0x0
	.amdhsa_kernel _ZN9rocsparseL33bsr2csr_block_per_row_8_32_kernelILj1024ELj16E21rocsparse_complex_numIdEllEEv20rocsparse_direction_T3_S4_21rocsparse_index_base_PKT1_PKT2_PKS4_S4_S5_PS6_PS9_PS4_
		.amdhsa_group_segment_fixed_size 0
		.amdhsa_private_segment_fixed_size 0
		.amdhsa_kernarg_size 96
		.amdhsa_user_sgpr_count 2
		.amdhsa_user_sgpr_dispatch_ptr 0
		.amdhsa_user_sgpr_queue_ptr 0
		.amdhsa_user_sgpr_kernarg_segment_ptr 1
		.amdhsa_user_sgpr_dispatch_id 0
		.amdhsa_user_sgpr_kernarg_preload_length 0
		.amdhsa_user_sgpr_kernarg_preload_offset 0
		.amdhsa_user_sgpr_private_segment_size 0
		.amdhsa_wavefront_size32 1
		.amdhsa_uses_dynamic_stack 0
		.amdhsa_enable_private_segment 0
		.amdhsa_system_sgpr_workgroup_id_x 1
		.amdhsa_system_sgpr_workgroup_id_y 0
		.amdhsa_system_sgpr_workgroup_id_z 0
		.amdhsa_system_sgpr_workgroup_info 0
		.amdhsa_system_vgpr_workitem_id 0
		.amdhsa_next_free_vgpr 20
		.amdhsa_next_free_sgpr 26
		.amdhsa_named_barrier_count 0
		.amdhsa_reserve_vcc 1
		.amdhsa_float_round_mode_32 0
		.amdhsa_float_round_mode_16_64 0
		.amdhsa_float_denorm_mode_32 3
		.amdhsa_float_denorm_mode_16_64 3
		.amdhsa_fp16_overflow 0
		.amdhsa_memory_ordered 1
		.amdhsa_forward_progress 1
		.amdhsa_inst_pref_size 6
		.amdhsa_round_robin_scheduling 0
		.amdhsa_exception_fp_ieee_invalid_op 0
		.amdhsa_exception_fp_denorm_src 0
		.amdhsa_exception_fp_ieee_div_zero 0
		.amdhsa_exception_fp_ieee_overflow 0
		.amdhsa_exception_fp_ieee_underflow 0
		.amdhsa_exception_fp_ieee_inexact 0
		.amdhsa_exception_int_div_zero 0
	.end_amdhsa_kernel
	.section	.text._ZN9rocsparseL33bsr2csr_block_per_row_8_32_kernelILj1024ELj16E21rocsparse_complex_numIdEllEEv20rocsparse_direction_T3_S4_21rocsparse_index_base_PKT1_PKT2_PKS4_S4_S5_PS6_PS9_PS4_,"axG",@progbits,_ZN9rocsparseL33bsr2csr_block_per_row_8_32_kernelILj1024ELj16E21rocsparse_complex_numIdEllEEv20rocsparse_direction_T3_S4_21rocsparse_index_base_PKT1_PKT2_PKS4_S4_S5_PS6_PS9_PS4_,comdat
.Lfunc_end307:
	.size	_ZN9rocsparseL33bsr2csr_block_per_row_8_32_kernelILj1024ELj16E21rocsparse_complex_numIdEllEEv20rocsparse_direction_T3_S4_21rocsparse_index_base_PKT1_PKT2_PKS4_S4_S5_PS6_PS9_PS4_, .Lfunc_end307-_ZN9rocsparseL33bsr2csr_block_per_row_8_32_kernelILj1024ELj16E21rocsparse_complex_numIdEllEEv20rocsparse_direction_T3_S4_21rocsparse_index_base_PKT1_PKT2_PKS4_S4_S5_PS6_PS9_PS4_
                                        ; -- End function
	.set _ZN9rocsparseL33bsr2csr_block_per_row_8_32_kernelILj1024ELj16E21rocsparse_complex_numIdEllEEv20rocsparse_direction_T3_S4_21rocsparse_index_base_PKT1_PKT2_PKS4_S4_S5_PS6_PS9_PS4_.num_vgpr, 20
	.set _ZN9rocsparseL33bsr2csr_block_per_row_8_32_kernelILj1024ELj16E21rocsparse_complex_numIdEllEEv20rocsparse_direction_T3_S4_21rocsparse_index_base_PKT1_PKT2_PKS4_S4_S5_PS6_PS9_PS4_.num_agpr, 0
	.set _ZN9rocsparseL33bsr2csr_block_per_row_8_32_kernelILj1024ELj16E21rocsparse_complex_numIdEllEEv20rocsparse_direction_T3_S4_21rocsparse_index_base_PKT1_PKT2_PKS4_S4_S5_PS6_PS9_PS4_.numbered_sgpr, 26
	.set _ZN9rocsparseL33bsr2csr_block_per_row_8_32_kernelILj1024ELj16E21rocsparse_complex_numIdEllEEv20rocsparse_direction_T3_S4_21rocsparse_index_base_PKT1_PKT2_PKS4_S4_S5_PS6_PS9_PS4_.num_named_barrier, 0
	.set _ZN9rocsparseL33bsr2csr_block_per_row_8_32_kernelILj1024ELj16E21rocsparse_complex_numIdEllEEv20rocsparse_direction_T3_S4_21rocsparse_index_base_PKT1_PKT2_PKS4_S4_S5_PS6_PS9_PS4_.private_seg_size, 0
	.set _ZN9rocsparseL33bsr2csr_block_per_row_8_32_kernelILj1024ELj16E21rocsparse_complex_numIdEllEEv20rocsparse_direction_T3_S4_21rocsparse_index_base_PKT1_PKT2_PKS4_S4_S5_PS6_PS9_PS4_.uses_vcc, 1
	.set _ZN9rocsparseL33bsr2csr_block_per_row_8_32_kernelILj1024ELj16E21rocsparse_complex_numIdEllEEv20rocsparse_direction_T3_S4_21rocsparse_index_base_PKT1_PKT2_PKS4_S4_S5_PS6_PS9_PS4_.uses_flat_scratch, 0
	.set _ZN9rocsparseL33bsr2csr_block_per_row_8_32_kernelILj1024ELj16E21rocsparse_complex_numIdEllEEv20rocsparse_direction_T3_S4_21rocsparse_index_base_PKT1_PKT2_PKS4_S4_S5_PS6_PS9_PS4_.has_dyn_sized_stack, 0
	.set _ZN9rocsparseL33bsr2csr_block_per_row_8_32_kernelILj1024ELj16E21rocsparse_complex_numIdEllEEv20rocsparse_direction_T3_S4_21rocsparse_index_base_PKT1_PKT2_PKS4_S4_S5_PS6_PS9_PS4_.has_recursion, 0
	.set _ZN9rocsparseL33bsr2csr_block_per_row_8_32_kernelILj1024ELj16E21rocsparse_complex_numIdEllEEv20rocsparse_direction_T3_S4_21rocsparse_index_base_PKT1_PKT2_PKS4_S4_S5_PS6_PS9_PS4_.has_indirect_call, 0
	.section	.AMDGPU.csdata,"",@progbits
; Kernel info:
; codeLenInByte = 744
; TotalNumSgprs: 28
; NumVgprs: 20
; ScratchSize: 0
; MemoryBound: 0
; FloatMode: 240
; IeeeMode: 1
; LDSByteSize: 0 bytes/workgroup (compile time only)
; SGPRBlocks: 0
; VGPRBlocks: 1
; NumSGPRsForWavesPerEU: 28
; NumVGPRsForWavesPerEU: 20
; NamedBarCnt: 0
; Occupancy: 16
; WaveLimiterHint : 0
; COMPUTE_PGM_RSRC2:SCRATCH_EN: 0
; COMPUTE_PGM_RSRC2:USER_SGPR: 2
; COMPUTE_PGM_RSRC2:TRAP_HANDLER: 0
; COMPUTE_PGM_RSRC2:TGID_X_EN: 1
; COMPUTE_PGM_RSRC2:TGID_Y_EN: 0
; COMPUTE_PGM_RSRC2:TGID_Z_EN: 0
; COMPUTE_PGM_RSRC2:TIDIG_COMP_CNT: 0
	.section	.text._ZN9rocsparseL33bsr2csr_block_per_row_8_32_kernelILj1024ELj32E21rocsparse_complex_numIdEllEEv20rocsparse_direction_T3_S4_21rocsparse_index_base_PKT1_PKT2_PKS4_S4_S5_PS6_PS9_PS4_,"axG",@progbits,_ZN9rocsparseL33bsr2csr_block_per_row_8_32_kernelILj1024ELj32E21rocsparse_complex_numIdEllEEv20rocsparse_direction_T3_S4_21rocsparse_index_base_PKT1_PKT2_PKS4_S4_S5_PS6_PS9_PS4_,comdat
	.globl	_ZN9rocsparseL33bsr2csr_block_per_row_8_32_kernelILj1024ELj32E21rocsparse_complex_numIdEllEEv20rocsparse_direction_T3_S4_21rocsparse_index_base_PKT1_PKT2_PKS4_S4_S5_PS6_PS9_PS4_ ; -- Begin function _ZN9rocsparseL33bsr2csr_block_per_row_8_32_kernelILj1024ELj32E21rocsparse_complex_numIdEllEEv20rocsparse_direction_T3_S4_21rocsparse_index_base_PKT1_PKT2_PKS4_S4_S5_PS6_PS9_PS4_
	.p2align	8
	.type	_ZN9rocsparseL33bsr2csr_block_per_row_8_32_kernelILj1024ELj32E21rocsparse_complex_numIdEllEEv20rocsparse_direction_T3_S4_21rocsparse_index_base_PKT1_PKT2_PKS4_S4_S5_PS6_PS9_PS4_,@function
_ZN9rocsparseL33bsr2csr_block_per_row_8_32_kernelILj1024ELj32E21rocsparse_complex_numIdEllEEv20rocsparse_direction_T3_S4_21rocsparse_index_base_PKT1_PKT2_PKS4_S4_S5_PS6_PS9_PS4_: ; @_ZN9rocsparseL33bsr2csr_block_per_row_8_32_kernelILj1024ELj32E21rocsparse_complex_numIdEllEEv20rocsparse_direction_T3_S4_21rocsparse_index_base_PKT1_PKT2_PKS4_S4_S5_PS6_PS9_PS4_
; %bb.0:
	s_clause 0x1
	s_load_b32 s14, s[0:1], 0x40
	s_load_b64 s[18:19], s[0:1], 0x50
	s_bfe_u32 s2, ttmp6, 0x4000c
	s_and_b32 s3, ttmp6, 15
	s_add_co_i32 s2, s2, 1
	s_getreg_b32 s4, hwreg(HW_REG_IB_STS2, 6, 4)
	s_mul_i32 s2, ttmp9, s2
	s_mov_b32 s23, 0
	s_add_co_i32 s3, s3, s2
	s_cmp_eq_u32 s4, 0
	s_mov_b32 s2, exec_lo
	s_cselect_b32 s22, ttmp9, s3
	s_delay_alu instid0(SALU_CYCLE_1) | instskip(NEXT) | instid1(VALU_DEP_1)
	v_or_b32_e32 v1, s22, v0
	v_cmpx_eq_u32_e32 0, v1
	s_cbranch_execz .LBB308_2
; %bb.1:
	s_wait_kmcnt 0x0
	v_dual_mov_b32 v2, s14 :: v_dual_mov_b32 v3, 0
	global_store_b64 v3, v[2:3], s[18:19]
.LBB308_2:
	s_wait_xcnt 0x0
	s_or_b32 exec_lo, exec_lo, s2
	v_dual_mov_b32 v3, 0 :: v_dual_bitop2_b32 v2, 31, v0 bitop3:0x40
	v_lshrrev_b32_e32 v0, 5, v0
	s_load_b64 s[2:3], s[0:1], 0x38
	s_mov_b32 s4, exec_lo
	s_delay_alu instid0(VALU_DEP_2) | instskip(NEXT) | instid1(VALU_DEP_1)
	v_mov_b32_e32 v1, v3
	v_max_i64 v[4:5], v[0:1], v[2:3]
	s_wait_kmcnt 0x0
	s_delay_alu instid0(VALU_DEP_1)
	v_cmpx_gt_i64_e64 s[2:3], v[4:5]
	s_cbranch_execz .LBB308_6
; %bb.3:
	s_clause 0x1
	s_load_b64 s[4:5], s[0:1], 0x28
	s_load_b32 s8, s[0:1], 0x18
	s_lshl_b64 s[6:7], s[22:23], 3
	s_mov_b32 s9, 0
	s_mul_u64 s[16:17], s[2:3], s[2:3]
	s_mov_b32 s15, s9
	s_wait_kmcnt 0x0
	s_add_nc_u64 s[10:11], s[4:5], s[6:7]
	s_load_b128 s[4:7], s[10:11], 0x0
	s_wait_kmcnt 0x0
	s_sub_nc_u64 s[10:11], s[4:5], s[8:9]
	s_sub_nc_u64 s[12:13], s[6:7], s[8:9]
	s_mul_u64 s[20:21], s[10:11], s[16:17]
	s_sub_nc_u64 s[24:25], s[12:13], s[10:11]
	s_delay_alu instid0(SALU_CYCLE_1) | instskip(NEXT) | instid1(SALU_CYCLE_1)
	s_mul_u64 s[26:27], s[24:25], s[2:3]
	s_add_nc_u64 s[28:29], s[26:27], s[14:15]
	s_delay_alu instid0(SALU_CYCLE_1) | instskip(NEXT) | instid1(SALU_CYCLE_1)
	s_add_nc_u64 s[28:29], s[28:29], s[20:21]
	v_mad_nc_u64_u32 v[4:5], s26, v0, s[28:29]
	v_cmp_ge_i64_e64 s26, s[4:5], s[6:7]
	s_mul_u64 s[6:7], s[2:3], s[22:23]
	s_delay_alu instid0(SALU_CYCLE_1) | instskip(NEXT) | instid1(SALU_CYCLE_1)
	s_lshl_b64 s[6:7], s[6:7], 3
	s_add_nc_u64 s[6:7], s[18:19], s[6:7]
	s_and_b32 vcc_lo, exec_lo, s26
	v_mad_u32 v5, s27, v0, v5
	global_store_b64 v0, v[4:5], s[6:7] offset:8 scale_offset
	s_cbranch_vccnz .LBB308_6
; %bb.4:
	s_wait_xcnt 0x0
	s_mul_u64 s[6:7], s[2:3], s[10:11]
	v_mul_u64_e32 v[6:7], s[2:3], v[2:3]
	v_mad_nc_u64_u32 v[4:5], v0, s24, s[6:7]
	v_mul_u64_e32 v[8:9], s[2:3], v[0:1]
	s_clause 0x3
	s_load_b64 s[6:7], s[0:1], 0x20
	s_load_b64 s[18:19], s[0:1], 0x30
	;; [unrolled: 1-line block ×3, first 2 shown]
	s_load_b32 s26, s[0:1], 0x0
	v_dual_mov_b32 v1, 0 :: v_dual_lshlrev_b32 v10, 3, v2
	s_delay_alu instid0(VALU_DEP_3) | instskip(SKIP_2) | instid1(VALU_DEP_2)
	v_mad_u32 v5, v0, s25, v5
	v_lshlrev_b32_e32 v0, 4, v0
	s_load_b64 s[24:25], s[0:1], 0x58
	v_mul_u64_e32 v[4:5], s[2:3], v[4:5]
	s_wait_kmcnt 0x0
	s_cmp_eq_u32 s26, 0
	s_cselect_b32 vcc_lo, -1, 0
	s_lshl_b64 s[0:1], s[16:17], 4
	v_lshl_add_u64 v[6:7], v[6:7], 4, s[6:7]
	v_lshl_add_u64 v[8:9], v[8:9], 4, s[6:7]
	s_lshl_b64 s[6:7], s[4:5], 3
	s_lshl_b64 s[4:5], s[2:3], 3
	s_delay_alu instid0(VALU_DEP_2) | instskip(SKIP_1) | instid1(VALU_DEP_1)
	v_add_nc_u64_e32 v[6:7], v[6:7], v[0:1]
	v_lshlrev_b32_e32 v0, 4, v2
	v_add_nc_u64_e32 v[8:9], v[8:9], v[0:1]
	s_delay_alu instid0(VALU_DEP_1) | instskip(NEXT) | instid1(VALU_DEP_2)
	v_dual_mov_b32 v11, v1 :: v_dual_cndmask_b32 v7, v7, v9, vcc_lo
	v_cndmask_b32_e32 v6, v6, v8, vcc_lo
	s_delay_alu instid0(VALU_DEP_2) | instskip(SKIP_2) | instid1(VALU_DEP_4)
	v_lshl_add_u64 v[8:9], v[4:5], 3, v[10:11]
	v_lshl_add_u64 v[10:11], v[4:5], 4, v[0:1]
	v_add_nc_u64_e32 v[0:1], s[14:15], v[2:3]
	v_lshl_add_u64 v[2:3], s[20:21], 4, v[6:7]
	s_lshl_b64 s[14:15], s[8:9], 3
	v_add_nc_u64_e32 v[4:5], s[24:25], v[8:9]
	v_add_nc_u64_e32 v[6:7], s[22:23], v[10:11]
	s_sub_nc_u64 s[14:15], s[6:7], s[14:15]
	s_lshl_b64 s[6:7], s[2:3], 4
	s_add_nc_u64 s[14:15], s[18:19], s[14:15]
.LBB308_5:                              ; =>This Inner Loop Header: Depth=1
	global_load_b128 v[8:11], v[2:3], off
	s_load_b64 s[16:17], s[14:15], 0x0
	s_add_nc_u64 s[10:11], s[10:11], 1
	v_add_nc_u64_e32 v[2:3], s[0:1], v[2:3]
	v_cmp_lt_i64_e64 s18, s[10:11], s[12:13]
	s_wait_xcnt 0x0
	s_add_nc_u64 s[14:15], s[14:15], 8
	s_and_b32 vcc_lo, exec_lo, s18
	s_wait_kmcnt 0x0
	s_sub_nc_u64 s[16:17], s[16:17], s[8:9]
	s_delay_alu instid0(SALU_CYCLE_1)
	v_mad_nc_u64_u32 v[12:13], s16, s2, v[0:1]
	s_mul_i32 s17, s17, s2
	s_mul_i32 s16, s16, s3
	s_delay_alu instid0(VALU_DEP_1) | instid1(SALU_CYCLE_1)
	v_add3_u32 v13, s16, s17, v13
	global_store_b64 v[4:5], v[12:13], off
	s_wait_xcnt 0x0
	v_add_nc_u64_e32 v[4:5], s[4:5], v[4:5]
	s_wait_loadcnt 0x0
	global_store_b128 v[6:7], v[8:11], off
	s_wait_xcnt 0x0
	v_add_nc_u64_e32 v[6:7], s[6:7], v[6:7]
	s_cbranch_vccnz .LBB308_5
.LBB308_6:
	s_endpgm
	.section	.rodata,"a",@progbits
	.p2align	6, 0x0
	.amdhsa_kernel _ZN9rocsparseL33bsr2csr_block_per_row_8_32_kernelILj1024ELj32E21rocsparse_complex_numIdEllEEv20rocsparse_direction_T3_S4_21rocsparse_index_base_PKT1_PKT2_PKS4_S4_S5_PS6_PS9_PS4_
		.amdhsa_group_segment_fixed_size 0
		.amdhsa_private_segment_fixed_size 0
		.amdhsa_kernarg_size 96
		.amdhsa_user_sgpr_count 2
		.amdhsa_user_sgpr_dispatch_ptr 0
		.amdhsa_user_sgpr_queue_ptr 0
		.amdhsa_user_sgpr_kernarg_segment_ptr 1
		.amdhsa_user_sgpr_dispatch_id 0
		.amdhsa_user_sgpr_kernarg_preload_length 0
		.amdhsa_user_sgpr_kernarg_preload_offset 0
		.amdhsa_user_sgpr_private_segment_size 0
		.amdhsa_wavefront_size32 1
		.amdhsa_uses_dynamic_stack 0
		.amdhsa_enable_private_segment 0
		.amdhsa_system_sgpr_workgroup_id_x 1
		.amdhsa_system_sgpr_workgroup_id_y 0
		.amdhsa_system_sgpr_workgroup_id_z 0
		.amdhsa_system_sgpr_workgroup_info 0
		.amdhsa_system_vgpr_workitem_id 0
		.amdhsa_next_free_vgpr 14
		.amdhsa_next_free_sgpr 30
		.amdhsa_named_barrier_count 0
		.amdhsa_reserve_vcc 1
		.amdhsa_float_round_mode_32 0
		.amdhsa_float_round_mode_16_64 0
		.amdhsa_float_denorm_mode_32 3
		.amdhsa_float_denorm_mode_16_64 3
		.amdhsa_fp16_overflow 0
		.amdhsa_memory_ordered 1
		.amdhsa_forward_progress 1
		.amdhsa_inst_pref_size 6
		.amdhsa_round_robin_scheduling 0
		.amdhsa_exception_fp_ieee_invalid_op 0
		.amdhsa_exception_fp_denorm_src 0
		.amdhsa_exception_fp_ieee_div_zero 0
		.amdhsa_exception_fp_ieee_overflow 0
		.amdhsa_exception_fp_ieee_underflow 0
		.amdhsa_exception_fp_ieee_inexact 0
		.amdhsa_exception_int_div_zero 0
	.end_amdhsa_kernel
	.section	.text._ZN9rocsparseL33bsr2csr_block_per_row_8_32_kernelILj1024ELj32E21rocsparse_complex_numIdEllEEv20rocsparse_direction_T3_S4_21rocsparse_index_base_PKT1_PKT2_PKS4_S4_S5_PS6_PS9_PS4_,"axG",@progbits,_ZN9rocsparseL33bsr2csr_block_per_row_8_32_kernelILj1024ELj32E21rocsparse_complex_numIdEllEEv20rocsparse_direction_T3_S4_21rocsparse_index_base_PKT1_PKT2_PKS4_S4_S5_PS6_PS9_PS4_,comdat
.Lfunc_end308:
	.size	_ZN9rocsparseL33bsr2csr_block_per_row_8_32_kernelILj1024ELj32E21rocsparse_complex_numIdEllEEv20rocsparse_direction_T3_S4_21rocsparse_index_base_PKT1_PKT2_PKS4_S4_S5_PS6_PS9_PS4_, .Lfunc_end308-_ZN9rocsparseL33bsr2csr_block_per_row_8_32_kernelILj1024ELj32E21rocsparse_complex_numIdEllEEv20rocsparse_direction_T3_S4_21rocsparse_index_base_PKT1_PKT2_PKS4_S4_S5_PS6_PS9_PS4_
                                        ; -- End function
	.set _ZN9rocsparseL33bsr2csr_block_per_row_8_32_kernelILj1024ELj32E21rocsparse_complex_numIdEllEEv20rocsparse_direction_T3_S4_21rocsparse_index_base_PKT1_PKT2_PKS4_S4_S5_PS6_PS9_PS4_.num_vgpr, 14
	.set _ZN9rocsparseL33bsr2csr_block_per_row_8_32_kernelILj1024ELj32E21rocsparse_complex_numIdEllEEv20rocsparse_direction_T3_S4_21rocsparse_index_base_PKT1_PKT2_PKS4_S4_S5_PS6_PS9_PS4_.num_agpr, 0
	.set _ZN9rocsparseL33bsr2csr_block_per_row_8_32_kernelILj1024ELj32E21rocsparse_complex_numIdEllEEv20rocsparse_direction_T3_S4_21rocsparse_index_base_PKT1_PKT2_PKS4_S4_S5_PS6_PS9_PS4_.numbered_sgpr, 30
	.set _ZN9rocsparseL33bsr2csr_block_per_row_8_32_kernelILj1024ELj32E21rocsparse_complex_numIdEllEEv20rocsparse_direction_T3_S4_21rocsparse_index_base_PKT1_PKT2_PKS4_S4_S5_PS6_PS9_PS4_.num_named_barrier, 0
	.set _ZN9rocsparseL33bsr2csr_block_per_row_8_32_kernelILj1024ELj32E21rocsparse_complex_numIdEllEEv20rocsparse_direction_T3_S4_21rocsparse_index_base_PKT1_PKT2_PKS4_S4_S5_PS6_PS9_PS4_.private_seg_size, 0
	.set _ZN9rocsparseL33bsr2csr_block_per_row_8_32_kernelILj1024ELj32E21rocsparse_complex_numIdEllEEv20rocsparse_direction_T3_S4_21rocsparse_index_base_PKT1_PKT2_PKS4_S4_S5_PS6_PS9_PS4_.uses_vcc, 1
	.set _ZN9rocsparseL33bsr2csr_block_per_row_8_32_kernelILj1024ELj32E21rocsparse_complex_numIdEllEEv20rocsparse_direction_T3_S4_21rocsparse_index_base_PKT1_PKT2_PKS4_S4_S5_PS6_PS9_PS4_.uses_flat_scratch, 0
	.set _ZN9rocsparseL33bsr2csr_block_per_row_8_32_kernelILj1024ELj32E21rocsparse_complex_numIdEllEEv20rocsparse_direction_T3_S4_21rocsparse_index_base_PKT1_PKT2_PKS4_S4_S5_PS6_PS9_PS4_.has_dyn_sized_stack, 0
	.set _ZN9rocsparseL33bsr2csr_block_per_row_8_32_kernelILj1024ELj32E21rocsparse_complex_numIdEllEEv20rocsparse_direction_T3_S4_21rocsparse_index_base_PKT1_PKT2_PKS4_S4_S5_PS6_PS9_PS4_.has_recursion, 0
	.set _ZN9rocsparseL33bsr2csr_block_per_row_8_32_kernelILj1024ELj32E21rocsparse_complex_numIdEllEEv20rocsparse_direction_T3_S4_21rocsparse_index_base_PKT1_PKT2_PKS4_S4_S5_PS6_PS9_PS4_.has_indirect_call, 0
	.section	.AMDGPU.csdata,"",@progbits
; Kernel info:
; codeLenInByte = 696
; TotalNumSgprs: 32
; NumVgprs: 14
; ScratchSize: 0
; MemoryBound: 0
; FloatMode: 240
; IeeeMode: 1
; LDSByteSize: 0 bytes/workgroup (compile time only)
; SGPRBlocks: 0
; VGPRBlocks: 0
; NumSGPRsForWavesPerEU: 32
; NumVGPRsForWavesPerEU: 14
; NamedBarCnt: 0
; Occupancy: 16
; WaveLimiterHint : 0
; COMPUTE_PGM_RSRC2:SCRATCH_EN: 0
; COMPUTE_PGM_RSRC2:USER_SGPR: 2
; COMPUTE_PGM_RSRC2:TRAP_HANDLER: 0
; COMPUTE_PGM_RSRC2:TGID_X_EN: 1
; COMPUTE_PGM_RSRC2:TGID_Y_EN: 0
; COMPUTE_PGM_RSRC2:TGID_Z_EN: 0
; COMPUTE_PGM_RSRC2:TIDIG_COMP_CNT: 0
	.section	.text._ZN9rocsparseL35bsr2csr_block_per_row_33_256_kernelILj1024ELj64ELj32E21rocsparse_complex_numIdEllEEv20rocsparse_direction_T4_S4_21rocsparse_index_base_PKT2_PKT3_PKS4_S4_S5_PS6_PS9_PS4_,"axG",@progbits,_ZN9rocsparseL35bsr2csr_block_per_row_33_256_kernelILj1024ELj64ELj32E21rocsparse_complex_numIdEllEEv20rocsparse_direction_T4_S4_21rocsparse_index_base_PKT2_PKT3_PKS4_S4_S5_PS6_PS9_PS4_,comdat
	.globl	_ZN9rocsparseL35bsr2csr_block_per_row_33_256_kernelILj1024ELj64ELj32E21rocsparse_complex_numIdEllEEv20rocsparse_direction_T4_S4_21rocsparse_index_base_PKT2_PKT3_PKS4_S4_S5_PS6_PS9_PS4_ ; -- Begin function _ZN9rocsparseL35bsr2csr_block_per_row_33_256_kernelILj1024ELj64ELj32E21rocsparse_complex_numIdEllEEv20rocsparse_direction_T4_S4_21rocsparse_index_base_PKT2_PKT3_PKS4_S4_S5_PS6_PS9_PS4_
	.p2align	8
	.type	_ZN9rocsparseL35bsr2csr_block_per_row_33_256_kernelILj1024ELj64ELj32E21rocsparse_complex_numIdEllEEv20rocsparse_direction_T4_S4_21rocsparse_index_base_PKT2_PKT3_PKS4_S4_S5_PS6_PS9_PS4_,@function
_ZN9rocsparseL35bsr2csr_block_per_row_33_256_kernelILj1024ELj64ELj32E21rocsparse_complex_numIdEllEEv20rocsparse_direction_T4_S4_21rocsparse_index_base_PKT2_PKT3_PKS4_S4_S5_PS6_PS9_PS4_: ; @_ZN9rocsparseL35bsr2csr_block_per_row_33_256_kernelILj1024ELj64ELj32E21rocsparse_complex_numIdEllEEv20rocsparse_direction_T4_S4_21rocsparse_index_base_PKT2_PKT3_PKS4_S4_S5_PS6_PS9_PS4_
; %bb.0:
	s_load_b64 s[8:9], s[0:1], 0x28
	s_bfe_u32 s2, ttmp6, 0x4000c
	s_and_b32 s3, ttmp6, 15
	s_add_co_i32 s2, s2, 1
	s_getreg_b32 s4, hwreg(HW_REG_IB_STS2, 6, 4)
	s_mul_i32 s2, ttmp9, s2
	s_mov_b32 s7, 0
	s_add_co_i32 s3, s3, s2
	s_cmp_eq_u32 s4, 0
	s_clause 0x1
	s_load_b32 s12, s[0:1], 0x40
	s_load_b64 s[4:5], s[0:1], 0x50
	s_cselect_b32 s2, ttmp9, s3
	s_mov_b32 s3, s7
	v_or_b32_e32 v1, s2, v0
	s_lshl_b64 s[10:11], s[2:3], 3
	s_mov_b32 s13, s7
	s_mov_b32 s6, exec_lo
	s_wait_kmcnt 0x0
	s_add_nc_u64 s[14:15], s[8:9], s[10:11]
	s_load_b128 s[8:11], s[14:15], 0x0
	v_cmpx_eq_u32_e32 0, v1
	s_cbranch_execz .LBB309_2
; %bb.1:
	v_mov_b64_e32 v[2:3], s[12:13]
	v_mov_b32_e32 v1, 0
	global_store_b64 v1, v[2:3], s[4:5]
.LBB309_2:
	s_wait_xcnt 0x0
	s_or_b32 exec_lo, exec_lo, s6
	s_clause 0x1
	s_load_b32 s6, s[0:1], 0x18
	s_load_b64 s[14:15], s[0:1], 0x38
	v_dual_mov_b32 v3, 0 :: v_dual_lshrrev_b32 v2, 5, v0
	s_wait_kmcnt 0x0
	s_sub_nc_u64 s[16:17], s[8:9], s[6:7]
	s_sub_nc_u64 s[18:19], s[10:11], s[6:7]
	s_mul_u64 s[22:23], s[14:15], s[16:17]
	s_mul_u64 s[24:25], s[14:15], s[2:3]
	v_cmp_gt_i64_e64 s3, s[14:15], v[2:3]
	s_sub_nc_u64 s[26:27], s[18:19], s[16:17]
	s_mul_u64 s[28:29], s[22:23], s[14:15]
	s_mul_u64 s[20:21], s[26:27], s[14:15]
	s_add_nc_u64 s[28:29], s[28:29], s[12:13]
	s_lshl_b64 s[24:25], s[24:25], 3
	s_add_nc_u64 s[28:29], s[28:29], s[20:21]
	s_add_nc_u64 s[24:25], s[4:5], s[24:25]
	s_and_saveexec_b32 s2, s3
	s_cbranch_execz .LBB309_4
; %bb.3:
	v_mad_nc_u64_u32 v[4:5], v2, s20, s[28:29]
	s_delay_alu instid0(VALU_DEP_1)
	v_mad_u32 v5, v2, s21, v5
	global_store_b64 v2, v[4:5], s[24:25] offset:8 scale_offset
.LBB309_4:
	s_wait_xcnt 0x0
	s_or_b32 exec_lo, exec_lo, s2
	v_dual_mov_b32 v5, v3 :: v_dual_bitop2_b32 v4, 32, v2 bitop3:0x54
	s_delay_alu instid0(VALU_DEP_1)
	v_cmp_gt_i64_e64 s4, s[14:15], v[4:5]
	s_and_saveexec_b32 s2, s4
	s_cbranch_execz .LBB309_6
; %bb.5:
	v_mad_nc_u64_u32 v[6:7], v4, s20, s[28:29]
	s_delay_alu instid0(VALU_DEP_1)
	v_mad_u32 v7, v4, s21, v7
	global_store_b64 v2, v[6:7], s[24:25] offset:264 scale_offset
.LBB309_6:
	s_wait_xcnt 0x0
	s_or_b32 exec_lo, exec_lo, s2
	v_cmp_lt_i64_e64 s2, s[8:9], s[10:11]
	s_and_b32 vcc_lo, exec_lo, s2
	s_cbranch_vccz .LBB309_17
; %bb.7:
	s_clause 0x2
	s_load_b64 s[20:21], s[0:1], 0x30
	s_load_b64 s[24:25], s[0:1], 0x48
	s_load_b32 s2, s[0:1], 0x0
	v_mad_nc_u64_u32 v[4:5], v2, s26, s[22:23]
	v_dual_mov_b32 v1, 0 :: v_dual_bitop2_b32 v0, 31, v0 bitop3:0x40
	v_lshlrev_b32_e32 v10, 4, v2
	s_mul_u64 s[28:29], s[14:15], s[14:15]
	s_delay_alu instid0(VALU_DEP_2)
	v_dual_mov_b32 v11, v1 :: v_dual_lshlrev_b32 v14, 4, v0
	v_mov_b32_e32 v15, v1
	v_cmp_gt_i64_e32 vcc_lo, s[14:15], v[0:1]
	v_dual_mov_b32 v13, v1 :: v_dual_lshlrev_b32 v12, 3, v0
	v_mad_u32 v5, v2, s27, v5
	s_wait_kmcnt 0x0
	s_cmp_eq_u32 s2, 0
	s_cselect_b32 s2, -1, 0
	s_lshl_b64 s[10:11], s[10:11], 5
	s_delay_alu instid0(VALU_DEP_1)
	v_mul_u64_e32 v[26:27], s[14:15], v[4:5]
	v_add_nc_u64_e32 v[2:3], s[10:11], v[4:5]
	s_lshl_b64 s[10:11], s[22:23], 4
	s_lshl_b64 s[22:23], s[8:9], 5
	v_add_nc_u64_e32 v[16:17], s[10:11], v[10:11]
	v_add_nc_u64_e32 v[18:19], s[10:11], v[14:15]
	s_load_b64 s[10:11], s[0:1], 0x20
	s_delay_alu instid0(VALU_DEP_3) | instskip(SKIP_1) | instid1(VALU_DEP_3)
	v_sub_nc_u64_e64 v[2:3], v[2:3], s[22:23]
	s_load_b64 s[22:23], s[0:1], 0x58
	v_add_nc_u64_e32 v[20:21], 0x200, v[16:17]
	s_delay_alu instid0(VALU_DEP_3)
	v_add_nc_u64_e32 v[22:23], 0x200, v[18:19]
	v_mad_nc_u64_u32 v[4:5], s14, v16, v[14:15]
	v_mad_nc_u64_u32 v[6:7], s14, v18, v[10:11]
	v_mul_u64_e32 v[24:25], s[14:15], v[2:3]
	v_dual_mov_b32 v3, v1 :: v_dual_bitop2_b32 v2, 32, v0 bitop3:0x54
	v_mad_nc_u64_u32 v[8:9], s14, v20, v[14:15]
	v_mad_nc_u64_u32 v[10:11], s14, v22, v[10:11]
	v_add_nc_u64_e32 v[14:15], s[24:25], v[14:15]
	s_and_b32 s25, s4, vcc_lo
	s_wait_xcnt 0x0
	v_cmp_gt_i64_e64 s0, s[14:15], v[2:3]
	s_and_b32 s24, s3, vcc_lo
	v_mad_u32 v5, s15, v16, v5
	v_mad_u32 v7, s15, v18, v7
	s_and_b32 s26, s4, s0
	v_mad_u32 v9, s15, v20, v9
	v_mad_u32 v11, s15, v22, v11
	s_wait_kmcnt 0x0
	v_add_nc_u64_e32 v[12:13], s[22:23], v[12:13]
	s_lshl_b64 s[4:5], s[8:9], 3
	s_lshl_b64 s[8:9], s[6:7], 3
	v_mad_u32 v5, s14, v17, v5
	v_mad_u32 v7, s14, v19, v7
	s_sub_nc_u64 s[4:5], s[4:5], s[8:9]
	s_and_b32 s3, s3, s0
	s_lshl_b64 s[0:1], s[28:29], 4
	s_add_nc_u64 s[4:5], s[20:21], s[4:5]
	v_mad_u32 v9, s14, v21, v9
	v_mad_u32 v11, s14, v23, v11
	v_lshl_add_u64 v[20:21], v[26:27], 3, 0x100
	v_lshl_add_u64 v[22:23], v[26:27], 4, 0x200
	s_lshl_b64 s[8:9], s[14:15], 3
	s_lshl_b64 s[20:21], s[14:15], 4
	v_lshlrev_b64_e32 v[16:17], 4, v[24:25]
	v_lshlrev_b64_e32 v[18:19], 3, v[24:25]
	s_branch .LBB309_9
.LBB309_8:                              ;   in Loop: Header=BB309_9 Depth=1
	s_wait_xcnt 0x0
	s_or_b32 exec_lo, exec_lo, s22
	s_add_nc_u64 s[16:17], s[16:17], 1
	v_add_nc_u64_e32 v[12:13], s[8:9], v[12:13]
	v_cmp_ge_i64_e64 s22, s[16:17], s[18:19]
	v_add_nc_u64_e32 v[14:15], s[20:21], v[14:15]
	s_add_nc_u64 s[10:11], s[10:11], s[0:1]
	s_add_nc_u64 s[4:5], s[4:5], 8
	s_and_b32 vcc_lo, exec_lo, s22
	s_cbranch_vccnz .LBB309_17
.LBB309_9:                              ; =>This Inner Loop Header: Depth=1
	s_load_b64 s[22:23], s[4:5], 0x0
	v_add_nc_u64_e32 v[32:33], v[12:13], v[20:21]
	v_add_nc_u64_e32 v[34:35], v[14:15], v[22:23]
	;; [unrolled: 1-line block ×4, first 2 shown]
	s_wait_kmcnt 0x0
	s_sub_nc_u64 s[22:23], s[22:23], s[6:7]
	s_delay_alu instid0(SALU_CYCLE_1) | instskip(NEXT) | instid1(SALU_CYCLE_1)
	s_mul_u64 s[22:23], s[22:23], s[14:15]
	s_add_nc_u64 s[22:23], s[22:23], s[12:13]
	s_delay_alu instid0(SALU_CYCLE_1)
	v_add_nc_u64_e32 v[26:27], s[22:23], v[0:1]
	s_and_saveexec_b32 s27, s24
	s_cbranch_execz .LBB309_11
; %bb.10:                               ;   in Loop: Header=BB309_9 Depth=1
	v_dual_cndmask_b32 v25, v31, v37, s2 :: v_dual_cndmask_b32 v24, v30, v36, s2
	global_load_b128 v[38:41], v[24:25], off
	global_store_b64 v[32:33], v[26:27], off offset:-256
	s_wait_loadcnt 0x0
	global_store_b128 v[34:35], v[38:41], off offset:-512
.LBB309_11:                             ;   in Loop: Header=BB309_9 Depth=1
	s_wait_xcnt 0x0
	s_or_b32 exec_lo, exec_lo, s27
	v_add_nc_u64_e32 v[24:25], s[22:23], v[2:3]
	v_add_nc_u64_e32 v[28:29], s[10:11], v[10:11]
	s_and_saveexec_b32 s22, s3
	s_cbranch_execz .LBB309_13
; %bb.12:                               ;   in Loop: Header=BB309_9 Depth=1
	v_add_nc_u64_e32 v[36:37], 0x200, v[36:37]
	s_delay_alu instid0(VALU_DEP_1)
	v_dual_cndmask_b32 v37, v29, v37, s2 :: v_dual_cndmask_b32 v36, v28, v36, s2
	global_load_b128 v[36:39], v[36:37], off
	global_store_b64 v[32:33], v[24:25], off
	s_wait_loadcnt 0x0
	global_store_b128 v[34:35], v[36:39], off
.LBB309_13:                             ;   in Loop: Header=BB309_9 Depth=1
	s_wait_xcnt 0x0
	s_or_b32 exec_lo, exec_lo, s22
	v_add_nc_u64_e32 v[32:33], v[12:13], v[18:19]
	v_add_nc_u64_e32 v[34:35], v[14:15], v[16:17]
	;; [unrolled: 1-line block ×3, first 2 shown]
	s_and_saveexec_b32 s22, s25
	s_cbranch_execz .LBB309_15
; %bb.14:                               ;   in Loop: Header=BB309_9 Depth=1
	v_add_nc_u64_e32 v[30:31], 0x200, v[30:31]
	s_delay_alu instid0(VALU_DEP_1)
	v_dual_cndmask_b32 v31, v31, v37, s2 :: v_dual_cndmask_b32 v30, v30, v36, s2
	global_load_b128 v[38:41], v[30:31], off
	global_store_b64 v[32:33], v[26:27], off
	s_wait_loadcnt 0x0
	global_store_b128 v[34:35], v[38:41], off
.LBB309_15:                             ;   in Loop: Header=BB309_9 Depth=1
	s_wait_xcnt 0x0
	s_or_b32 exec_lo, exec_lo, s22
	s_and_saveexec_b32 s22, s26
	s_cbranch_execz .LBB309_8
; %bb.16:                               ;   in Loop: Header=BB309_9 Depth=1
	v_add_nc_u64_e32 v[26:27], 0x200, v[36:37]
	v_add_nc_u64_e32 v[28:29], 0x200, v[28:29]
	s_delay_alu instid0(VALU_DEP_1)
	v_dual_cndmask_b32 v27, v29, v27, s2 :: v_dual_cndmask_b32 v26, v28, v26, s2
	global_load_b128 v[26:29], v[26:27], off
	global_store_b64 v[32:33], v[24:25], off offset:256
	s_wait_loadcnt 0x0
	global_store_b128 v[34:35], v[26:29], off offset:512
	s_branch .LBB309_8
.LBB309_17:
	s_endpgm
	.section	.rodata,"a",@progbits
	.p2align	6, 0x0
	.amdhsa_kernel _ZN9rocsparseL35bsr2csr_block_per_row_33_256_kernelILj1024ELj64ELj32E21rocsparse_complex_numIdEllEEv20rocsparse_direction_T4_S4_21rocsparse_index_base_PKT2_PKT3_PKS4_S4_S5_PS6_PS9_PS4_
		.amdhsa_group_segment_fixed_size 0
		.amdhsa_private_segment_fixed_size 0
		.amdhsa_kernarg_size 96
		.amdhsa_user_sgpr_count 2
		.amdhsa_user_sgpr_dispatch_ptr 0
		.amdhsa_user_sgpr_queue_ptr 0
		.amdhsa_user_sgpr_kernarg_segment_ptr 1
		.amdhsa_user_sgpr_dispatch_id 0
		.amdhsa_user_sgpr_kernarg_preload_length 0
		.amdhsa_user_sgpr_kernarg_preload_offset 0
		.amdhsa_user_sgpr_private_segment_size 0
		.amdhsa_wavefront_size32 1
		.amdhsa_uses_dynamic_stack 0
		.amdhsa_enable_private_segment 0
		.amdhsa_system_sgpr_workgroup_id_x 1
		.amdhsa_system_sgpr_workgroup_id_y 0
		.amdhsa_system_sgpr_workgroup_id_z 0
		.amdhsa_system_sgpr_workgroup_info 0
		.amdhsa_system_vgpr_workitem_id 0
		.amdhsa_next_free_vgpr 42
		.amdhsa_next_free_sgpr 30
		.amdhsa_named_barrier_count 0
		.amdhsa_reserve_vcc 1
		.amdhsa_float_round_mode_32 0
		.amdhsa_float_round_mode_16_64 0
		.amdhsa_float_denorm_mode_32 3
		.amdhsa_float_denorm_mode_16_64 3
		.amdhsa_fp16_overflow 0
		.amdhsa_memory_ordered 1
		.amdhsa_forward_progress 1
		.amdhsa_inst_pref_size 10
		.amdhsa_round_robin_scheduling 0
		.amdhsa_exception_fp_ieee_invalid_op 0
		.amdhsa_exception_fp_denorm_src 0
		.amdhsa_exception_fp_ieee_div_zero 0
		.amdhsa_exception_fp_ieee_overflow 0
		.amdhsa_exception_fp_ieee_underflow 0
		.amdhsa_exception_fp_ieee_inexact 0
		.amdhsa_exception_int_div_zero 0
	.end_amdhsa_kernel
	.section	.text._ZN9rocsparseL35bsr2csr_block_per_row_33_256_kernelILj1024ELj64ELj32E21rocsparse_complex_numIdEllEEv20rocsparse_direction_T4_S4_21rocsparse_index_base_PKT2_PKT3_PKS4_S4_S5_PS6_PS9_PS4_,"axG",@progbits,_ZN9rocsparseL35bsr2csr_block_per_row_33_256_kernelILj1024ELj64ELj32E21rocsparse_complex_numIdEllEEv20rocsparse_direction_T4_S4_21rocsparse_index_base_PKT2_PKT3_PKS4_S4_S5_PS6_PS9_PS4_,comdat
.Lfunc_end309:
	.size	_ZN9rocsparseL35bsr2csr_block_per_row_33_256_kernelILj1024ELj64ELj32E21rocsparse_complex_numIdEllEEv20rocsparse_direction_T4_S4_21rocsparse_index_base_PKT2_PKT3_PKS4_S4_S5_PS6_PS9_PS4_, .Lfunc_end309-_ZN9rocsparseL35bsr2csr_block_per_row_33_256_kernelILj1024ELj64ELj32E21rocsparse_complex_numIdEllEEv20rocsparse_direction_T4_S4_21rocsparse_index_base_PKT2_PKT3_PKS4_S4_S5_PS6_PS9_PS4_
                                        ; -- End function
	.set _ZN9rocsparseL35bsr2csr_block_per_row_33_256_kernelILj1024ELj64ELj32E21rocsparse_complex_numIdEllEEv20rocsparse_direction_T4_S4_21rocsparse_index_base_PKT2_PKT3_PKS4_S4_S5_PS6_PS9_PS4_.num_vgpr, 42
	.set _ZN9rocsparseL35bsr2csr_block_per_row_33_256_kernelILj1024ELj64ELj32E21rocsparse_complex_numIdEllEEv20rocsparse_direction_T4_S4_21rocsparse_index_base_PKT2_PKT3_PKS4_S4_S5_PS6_PS9_PS4_.num_agpr, 0
	.set _ZN9rocsparseL35bsr2csr_block_per_row_33_256_kernelILj1024ELj64ELj32E21rocsparse_complex_numIdEllEEv20rocsparse_direction_T4_S4_21rocsparse_index_base_PKT2_PKT3_PKS4_S4_S5_PS6_PS9_PS4_.numbered_sgpr, 30
	.set _ZN9rocsparseL35bsr2csr_block_per_row_33_256_kernelILj1024ELj64ELj32E21rocsparse_complex_numIdEllEEv20rocsparse_direction_T4_S4_21rocsparse_index_base_PKT2_PKT3_PKS4_S4_S5_PS6_PS9_PS4_.num_named_barrier, 0
	.set _ZN9rocsparseL35bsr2csr_block_per_row_33_256_kernelILj1024ELj64ELj32E21rocsparse_complex_numIdEllEEv20rocsparse_direction_T4_S4_21rocsparse_index_base_PKT2_PKT3_PKS4_S4_S5_PS6_PS9_PS4_.private_seg_size, 0
	.set _ZN9rocsparseL35bsr2csr_block_per_row_33_256_kernelILj1024ELj64ELj32E21rocsparse_complex_numIdEllEEv20rocsparse_direction_T4_S4_21rocsparse_index_base_PKT2_PKT3_PKS4_S4_S5_PS6_PS9_PS4_.uses_vcc, 1
	.set _ZN9rocsparseL35bsr2csr_block_per_row_33_256_kernelILj1024ELj64ELj32E21rocsparse_complex_numIdEllEEv20rocsparse_direction_T4_S4_21rocsparse_index_base_PKT2_PKT3_PKS4_S4_S5_PS6_PS9_PS4_.uses_flat_scratch, 0
	.set _ZN9rocsparseL35bsr2csr_block_per_row_33_256_kernelILj1024ELj64ELj32E21rocsparse_complex_numIdEllEEv20rocsparse_direction_T4_S4_21rocsparse_index_base_PKT2_PKT3_PKS4_S4_S5_PS6_PS9_PS4_.has_dyn_sized_stack, 0
	.set _ZN9rocsparseL35bsr2csr_block_per_row_33_256_kernelILj1024ELj64ELj32E21rocsparse_complex_numIdEllEEv20rocsparse_direction_T4_S4_21rocsparse_index_base_PKT2_PKT3_PKS4_S4_S5_PS6_PS9_PS4_.has_recursion, 0
	.set _ZN9rocsparseL35bsr2csr_block_per_row_33_256_kernelILj1024ELj64ELj32E21rocsparse_complex_numIdEllEEv20rocsparse_direction_T4_S4_21rocsparse_index_base_PKT2_PKT3_PKS4_S4_S5_PS6_PS9_PS4_.has_indirect_call, 0
	.section	.AMDGPU.csdata,"",@progbits
; Kernel info:
; codeLenInByte = 1192
; TotalNumSgprs: 32
; NumVgprs: 42
; ScratchSize: 0
; MemoryBound: 0
; FloatMode: 240
; IeeeMode: 1
; LDSByteSize: 0 bytes/workgroup (compile time only)
; SGPRBlocks: 0
; VGPRBlocks: 2
; NumSGPRsForWavesPerEU: 32
; NumVGPRsForWavesPerEU: 42
; NamedBarCnt: 0
; Occupancy: 16
; WaveLimiterHint : 1
; COMPUTE_PGM_RSRC2:SCRATCH_EN: 0
; COMPUTE_PGM_RSRC2:USER_SGPR: 2
; COMPUTE_PGM_RSRC2:TRAP_HANDLER: 0
; COMPUTE_PGM_RSRC2:TGID_X_EN: 1
; COMPUTE_PGM_RSRC2:TGID_Y_EN: 0
; COMPUTE_PGM_RSRC2:TGID_Z_EN: 0
; COMPUTE_PGM_RSRC2:TIDIG_COMP_CNT: 0
	.section	.text._ZN9rocsparseL35bsr2csr_block_per_row_33_256_kernelILj1024ELj128ELj32E21rocsparse_complex_numIdEllEEv20rocsparse_direction_T4_S4_21rocsparse_index_base_PKT2_PKT3_PKS4_S4_S5_PS6_PS9_PS4_,"axG",@progbits,_ZN9rocsparseL35bsr2csr_block_per_row_33_256_kernelILj1024ELj128ELj32E21rocsparse_complex_numIdEllEEv20rocsparse_direction_T4_S4_21rocsparse_index_base_PKT2_PKT3_PKS4_S4_S5_PS6_PS9_PS4_,comdat
	.globl	_ZN9rocsparseL35bsr2csr_block_per_row_33_256_kernelILj1024ELj128ELj32E21rocsparse_complex_numIdEllEEv20rocsparse_direction_T4_S4_21rocsparse_index_base_PKT2_PKT3_PKS4_S4_S5_PS6_PS9_PS4_ ; -- Begin function _ZN9rocsparseL35bsr2csr_block_per_row_33_256_kernelILj1024ELj128ELj32E21rocsparse_complex_numIdEllEEv20rocsparse_direction_T4_S4_21rocsparse_index_base_PKT2_PKT3_PKS4_S4_S5_PS6_PS9_PS4_
	.p2align	8
	.type	_ZN9rocsparseL35bsr2csr_block_per_row_33_256_kernelILj1024ELj128ELj32E21rocsparse_complex_numIdEllEEv20rocsparse_direction_T4_S4_21rocsparse_index_base_PKT2_PKT3_PKS4_S4_S5_PS6_PS9_PS4_,@function
_ZN9rocsparseL35bsr2csr_block_per_row_33_256_kernelILj1024ELj128ELj32E21rocsparse_complex_numIdEllEEv20rocsparse_direction_T4_S4_21rocsparse_index_base_PKT2_PKT3_PKS4_S4_S5_PS6_PS9_PS4_: ; @_ZN9rocsparseL35bsr2csr_block_per_row_33_256_kernelILj1024ELj128ELj32E21rocsparse_complex_numIdEllEEv20rocsparse_direction_T4_S4_21rocsparse_index_base_PKT2_PKT3_PKS4_S4_S5_PS6_PS9_PS4_
; %bb.0:
	s_load_b64 s[6:7], s[0:1], 0x28
	s_bfe_u32 s2, ttmp6, 0x4000c
	s_and_b32 s3, ttmp6, 15
	s_add_co_i32 s2, s2, 1
	s_getreg_b32 s4, hwreg(HW_REG_IB_STS2, 6, 4)
	s_mul_i32 s2, ttmp9, s2
	s_mov_b32 s13, 0
	s_add_co_i32 s3, s3, s2
	s_cmp_eq_u32 s4, 0
	s_clause 0x1
	s_load_b32 s14, s[0:1], 0x40
	s_load_b64 s[4:5], s[0:1], 0x50
	s_cselect_b32 s2, ttmp9, s3
	s_mov_b32 s3, s13
	v_or_b32_e32 v1, s2, v0
	s_lshl_b64 s[8:9], s[2:3], 3
	s_mov_b32 s15, s13
	s_wait_kmcnt 0x0
	s_add_nc_u64 s[6:7], s[6:7], s[8:9]
	s_load_b128 s[8:11], s[6:7], 0x0
	s_wait_xcnt 0x0
	s_mov_b32 s6, exec_lo
	v_cmpx_eq_u32_e32 0, v1
	s_cbranch_execz .LBB310_2
; %bb.1:
	v_mov_b64_e32 v[2:3], s[14:15]
	v_mov_b32_e32 v1, 0
	global_store_b64 v1, v[2:3], s[4:5]
.LBB310_2:
	s_wait_xcnt 0x0
	s_or_b32 exec_lo, exec_lo, s6
	s_clause 0x1
	s_load_b32 s12, s[0:1], 0x18
	s_load_b64 s[16:17], s[0:1], 0x38
	v_dual_mov_b32 v9, 0 :: v_dual_lshrrev_b32 v8, 5, v0
	s_wait_kmcnt 0x0
	s_sub_nc_u64 s[18:19], s[8:9], s[12:13]
	s_sub_nc_u64 s[20:21], s[10:11], s[12:13]
	s_mul_u64 s[30:31], s[16:17], s[18:19]
	s_mul_u64 s[22:23], s[16:17], s[2:3]
	v_cmp_gt_i64_e64 s3, s[16:17], v[8:9]
	s_sub_nc_u64 s[34:35], s[20:21], s[18:19]
	s_mul_u64 s[24:25], s[30:31], s[16:17]
	s_mul_u64 s[6:7], s[34:35], s[16:17]
	s_add_nc_u64 s[24:25], s[24:25], s[14:15]
	s_lshl_b64 s[22:23], s[22:23], 3
	s_add_nc_u64 s[24:25], s[24:25], s[6:7]
	s_add_nc_u64 s[22:23], s[4:5], s[22:23]
	s_and_saveexec_b32 s2, s3
	s_cbranch_execz .LBB310_4
; %bb.3:
	v_mad_nc_u64_u32 v[2:3], v8, s6, s[24:25]
	s_delay_alu instid0(VALU_DEP_1)
	v_mad_u32 v3, v8, s7, v3
	global_store_b64 v8, v[2:3], s[22:23] offset:8 scale_offset
.LBB310_4:
	s_wait_xcnt 0x0
	s_or_b32 exec_lo, exec_lo, s2
	v_dual_mov_b32 v3, v9 :: v_dual_bitop2_b32 v2, 32, v8 bitop3:0x54
	s_delay_alu instid0(VALU_DEP_1)
	v_cmp_gt_i64_e64 s5, s[16:17], v[2:3]
	s_and_saveexec_b32 s2, s5
	s_cbranch_execz .LBB310_6
; %bb.5:
	v_mad_nc_u64_u32 v[4:5], v2, s6, s[24:25]
	s_delay_alu instid0(VALU_DEP_1)
	v_mad_u32 v5, v2, s7, v5
	global_store_b64 v8, v[4:5], s[22:23] offset:264 scale_offset
.LBB310_6:
	s_wait_xcnt 0x0
	s_or_b32 exec_lo, exec_lo, s2
	v_dual_mov_b32 v3, v9 :: v_dual_bitop2_b32 v2, 64, v8 bitop3:0x54
	s_delay_alu instid0(VALU_DEP_1)
	v_cmp_gt_i64_e64 s4, s[16:17], v[2:3]
	s_and_saveexec_b32 s2, s4
	s_cbranch_execz .LBB310_8
; %bb.7:
	v_mad_nc_u64_u32 v[4:5], v2, s6, s[24:25]
	s_delay_alu instid0(VALU_DEP_1)
	v_mad_u32 v5, v2, s7, v5
	global_store_b64 v8, v[4:5], s[22:23] offset:520 scale_offset
.LBB310_8:
	s_wait_xcnt 0x0
	s_or_b32 exec_lo, exec_lo, s2
	v_or_b32_e32 v2, 0x60, v8
	v_mov_b32_e32 v3, v9
	s_delay_alu instid0(VALU_DEP_1)
	v_cmp_gt_i64_e64 s2, s[16:17], v[2:3]
	s_and_saveexec_b32 s26, s2
	s_cbranch_execz .LBB310_10
; %bb.9:
	v_mad_nc_u64_u32 v[4:5], v2, s6, s[24:25]
	s_delay_alu instid0(VALU_DEP_1)
	v_mad_u32 v5, v2, s7, v5
	global_store_b64 v8, v[4:5], s[22:23] offset:776 scale_offset
.LBB310_10:
	s_wait_xcnt 0x0
	s_or_b32 exec_lo, exec_lo, s26
	v_cmp_lt_i64_e64 s6, s[8:9], s[10:11]
	s_and_b32 vcc_lo, exec_lo, s6
	s_cbranch_vccz .LBB310_45
; %bb.11:
	s_clause 0x2
	s_load_b64 s[24:25], s[0:1], 0x30
	s_load_b64 s[26:27], s[0:1], 0x48
	s_load_b32 s7, s[0:1], 0x0
	v_mad_nc_u64_u32 v[20:21], v8, s34, s[30:31]
	v_dual_mov_b32 v1, 0 :: v_dual_bitop2_b32 v0, 31, v0 bitop3:0x40
	s_clause 0x1
	s_load_b64 s[22:23], s[0:1], 0x20
	s_load_b64 s[28:29], s[0:1], 0x58
	v_lshlrev_b32_e32 v24, 4, v8
	v_dual_mov_b32 v3, v1 :: v_dual_bitop2_b32 v2, 32, v0 bitop3:0x54
	v_dual_mov_b32 v7, v1 :: v_dual_mov_b32 v25, v1
	v_dual_mov_b32 v5, v1 :: v_dual_bitop2_b32 v4, 64, v0 bitop3:0x54
	v_mad_u32 v21, v8, s35, v21
	v_or_b32_e32 v6, 0x60, v0
	v_dual_mov_b32 v9, v1 :: v_dual_lshlrev_b32 v8, 4, v0
	v_cmp_gt_i64_e32 vcc_lo, s[16:17], v[0:1]
	s_wait_xcnt 0x0
	v_cmp_gt_i64_e64 s1, s[16:17], v[2:3]
	v_cmp_gt_i64_e64 s6, s[16:17], v[4:5]
	s_wait_kmcnt 0x0
	s_cmp_eq_u32 s7, 0
	v_cmp_gt_i64_e64 s7, s[16:17], v[6:7]
	s_cselect_b32 s0, -1, 0
	s_lshl_b64 s[44:45], s[30:31], 4
	v_mad_nc_u64_u32 v[22:23], 0x60, s10, v[20:21]
	v_add_nc_u64_e32 v[26:27], s[44:45], v[24:25]
	s_and_b32 s38, s5, vcc_lo
	s_and_b32 s30, s5, s1
	s_and_b32 s31, s5, s6
	s_and_b32 s35, s5, s7
	s_and_b32 s39, s4, vcc_lo
	s_and_b32 s40, s4, s1
	v_mad_nc_u64_u32 v[16:17], s16, v26, v[8:9]
	s_and_b32 s41, s4, s6
	s_and_b32 s42, s4, s7
	v_mad_u32 v23, 0x60, s11, v23
	s_lshl_b64 s[4:5], s[10:11], 5
	v_add_nc_u64_e32 v[28:29], 0x600, v[26:27]
	v_add_nc_u64_e32 v[36:37], s[4:5], v[20:21]
	s_lshl_b64 s[4:5], s[10:11], 6
	v_add_nc_u64_e32 v[30:31], 0x400, v[26:27]
	v_add_nc_u64_e32 v[42:43], s[4:5], v[20:21]
	s_lshl_b64 s[4:5], s[8:9], 5
	v_add_nc_u64_e32 v[32:33], 0x200, v[26:27]
	v_mad_u32 v17, s17, v26, v17
	v_lshlrev_b32_e32 v26, 3, v0
	v_add_nc_u64_e32 v[34:35], s[44:45], v[8:9]
	s_mul_u64 s[10:11], s[8:9], 0x60
	v_sub_nc_u64_e64 v[36:37], v[36:37], s[4:5]
	s_lshl_b64 s[4:5], s[8:9], 6
	v_sub_nc_u64_e64 v[44:45], v[22:23], s[10:11]
	v_sub_nc_u64_e64 v[42:43], v[42:43], s[4:5]
	v_mul_u64_e32 v[48:49], s[16:17], v[20:21]
	v_add_nc_u64_e32 v[38:39], 0x200, v[34:35]
	v_add_nc_u64_e32 v[40:41], 0x400, v[34:35]
	;; [unrolled: 1-line block ×3, first 2 shown]
	v_mul_u64_e32 v[36:37], s[16:17], v[36:37]
	v_mul_u64_e32 v[44:45], s[16:17], v[44:45]
	;; [unrolled: 1-line block ×3, first 2 shown]
	v_mad_nc_u64_u32 v[10:11], s16, v28, v[8:9]
	v_mad_nc_u64_u32 v[12:13], s16, v30, v[8:9]
	;; [unrolled: 1-line block ×7, first 2 shown]
	v_mad_u32 v17, s16, v27, v17
	s_and_b32 s36, s3, s6
	s_and_b32 s37, s3, s7
	;; [unrolled: 1-line block ×3, first 2 shown]
	v_mad_u32 v11, s17, v28, v11
	v_mad_u32 v13, s17, v30, v13
	;; [unrolled: 1-line block ×7, first 2 shown]
	s_and_b32 s45, s2, s7
	s_lshl_b64 s[4:5], s[8:9], 3
	s_lshl_b64 s[6:7], s[12:13], 3
	v_mov_b32_e32 v27, v1
	v_mad_u32 v11, s16, v29, v11
	v_mad_u32 v13, s16, v31, v13
	;; [unrolled: 1-line block ×7, first 2 shown]
	v_lshl_add_u64 v[28:29], v[48:49], 3, s[28:29]
	v_lshl_add_u64 v[30:31], v[48:49], 4, s[26:27]
	;; [unrolled: 1-line block ×8, first 2 shown]
	s_and_b32 s33, s3, vcc_lo
	s_and_b32 s34, s3, s1
	s_and_b32 s43, s2, vcc_lo
	s_and_b32 s1, s2, s1
	s_mul_u64 s[2:3], s[16:17], s[16:17]
	s_sub_nc_u64 s[4:5], s[4:5], s[6:7]
	s_lshl_b64 s[2:3], s[2:3], 4
	s_add_nc_u64 s[4:5], s[24:25], s[4:5]
	s_lshl_b64 s[6:7], s[16:17], 3
	s_lshl_b64 s[8:9], s[16:17], 4
	s_branch .LBB310_13
.LBB310_12:                             ;   in Loop: Header=BB310_13 Depth=1
	s_wait_xcnt 0x0
	s_or_b32 exec_lo, exec_lo, s10
	s_add_nc_u64 s[18:19], s[18:19], 1
	v_add_nc_u64_e32 v[28:29], s[6:7], v[28:29]
	v_cmp_ge_i64_e64 s10, s[18:19], s[20:21]
	v_add_nc_u64_e32 v[30:31], s[8:9], v[30:31]
	v_add_nc_u64_e32 v[32:33], s[8:9], v[32:33]
	;; [unrolled: 1-line block ×7, first 2 shown]
	s_add_nc_u64 s[22:23], s[22:23], s[2:3]
	s_and_b32 vcc_lo, exec_lo, s10
	s_add_nc_u64 s[4:5], s[4:5], 8
	s_cbranch_vccnz .LBB310_45
.LBB310_13:                             ; =>This Inner Loop Header: Depth=1
	s_load_b64 s[10:11], s[4:5], 0x0
	v_add_nc_u64_e32 v[60:61], v[28:29], v[26:27]
	v_add_nc_u64_e32 v[62:63], v[30:31], v[8:9]
	v_add_nc_u64_e32 v[64:65], s[22:23], v[16:17]
	v_add_nc_u64_e32 v[54:55], s[22:23], v[18:19]
	s_wait_kmcnt 0x0
	s_sub_nc_u64 s[10:11], s[10:11], s[12:13]
	s_delay_alu instid0(SALU_CYCLE_1) | instskip(NEXT) | instid1(SALU_CYCLE_1)
	s_mul_u64 s[10:11], s[10:11], s[16:17]
	s_add_nc_u64 s[10:11], s[10:11], s[14:15]
	s_delay_alu instid0(SALU_CYCLE_1)
	v_add_nc_u64_e32 v[46:47], s[10:11], v[0:1]
	s_and_saveexec_b32 s24, s33
	s_cbranch_execz .LBB310_15
; %bb.14:                               ;   in Loop: Header=BB310_13 Depth=1
	v_dual_cndmask_b32 v45, v55, v65, s0 :: v_dual_cndmask_b32 v44, v54, v64, s0
	global_load_b128 v[48:51], v[44:45], off
	global_store_b64 v[60:61], v[46:47], off
	s_wait_loadcnt 0x0
	global_store_b128 v[62:63], v[48:51], off
.LBB310_15:                             ;   in Loop: Header=BB310_13 Depth=1
	s_wait_xcnt 0x0
	s_or_b32 exec_lo, exec_lo, s24
	v_add_nc_u64_e32 v[44:45], s[10:11], v[2:3]
	v_add_nc_u64_e32 v[52:53], s[22:23], v[20:21]
	s_and_saveexec_b32 s24, s34
	s_cbranch_execz .LBB310_17
; %bb.16:                               ;   in Loop: Header=BB310_13 Depth=1
	v_add_nc_u64_e32 v[48:49], 0x200, v[64:65]
	s_delay_alu instid0(VALU_DEP_1)
	v_dual_cndmask_b32 v49, v53, v49, s0 :: v_dual_cndmask_b32 v48, v52, v48, s0
	global_load_b128 v[48:51], v[48:49], off
	global_store_b64 v[60:61], v[44:45], off offset:256
	s_wait_loadcnt 0x0
	global_store_b128 v[62:63], v[48:51], off offset:512
.LBB310_17:                             ;   in Loop: Header=BB310_13 Depth=1
	s_wait_xcnt 0x0
	s_or_b32 exec_lo, exec_lo, s24
	v_add_nc_u64_e32 v[48:49], s[10:11], v[4:5]
	v_add_nc_u64_e32 v[56:57], s[22:23], v[22:23]
	s_and_saveexec_b32 s24, s36
	s_cbranch_execz .LBB310_19
; %bb.18:                               ;   in Loop: Header=BB310_13 Depth=1
	v_add_nc_u64_e32 v[50:51], 0x400, v[64:65]
	s_delay_alu instid0(VALU_DEP_1)
	v_dual_cndmask_b32 v51, v57, v51, s0 :: v_dual_cndmask_b32 v50, v56, v50, s0
	global_load_b128 v[66:69], v[50:51], off
	global_store_b64 v[60:61], v[48:49], off offset:512
	s_wait_loadcnt 0x0
	global_store_b128 v[62:63], v[66:69], off offset:1024
.LBB310_19:                             ;   in Loop: Header=BB310_13 Depth=1
	;; [unrolled: 15-line block ×3, first 2 shown]
	s_wait_xcnt 0x0
	s_or_b32 exec_lo, exec_lo, s10
	v_add_nc_u64_e32 v[60:61], v[34:35], v[26:27]
	v_add_nc_u64_e32 v[62:63], v[32:33], v[8:9]
	;; [unrolled: 1-line block ×3, first 2 shown]
	s_and_saveexec_b32 s10, s38
	s_cbranch_execnz .LBB310_35
; %bb.22:                               ;   in Loop: Header=BB310_13 Depth=1
	s_or_b32 exec_lo, exec_lo, s10
	s_and_saveexec_b32 s10, s30
	s_cbranch_execnz .LBB310_36
.LBB310_23:                             ;   in Loop: Header=BB310_13 Depth=1
	s_or_b32 exec_lo, exec_lo, s10
	s_and_saveexec_b32 s10, s31
	s_cbranch_execnz .LBB310_37
.LBB310_24:                             ;   in Loop: Header=BB310_13 Depth=1
	s_or_b32 exec_lo, exec_lo, s10
	s_and_saveexec_b32 s10, s35
	s_cbranch_execz .LBB310_26
.LBB310_25:                             ;   in Loop: Header=BB310_13 Depth=1
	v_add_nc_u64_e32 v[64:65], 0x600, v[64:65]
	v_add_nc_u64_e32 v[66:67], 0x200, v[58:59]
	s_delay_alu instid0(VALU_DEP_1)
	v_dual_cndmask_b32 v65, v67, v65, s0 :: v_dual_cndmask_b32 v64, v66, v64, s0
	global_load_b128 v[64:67], v[64:65], off
	global_store_b64 v[60:61], v[50:51], off offset:768
	s_wait_loadcnt 0x0
	global_store_b128 v[62:63], v[64:67], off offset:1536
.LBB310_26:                             ;   in Loop: Header=BB310_13 Depth=1
	s_wait_xcnt 0x0
	s_or_b32 exec_lo, exec_lo, s10
	v_add_nc_u64_e32 v[60:61], v[42:43], v[26:27]
	v_add_nc_u64_e32 v[62:63], v[40:41], v[8:9]
	;; [unrolled: 1-line block ×3, first 2 shown]
	s_and_saveexec_b32 s10, s39
	s_cbranch_execnz .LBB310_38
; %bb.27:                               ;   in Loop: Header=BB310_13 Depth=1
	s_or_b32 exec_lo, exec_lo, s10
	s_and_saveexec_b32 s10, s40
	s_cbranch_execnz .LBB310_39
.LBB310_28:                             ;   in Loop: Header=BB310_13 Depth=1
	s_or_b32 exec_lo, exec_lo, s10
	s_and_saveexec_b32 s10, s41
	s_cbranch_execnz .LBB310_40
.LBB310_29:                             ;   in Loop: Header=BB310_13 Depth=1
	s_or_b32 exec_lo, exec_lo, s10
	s_and_saveexec_b32 s10, s42
	s_cbranch_execz .LBB310_31
.LBB310_30:                             ;   in Loop: Header=BB310_13 Depth=1
	v_add_nc_u64_e32 v[64:65], 0x600, v[64:65]
	v_add_nc_u64_e32 v[66:67], 0x400, v[58:59]
	s_delay_alu instid0(VALU_DEP_1)
	v_dual_cndmask_b32 v65, v67, v65, s0 :: v_dual_cndmask_b32 v64, v66, v64, s0
	global_load_b128 v[64:67], v[64:65], off
	global_store_b64 v[60:61], v[50:51], off offset:768
	s_wait_loadcnt 0x0
	global_store_b128 v[62:63], v[64:67], off offset:1536
.LBB310_31:                             ;   in Loop: Header=BB310_13 Depth=1
	s_wait_xcnt 0x0
	s_or_b32 exec_lo, exec_lo, s10
	v_add_nc_u64_e32 v[60:61], v[36:37], v[26:27]
	v_add_nc_u64_e32 v[62:63], v[38:39], v[8:9]
	;; [unrolled: 1-line block ×3, first 2 shown]
	s_and_saveexec_b32 s10, s43
	s_cbranch_execnz .LBB310_41
; %bb.32:                               ;   in Loop: Header=BB310_13 Depth=1
	s_or_b32 exec_lo, exec_lo, s10
	s_and_saveexec_b32 s10, s1
	s_cbranch_execnz .LBB310_42
.LBB310_33:                             ;   in Loop: Header=BB310_13 Depth=1
	s_or_b32 exec_lo, exec_lo, s10
	s_and_saveexec_b32 s10, s44
	s_cbranch_execnz .LBB310_43
.LBB310_34:                             ;   in Loop: Header=BB310_13 Depth=1
	s_or_b32 exec_lo, exec_lo, s10
	s_and_saveexec_b32 s10, s45
	s_cbranch_execz .LBB310_12
	s_branch .LBB310_44
.LBB310_35:                             ;   in Loop: Header=BB310_13 Depth=1
	v_add_nc_u64_e32 v[66:67], 0x200, v[54:55]
	s_delay_alu instid0(VALU_DEP_1)
	v_dual_cndmask_b32 v67, v67, v65, s0 :: v_dual_cndmask_b32 v66, v66, v64, s0
	global_load_b128 v[66:69], v[66:67], off
	global_store_b64 v[60:61], v[46:47], off
	s_wait_loadcnt 0x0
	global_store_b128 v[62:63], v[66:69], off
	s_wait_xcnt 0x0
	s_or_b32 exec_lo, exec_lo, s10
	s_and_saveexec_b32 s10, s30
	s_cbranch_execz .LBB310_23
.LBB310_36:                             ;   in Loop: Header=BB310_13 Depth=1
	s_delay_alu instid0(VALU_DEP_1) | instskip(SKIP_1) | instid1(VALU_DEP_1)
	v_add_nc_u64_e32 v[66:67], 0x200, v[64:65]
	v_add_nc_u64_e32 v[68:69], 0x200, v[52:53]
	v_dual_cndmask_b32 v67, v69, v67, s0 :: v_dual_cndmask_b32 v66, v68, v66, s0
	global_load_b128 v[66:69], v[66:67], off
	global_store_b64 v[60:61], v[44:45], off offset:256
	s_wait_loadcnt 0x0
	global_store_b128 v[62:63], v[66:69], off offset:512
	s_wait_xcnt 0x0
	s_or_b32 exec_lo, exec_lo, s10
	s_and_saveexec_b32 s10, s31
	s_cbranch_execz .LBB310_24
.LBB310_37:                             ;   in Loop: Header=BB310_13 Depth=1
	v_add_nc_u64_e32 v[66:67], 0x400, v[64:65]
	v_add_nc_u64_e32 v[68:69], 0x200, v[56:57]
	s_delay_alu instid0(VALU_DEP_1)
	v_dual_cndmask_b32 v67, v69, v67, s0 :: v_dual_cndmask_b32 v66, v68, v66, s0
	global_load_b128 v[66:69], v[66:67], off
	global_store_b64 v[60:61], v[48:49], off offset:512
	s_wait_loadcnt 0x0
	global_store_b128 v[62:63], v[66:69], off offset:1024
	s_wait_xcnt 0x0
	s_or_b32 exec_lo, exec_lo, s10
	s_and_saveexec_b32 s10, s35
	s_cbranch_execnz .LBB310_25
	s_branch .LBB310_26
.LBB310_38:                             ;   in Loop: Header=BB310_13 Depth=1
	v_add_nc_u64_e32 v[66:67], 0x400, v[54:55]
	s_delay_alu instid0(VALU_DEP_1)
	v_dual_cndmask_b32 v67, v67, v65, s0 :: v_dual_cndmask_b32 v66, v66, v64, s0
	global_load_b128 v[66:69], v[66:67], off
	global_store_b64 v[60:61], v[46:47], off
	s_wait_loadcnt 0x0
	global_store_b128 v[62:63], v[66:69], off
	s_wait_xcnt 0x0
	s_or_b32 exec_lo, exec_lo, s10
	s_and_saveexec_b32 s10, s40
	s_cbranch_execz .LBB310_28
.LBB310_39:                             ;   in Loop: Header=BB310_13 Depth=1
	s_delay_alu instid0(VALU_DEP_1) | instskip(SKIP_1) | instid1(VALU_DEP_1)
	v_add_nc_u64_e32 v[66:67], 0x200, v[64:65]
	v_add_nc_u64_e32 v[68:69], 0x400, v[52:53]
	v_dual_cndmask_b32 v67, v69, v67, s0 :: v_dual_cndmask_b32 v66, v68, v66, s0
	global_load_b128 v[66:69], v[66:67], off
	global_store_b64 v[60:61], v[44:45], off offset:256
	s_wait_loadcnt 0x0
	global_store_b128 v[62:63], v[66:69], off offset:512
	s_wait_xcnt 0x0
	s_or_b32 exec_lo, exec_lo, s10
	s_and_saveexec_b32 s10, s41
	s_cbranch_execz .LBB310_29
.LBB310_40:                             ;   in Loop: Header=BB310_13 Depth=1
	v_add_nc_u64_e32 v[66:67], 0x400, v[64:65]
	v_add_nc_u64_e32 v[68:69], 0x400, v[56:57]
	s_delay_alu instid0(VALU_DEP_1)
	v_dual_cndmask_b32 v67, v69, v67, s0 :: v_dual_cndmask_b32 v66, v68, v66, s0
	global_load_b128 v[66:69], v[66:67], off
	global_store_b64 v[60:61], v[48:49], off offset:512
	s_wait_loadcnt 0x0
	global_store_b128 v[62:63], v[66:69], off offset:1024
	s_wait_xcnt 0x0
	s_or_b32 exec_lo, exec_lo, s10
	s_and_saveexec_b32 s10, s42
	s_cbranch_execnz .LBB310_30
	s_branch .LBB310_31
.LBB310_41:                             ;   in Loop: Header=BB310_13 Depth=1
	v_add_nc_u64_e32 v[54:55], 0x600, v[54:55]
	s_delay_alu instid0(VALU_DEP_1)
	v_dual_cndmask_b32 v55, v55, v65, s0 :: v_dual_cndmask_b32 v54, v54, v64, s0
	global_load_b128 v[66:69], v[54:55], off
	global_store_b64 v[60:61], v[46:47], off
	s_wait_loadcnt 0x0
	global_store_b128 v[62:63], v[66:69], off
	s_wait_xcnt 0x0
	s_or_b32 exec_lo, exec_lo, s10
	s_and_saveexec_b32 s10, s1
	s_cbranch_execz .LBB310_33
.LBB310_42:                             ;   in Loop: Header=BB310_13 Depth=1
	s_delay_alu instid0(VALU_DEP_1) | instskip(SKIP_1) | instid1(VALU_DEP_1)
	v_add_nc_u64_e32 v[46:47], 0x200, v[64:65]
	v_add_nc_u64_e32 v[52:53], 0x600, v[52:53]
	v_dual_cndmask_b32 v47, v53, v47, s0 :: v_dual_cndmask_b32 v46, v52, v46, s0
	global_load_b128 v[52:55], v[46:47], off
	global_store_b64 v[60:61], v[44:45], off offset:256
	s_wait_loadcnt 0x0
	global_store_b128 v[62:63], v[52:55], off offset:512
	s_wait_xcnt 0x0
	s_or_b32 exec_lo, exec_lo, s10
	s_and_saveexec_b32 s10, s44
	s_cbranch_execz .LBB310_34
.LBB310_43:                             ;   in Loop: Header=BB310_13 Depth=1
	v_add_nc_u64_e32 v[44:45], 0x400, v[64:65]
	v_add_nc_u64_e32 v[46:47], 0x600, v[56:57]
	s_delay_alu instid0(VALU_DEP_1)
	v_dual_cndmask_b32 v45, v47, v45, s0 :: v_dual_cndmask_b32 v44, v46, v44, s0
	global_load_b128 v[44:47], v[44:45], off
	global_store_b64 v[60:61], v[48:49], off offset:512
	s_wait_loadcnt 0x0
	global_store_b128 v[62:63], v[44:47], off offset:1024
	s_wait_xcnt 0x0
	s_or_b32 exec_lo, exec_lo, s10
	s_and_saveexec_b32 s10, s45
	s_cbranch_execz .LBB310_12
.LBB310_44:                             ;   in Loop: Header=BB310_13 Depth=1
	v_add_nc_u64_e32 v[44:45], 0x600, v[64:65]
	v_add_nc_u64_e32 v[46:47], 0x600, v[58:59]
	s_delay_alu instid0(VALU_DEP_1)
	v_dual_cndmask_b32 v45, v47, v45, s0 :: v_dual_cndmask_b32 v44, v46, v44, s0
	global_load_b128 v[44:47], v[44:45], off
	global_store_b64 v[60:61], v[50:51], off offset:768
	s_wait_loadcnt 0x0
	global_store_b128 v[62:63], v[44:47], off offset:1536
	s_branch .LBB310_12
.LBB310_45:
	s_sendmsg sendmsg(MSG_DEALLOC_VGPRS)
	s_endpgm
	.section	.rodata,"a",@progbits
	.p2align	6, 0x0
	.amdhsa_kernel _ZN9rocsparseL35bsr2csr_block_per_row_33_256_kernelILj1024ELj128ELj32E21rocsparse_complex_numIdEllEEv20rocsparse_direction_T4_S4_21rocsparse_index_base_PKT2_PKT3_PKS4_S4_S5_PS6_PS9_PS4_
		.amdhsa_group_segment_fixed_size 0
		.amdhsa_private_segment_fixed_size 0
		.amdhsa_kernarg_size 96
		.amdhsa_user_sgpr_count 2
		.amdhsa_user_sgpr_dispatch_ptr 0
		.amdhsa_user_sgpr_queue_ptr 0
		.amdhsa_user_sgpr_kernarg_segment_ptr 1
		.amdhsa_user_sgpr_dispatch_id 0
		.amdhsa_user_sgpr_kernarg_preload_length 0
		.amdhsa_user_sgpr_kernarg_preload_offset 0
		.amdhsa_user_sgpr_private_segment_size 0
		.amdhsa_wavefront_size32 1
		.amdhsa_uses_dynamic_stack 0
		.amdhsa_enable_private_segment 0
		.amdhsa_system_sgpr_workgroup_id_x 1
		.amdhsa_system_sgpr_workgroup_id_y 0
		.amdhsa_system_sgpr_workgroup_id_z 0
		.amdhsa_system_sgpr_workgroup_info 0
		.amdhsa_system_vgpr_workitem_id 0
		.amdhsa_next_free_vgpr 70
		.amdhsa_next_free_sgpr 46
		.amdhsa_named_barrier_count 0
		.amdhsa_reserve_vcc 1
		.amdhsa_float_round_mode_32 0
		.amdhsa_float_round_mode_16_64 0
		.amdhsa_float_denorm_mode_32 3
		.amdhsa_float_denorm_mode_16_64 3
		.amdhsa_fp16_overflow 0
		.amdhsa_memory_ordered 1
		.amdhsa_forward_progress 1
		.amdhsa_inst_pref_size 23
		.amdhsa_round_robin_scheduling 0
		.amdhsa_exception_fp_ieee_invalid_op 0
		.amdhsa_exception_fp_denorm_src 0
		.amdhsa_exception_fp_ieee_div_zero 0
		.amdhsa_exception_fp_ieee_overflow 0
		.amdhsa_exception_fp_ieee_underflow 0
		.amdhsa_exception_fp_ieee_inexact 0
		.amdhsa_exception_int_div_zero 0
	.end_amdhsa_kernel
	.section	.text._ZN9rocsparseL35bsr2csr_block_per_row_33_256_kernelILj1024ELj128ELj32E21rocsparse_complex_numIdEllEEv20rocsparse_direction_T4_S4_21rocsparse_index_base_PKT2_PKT3_PKS4_S4_S5_PS6_PS9_PS4_,"axG",@progbits,_ZN9rocsparseL35bsr2csr_block_per_row_33_256_kernelILj1024ELj128ELj32E21rocsparse_complex_numIdEllEEv20rocsparse_direction_T4_S4_21rocsparse_index_base_PKT2_PKT3_PKS4_S4_S5_PS6_PS9_PS4_,comdat
.Lfunc_end310:
	.size	_ZN9rocsparseL35bsr2csr_block_per_row_33_256_kernelILj1024ELj128ELj32E21rocsparse_complex_numIdEllEEv20rocsparse_direction_T4_S4_21rocsparse_index_base_PKT2_PKT3_PKS4_S4_S5_PS6_PS9_PS4_, .Lfunc_end310-_ZN9rocsparseL35bsr2csr_block_per_row_33_256_kernelILj1024ELj128ELj32E21rocsparse_complex_numIdEllEEv20rocsparse_direction_T4_S4_21rocsparse_index_base_PKT2_PKT3_PKS4_S4_S5_PS6_PS9_PS4_
                                        ; -- End function
	.set _ZN9rocsparseL35bsr2csr_block_per_row_33_256_kernelILj1024ELj128ELj32E21rocsparse_complex_numIdEllEEv20rocsparse_direction_T4_S4_21rocsparse_index_base_PKT2_PKT3_PKS4_S4_S5_PS6_PS9_PS4_.num_vgpr, 70
	.set _ZN9rocsparseL35bsr2csr_block_per_row_33_256_kernelILj1024ELj128ELj32E21rocsparse_complex_numIdEllEEv20rocsparse_direction_T4_S4_21rocsparse_index_base_PKT2_PKT3_PKS4_S4_S5_PS6_PS9_PS4_.num_agpr, 0
	.set _ZN9rocsparseL35bsr2csr_block_per_row_33_256_kernelILj1024ELj128ELj32E21rocsparse_complex_numIdEllEEv20rocsparse_direction_T4_S4_21rocsparse_index_base_PKT2_PKT3_PKS4_S4_S5_PS6_PS9_PS4_.numbered_sgpr, 46
	.set _ZN9rocsparseL35bsr2csr_block_per_row_33_256_kernelILj1024ELj128ELj32E21rocsparse_complex_numIdEllEEv20rocsparse_direction_T4_S4_21rocsparse_index_base_PKT2_PKT3_PKS4_S4_S5_PS6_PS9_PS4_.num_named_barrier, 0
	.set _ZN9rocsparseL35bsr2csr_block_per_row_33_256_kernelILj1024ELj128ELj32E21rocsparse_complex_numIdEllEEv20rocsparse_direction_T4_S4_21rocsparse_index_base_PKT2_PKT3_PKS4_S4_S5_PS6_PS9_PS4_.private_seg_size, 0
	.set _ZN9rocsparseL35bsr2csr_block_per_row_33_256_kernelILj1024ELj128ELj32E21rocsparse_complex_numIdEllEEv20rocsparse_direction_T4_S4_21rocsparse_index_base_PKT2_PKT3_PKS4_S4_S5_PS6_PS9_PS4_.uses_vcc, 1
	.set _ZN9rocsparseL35bsr2csr_block_per_row_33_256_kernelILj1024ELj128ELj32E21rocsparse_complex_numIdEllEEv20rocsparse_direction_T4_S4_21rocsparse_index_base_PKT2_PKT3_PKS4_S4_S5_PS6_PS9_PS4_.uses_flat_scratch, 0
	.set _ZN9rocsparseL35bsr2csr_block_per_row_33_256_kernelILj1024ELj128ELj32E21rocsparse_complex_numIdEllEEv20rocsparse_direction_T4_S4_21rocsparse_index_base_PKT2_PKT3_PKS4_S4_S5_PS6_PS9_PS4_.has_dyn_sized_stack, 0
	.set _ZN9rocsparseL35bsr2csr_block_per_row_33_256_kernelILj1024ELj128ELj32E21rocsparse_complex_numIdEllEEv20rocsparse_direction_T4_S4_21rocsparse_index_base_PKT2_PKT3_PKS4_S4_S5_PS6_PS9_PS4_.has_recursion, 0
	.set _ZN9rocsparseL35bsr2csr_block_per_row_33_256_kernelILj1024ELj128ELj32E21rocsparse_complex_numIdEllEEv20rocsparse_direction_T4_S4_21rocsparse_index_base_PKT2_PKT3_PKS4_S4_S5_PS6_PS9_PS4_.has_indirect_call, 0
	.section	.AMDGPU.csdata,"",@progbits
; Kernel info:
; codeLenInByte = 2848
; TotalNumSgprs: 48
; NumVgprs: 70
; ScratchSize: 0
; MemoryBound: 0
; FloatMode: 240
; IeeeMode: 1
; LDSByteSize: 0 bytes/workgroup (compile time only)
; SGPRBlocks: 0
; VGPRBlocks: 4
; NumSGPRsForWavesPerEU: 48
; NumVGPRsForWavesPerEU: 70
; NamedBarCnt: 0
; Occupancy: 12
; WaveLimiterHint : 0
; COMPUTE_PGM_RSRC2:SCRATCH_EN: 0
; COMPUTE_PGM_RSRC2:USER_SGPR: 2
; COMPUTE_PGM_RSRC2:TRAP_HANDLER: 0
; COMPUTE_PGM_RSRC2:TGID_X_EN: 1
; COMPUTE_PGM_RSRC2:TGID_Y_EN: 0
; COMPUTE_PGM_RSRC2:TGID_Z_EN: 0
; COMPUTE_PGM_RSRC2:TIDIG_COMP_CNT: 0
	.section	.text._ZN9rocsparseL35bsr2csr_block_per_row_33_256_kernelILj1024ELj256ELj32E21rocsparse_complex_numIdEllEEv20rocsparse_direction_T4_S4_21rocsparse_index_base_PKT2_PKT3_PKS4_S4_S5_PS6_PS9_PS4_,"axG",@progbits,_ZN9rocsparseL35bsr2csr_block_per_row_33_256_kernelILj1024ELj256ELj32E21rocsparse_complex_numIdEllEEv20rocsparse_direction_T4_S4_21rocsparse_index_base_PKT2_PKT3_PKS4_S4_S5_PS6_PS9_PS4_,comdat
	.globl	_ZN9rocsparseL35bsr2csr_block_per_row_33_256_kernelILj1024ELj256ELj32E21rocsparse_complex_numIdEllEEv20rocsparse_direction_T4_S4_21rocsparse_index_base_PKT2_PKT3_PKS4_S4_S5_PS6_PS9_PS4_ ; -- Begin function _ZN9rocsparseL35bsr2csr_block_per_row_33_256_kernelILj1024ELj256ELj32E21rocsparse_complex_numIdEllEEv20rocsparse_direction_T4_S4_21rocsparse_index_base_PKT2_PKT3_PKS4_S4_S5_PS6_PS9_PS4_
	.p2align	8
	.type	_ZN9rocsparseL35bsr2csr_block_per_row_33_256_kernelILj1024ELj256ELj32E21rocsparse_complex_numIdEllEEv20rocsparse_direction_T4_S4_21rocsparse_index_base_PKT2_PKT3_PKS4_S4_S5_PS6_PS9_PS4_,@function
_ZN9rocsparseL35bsr2csr_block_per_row_33_256_kernelILj1024ELj256ELj32E21rocsparse_complex_numIdEllEEv20rocsparse_direction_T4_S4_21rocsparse_index_base_PKT2_PKT3_PKS4_S4_S5_PS6_PS9_PS4_: ; @_ZN9rocsparseL35bsr2csr_block_per_row_33_256_kernelILj1024ELj256ELj32E21rocsparse_complex_numIdEllEEv20rocsparse_direction_T4_S4_21rocsparse_index_base_PKT2_PKT3_PKS4_S4_S5_PS6_PS9_PS4_
; %bb.0:
	s_load_b64 s[6:7], s[0:1], 0x28
	s_bfe_u32 s2, ttmp6, 0x4000c
	s_and_b32 s3, ttmp6, 15
	s_add_co_i32 s2, s2, 1
	s_getreg_b32 s4, hwreg(HW_REG_IB_STS2, 6, 4)
	s_mul_i32 s2, ttmp9, s2
	s_mov_b32 s17, 0
	s_add_co_i32 s3, s3, s2
	s_cmp_eq_u32 s4, 0
	s_clause 0x1
	s_load_b32 s18, s[0:1], 0x40
	s_load_b64 s[4:5], s[0:1], 0x50
	s_cselect_b32 s2, ttmp9, s3
	s_mov_b32 s3, s17
	v_or_b32_e32 v1, s2, v0
	s_lshl_b64 s[8:9], s[2:3], 3
	s_mov_b32 s19, s17
	s_wait_kmcnt 0x0
	s_add_nc_u64 s[6:7], s[6:7], s[8:9]
	s_load_b128 s[12:15], s[6:7], 0x0
	s_wait_xcnt 0x0
	s_mov_b32 s6, exec_lo
	v_cmpx_eq_u32_e32 0, v1
	s_cbranch_execz .LBB311_2
; %bb.1:
	v_mov_b64_e32 v[2:3], s[18:19]
	v_mov_b32_e32 v1, 0
	global_store_b64 v1, v[2:3], s[4:5]
.LBB311_2:
	s_wait_xcnt 0x0
	s_or_b32 exec_lo, exec_lo, s6
	s_clause 0x1
	s_load_b32 s16, s[0:1], 0x18
	s_load_b64 s[20:21], s[0:1], 0x38
	v_dual_mov_b32 v51, 0 :: v_dual_lshrrev_b32 v50, 5, v0
	s_wait_kmcnt 0x0
	s_sub_nc_u64 s[22:23], s[12:13], s[16:17]
	s_sub_nc_u64 s[24:25], s[14:15], s[16:17]
	s_mul_u64 s[8:9], s[20:21], s[22:23]
	s_mul_u64 s[6:7], s[20:21], s[2:3]
	v_cmp_gt_i64_e64 s2, s[20:21], v[50:51]
	s_sub_nc_u64 s[42:43], s[24:25], s[22:23]
	s_mul_u64 s[8:9], s[8:9], s[20:21]
	s_mul_u64 s[10:11], s[42:43], s[20:21]
	s_add_nc_u64 s[8:9], s[8:9], s[18:19]
	s_lshl_b64 s[6:7], s[6:7], 3
	s_add_nc_u64 s[28:29], s[8:9], s[10:11]
	s_add_nc_u64 s[26:27], s[4:5], s[6:7]
	s_and_saveexec_b32 s3, s2
	s_cbranch_execz .LBB311_4
; %bb.3:
	v_mad_nc_u64_u32 v[2:3], v50, s10, s[28:29]
	s_delay_alu instid0(VALU_DEP_1)
	v_mad_u32 v3, v50, s11, v3
	global_store_b64 v50, v[2:3], s[26:27] offset:8 scale_offset
.LBB311_4:
	s_wait_xcnt 0x0
	s_or_b32 exec_lo, exec_lo, s3
	v_dual_mov_b32 v3, v51 :: v_dual_bitop2_b32 v2, 32, v50 bitop3:0x54
	s_delay_alu instid0(VALU_DEP_1)
	v_cmp_gt_i64_e64 s3, s[20:21], v[2:3]
	s_and_saveexec_b32 s4, s3
	s_cbranch_execz .LBB311_6
; %bb.5:
	v_mad_nc_u64_u32 v[4:5], v2, s10, s[28:29]
	s_delay_alu instid0(VALU_DEP_1)
	v_mad_u32 v5, v2, s11, v5
	global_store_b64 v50, v[4:5], s[26:27] offset:264 scale_offset
.LBB311_6:
	s_wait_xcnt 0x0
	s_or_b32 exec_lo, exec_lo, s4
	v_dual_mov_b32 v3, v51 :: v_dual_bitop2_b32 v2, 64, v50 bitop3:0x54
	s_delay_alu instid0(VALU_DEP_1)
	v_cmp_gt_i64_e64 s4, s[20:21], v[2:3]
	s_and_saveexec_b32 s5, s4
	s_cbranch_execz .LBB311_8
; %bb.7:
	v_mad_nc_u64_u32 v[4:5], v2, s10, s[28:29]
	s_delay_alu instid0(VALU_DEP_1)
	v_mad_u32 v5, v2, s11, v5
	global_store_b64 v50, v[4:5], s[26:27] offset:520 scale_offset
.LBB311_8:
	s_wait_xcnt 0x0
	s_or_b32 exec_lo, exec_lo, s5
	v_or_b32_e32 v2, 0x60, v50
	v_mov_b32_e32 v3, v51
	s_delay_alu instid0(VALU_DEP_1)
	v_cmp_gt_i64_e64 s5, s[20:21], v[2:3]
	s_and_saveexec_b32 s6, s5
	s_cbranch_execz .LBB311_10
; %bb.9:
	v_mad_nc_u64_u32 v[4:5], v2, s10, s[28:29]
	s_delay_alu instid0(VALU_DEP_1)
	v_mad_u32 v5, v2, s11, v5
	global_store_b64 v50, v[4:5], s[26:27] offset:776 scale_offset
.LBB311_10:
	s_wait_xcnt 0x0
	s_or_b32 exec_lo, exec_lo, s6
	v_or_b32_e32 v2, 0x80, v50
	v_mov_b32_e32 v3, v51
	;; [unrolled: 14-line block ×5, first 2 shown]
	s_delay_alu instid0(VALU_DEP_1)
	v_cmp_gt_i64_e64 s9, s[20:21], v[2:3]
	s_and_saveexec_b32 s30, s9
	s_cbranch_execz .LBB311_18
; %bb.17:
	v_mad_nc_u64_u32 v[4:5], v2, s10, s[28:29]
	s_delay_alu instid0(VALU_DEP_1)
	v_mad_u32 v5, v2, s11, v5
	global_store_b64 v50, v[4:5], s[26:27] offset:1800 scale_offset
.LBB311_18:
	s_wait_xcnt 0x0
	s_or_b32 exec_lo, exec_lo, s30
	v_cmp_lt_i64_e64 s10, s[12:13], s[14:15]
	s_and_b32 vcc_lo, exec_lo, s10
	s_cbranch_vccz .LBB311_149
; %bb.19:
	v_dual_mov_b32 v1, 0 :: v_dual_bitop2_b32 v2, 31, v0 bitop3:0x40
	v_mul_u64_e32 v[4:5], s[42:43], v[50:51]
	s_clause 0x4
	s_load_b64 s[28:29], s[0:1], 0x20
	s_load_b64 s[30:31], s[0:1], 0x30
	;; [unrolled: 1-line block ×3, first 2 shown]
	s_load_b32 s15, s[0:1], 0x0
	s_load_b64 s[26:27], s[0:1], 0x58
	v_dual_mov_b32 v3, v1 :: v_dual_bitop2_b32 v10, 32, v2 bitop3:0x54
	v_mul_u64_e32 v[8:9], s[20:21], v[50:51]
	v_dual_mov_b32 v11, v1 :: v_dual_bitop2_b32 v12, 64, v2 bitop3:0x54
	s_delay_alu instid0(VALU_DEP_3)
	v_mul_u64_e32 v[6:7], s[20:21], v[2:3]
	v_dual_mov_b32 v13, v1 :: v_dual_mov_b32 v15, v1
	v_or_b32_e32 v14, 0x60, v2
	v_or_b32_e32 v16, 0x80, v2
	v_dual_mov_b32 v17, v1 :: v_dual_mov_b32 v19, v1
	v_or_b32_e32 v18, 0xa0, v2
	v_or_b32_e32 v20, 0xc0, v2
	v_dual_mov_b32 v21, v1 :: v_dual_mov_b32 v23, v1
	v_or_b32_e32 v22, 0xe0, v2
	v_cmp_gt_i64_e32 vcc_lo, s[20:21], v[2:3]
	s_wait_kmcnt 0x0
	s_cmp_eq_u32 s15, 0
	v_cmp_gt_i64_e64 s1, s[20:21], v[10:11]
	s_cselect_b32 s0, -1, 0
	s_lshl_b64 s[96:97], s[42:43], 5
	s_lshl_b64 s[40:41], s[20:21], 5
	v_cmp_gt_i64_e64 s10, s[20:21], v[12:13]
	v_cmp_gt_i64_e64 s11, s[20:21], v[14:15]
	;; [unrolled: 1-line block ×6, first 2 shown]
	v_add_nc_u64_e32 v[30:31], s[96:97], v[4:5]
	v_dual_mov_b32 v51, v1 :: v_dual_lshlrev_b32 v50, 4, v50
	s_mul_u64 s[36:37], s[20:21], s[20:21]
	s_and_b32 s33, s2, vcc_lo
	s_mul_u64 s[38:39], s[22:23], s[36:37]
	s_and_b32 s44, s2, s1
	s_delay_alu instid0(VALU_DEP_2)
	v_add_nc_u64_e32 v[34:35], s[96:97], v[30:31]
	v_add_nc_u64_e32 v[24:25], s[40:41], v[6:7]
	s_and_b32 s45, s2, s10
	s_and_b32 s46, s2, s11
	;; [unrolled: 1-line block ×5, first 2 shown]
	v_add_nc_u64_e32 v[38:39], s[96:97], v[34:35]
	v_add_nc_u64_e32 v[26:27], s[40:41], v[24:25]
	s_and_b32 s50, s2, s15
	s_and_b32 s42, s3, vcc_lo
	s_and_b32 s43, s3, s1
	s_and_b32 s51, s3, s10
	;; [unrolled: 1-line block ×3, first 2 shown]
	v_add_nc_u64_e32 v[42:43], s[96:97], v[38:39]
	v_add_nc_u64_e32 v[28:29], s[40:41], v[26:27]
	s_and_b32 s53, s3, s12
	s_and_b32 s54, s3, s13
	;; [unrolled: 1-line block ×4, first 2 shown]
	s_and_b32 s57, s4, vcc_lo
	v_add_nc_u64_e32 v[44:45], s[96:97], v[42:43]
	v_add_nc_u64_e32 v[32:33], s[40:41], v[28:29]
	s_and_b32 s58, s4, s1
	s_and_b32 s59, s4, s10
	s_and_b32 s60, s4, s11
	s_and_b32 s61, s4, s12
	s_and_b32 s62, s4, s13
	v_add_nc_u64_e32 v[46:47], s[96:97], v[44:45]
	v_add_nc_u64_e32 v[36:37], s[40:41], v[32:33]
	s_and_b32 s63, s4, s14
	s_and_b32 s64, s4, s15
	s_and_b32 s65, s5, vcc_lo
	s_and_b32 s66, s5, s1
	s_and_b32 s67, s5, s10
	v_add_nc_u64_e32 v[48:49], s[96:97], v[46:47]
	v_add_nc_u64_e32 v[40:41], s[40:41], v[36:37]
	s_and_b32 s68, s5, s11
	s_and_b32 s69, s5, s12
	s_and_b32 s70, s5, s13
	s_and_b32 s71, s5, s14
	s_and_b32 s72, s5, s15
	s_and_b32 s73, s6, vcc_lo
	s_and_b32 s74, s6, s1
	s_and_b32 s75, s6, s10
	s_and_b32 s76, s6, s11
	s_and_b32 s77, s6, s12
	s_and_b32 s78, s6, s13
	s_and_b32 s79, s6, s14
	s_and_b32 s80, s6, s15
	s_and_b32 s81, s7, vcc_lo
	s_and_b32 s82, s7, s1
	s_and_b32 s83, s7, s10
	;; [unrolled: 8-line block ×4, first 2 shown]
	s_and_b32 s11, s9, s11
	s_and_b32 s12, s9, s12
	;; [unrolled: 1-line block ×5, first 2 shown]
	s_mov_b64 s[2:3], s[22:23]
	s_branch .LBB311_21
.LBB311_20:                             ;   in Loop: Header=BB311_21 Depth=1
	s_wait_xcnt 0x0
	s_or_b32 exec_lo, exec_lo, s4
	s_add_nc_u64 s[2:3], s[2:3], 1
	s_delay_alu instid0(SALU_CYCLE_1)
	v_cmp_ge_i64_e64 s4, s[2:3], s[24:25]
	s_and_b32 vcc_lo, exec_lo, s4
	s_cbranch_vccnz .LBB311_149
.LBB311_21:                             ; =>This Inner Loop Header: Depth=1
	s_sub_nc_u64 s[4:5], s[2:3], s[22:23]
	s_lshl_b64 s[6:7], s[2:3], 3
	v_add_nc_u64_e32 v[52:53], s[4:5], v[4:5]
	s_add_nc_u64 s[6:7], s[30:31], s[6:7]
	s_mul_u64 s[98:99], s[2:3], s[36:37]
	s_load_b64 s[6:7], s[6:7], 0x0
	s_lshl_b64 s[98:99], s[98:99], 4
	s_delay_alu instid0(SALU_CYCLE_1) | instskip(NEXT) | instid1(VALU_DEP_1)
	s_add_nc_u64 s[98:99], s[28:29], s[98:99]
	v_mad_nc_u64_u32 v[54:55], v52, s20, s[38:39]
	v_add_nc_u64_e32 v[82:83], s[98:99], v[50:51]
	v_lshl_add_u64 v[84:85], v[8:9], 4, s[98:99]
	s_delay_alu instid0(VALU_DEP_2) | instskip(NEXT) | instid1(VALU_DEP_4)
	v_lshl_add_u64 v[68:69], v[6:7], 4, v[82:83]
	v_mad_u32 v0, v53, s20, v55
	s_wait_kmcnt 0x0
	s_sub_nc_u64 s[6:7], s[6:7], s[16:17]
	s_delay_alu instid0(SALU_CYCLE_1) | instskip(NEXT) | instid1(SALU_CYCLE_1)
	s_mul_u64 s[6:7], s[6:7], s[20:21]
	s_add_nc_u64 s[6:7], s[6:7], s[18:19]
	s_delay_alu instid0(VALU_DEP_1) | instskip(SKIP_2) | instid1(VALU_DEP_3)
	v_mad_u32 v55, v52, s21, v0
	v_add_nc_u64_e32 v[52:53], s[6:7], v[2:3]
	v_lshlrev_b32_e32 v0, 4, v2
	v_add_nc_u64_e32 v[54:55], v[54:55], v[2:3]
	s_delay_alu instid0(VALU_DEP_1)
	v_lshl_add_u64 v[86:87], v[54:55], 3, s[26:27]
	v_lshl_add_u64 v[88:89], v[54:55], 4, s[34:35]
	s_and_saveexec_b32 s15, s33
	s_cbranch_execz .LBB311_23
; %bb.22:                               ;   in Loop: Header=BB311_21 Depth=1
	v_add_nc_u64_e32 v[54:55], v[84:85], v[0:1]
	s_delay_alu instid0(VALU_DEP_1)
	v_dual_cndmask_b32 v55, v69, v55, s0 :: v_dual_cndmask_b32 v54, v68, v54, s0
	global_load_b128 v[54:57], v[54:55], off
	global_store_b64 v[86:87], v[52:53], off
	s_wait_loadcnt 0x0
	global_store_b128 v[88:89], v[54:57], off
.LBB311_23:                             ;   in Loop: Header=BB311_21 Depth=1
	s_wait_xcnt 0x0
	s_or_b32 exec_lo, exec_lo, s15
	v_add_nc_u64_e32 v[54:55], s[6:7], v[10:11]
	v_lshl_add_u64 v[80:81], v[24:25], 4, v[82:83]
	s_and_saveexec_b32 s15, s44
	s_cbranch_execz .LBB311_25
; %bb.24:                               ;   in Loop: Header=BB311_21 Depth=1
	v_add_nc_u64_e32 v[56:57], v[84:85], v[0:1]
	s_delay_alu instid0(VALU_DEP_1) | instskip(NEXT) | instid1(VALU_DEP_1)
	v_add_nc_u64_e32 v[56:57], 0x200, v[56:57]
	v_dual_cndmask_b32 v57, v81, v57, s0 :: v_dual_cndmask_b32 v56, v80, v56, s0
	global_load_b128 v[56:59], v[56:57], off
	global_store_b64 v[86:87], v[54:55], off offset:256
	s_wait_loadcnt 0x0
	global_store_b128 v[88:89], v[56:59], off offset:512
.LBB311_25:                             ;   in Loop: Header=BB311_21 Depth=1
	s_wait_xcnt 0x0
	s_or_b32 exec_lo, exec_lo, s15
	v_add_nc_u64_e32 v[56:57], s[6:7], v[12:13]
	v_lshl_add_u64 v[78:79], v[26:27], 4, v[82:83]
	s_and_saveexec_b32 s15, s45
	s_cbranch_execz .LBB311_27
; %bb.26:                               ;   in Loop: Header=BB311_21 Depth=1
	v_add_nc_u64_e32 v[58:59], v[84:85], v[0:1]
	s_delay_alu instid0(VALU_DEP_1) | instskip(NEXT) | instid1(VALU_DEP_1)
	v_add_nc_u64_e32 v[58:59], 0x400, v[58:59]
	v_dual_cndmask_b32 v59, v79, v59, s0 :: v_dual_cndmask_b32 v58, v78, v58, s0
	global_load_b128 v[58:61], v[58:59], off
	global_store_b64 v[86:87], v[56:57], off offset:512
	s_wait_loadcnt 0x0
	global_store_b128 v[88:89], v[58:61], off offset:1024
.LBB311_27:                             ;   in Loop: Header=BB311_21 Depth=1
	;; [unrolled: 16-line block ×6, first 2 shown]
	s_wait_xcnt 0x0
	s_or_b32 exec_lo, exec_lo, s15
	v_add_nc_u64_e32 v[90:91], s[40:41], v[40:41]
	v_add_nc_u64_e32 v[66:67], s[6:7], v[22:23]
	s_delay_alu instid0(VALU_DEP_2)
	v_lshl_add_u64 v[82:83], v[90:91], 4, v[82:83]
	s_and_saveexec_b32 s6, s50
	s_cbranch_execz .LBB311_37
; %bb.36:                               ;   in Loop: Header=BB311_21 Depth=1
	v_add_nc_u64_e32 v[90:91], v[84:85], v[0:1]
	s_delay_alu instid0(VALU_DEP_1) | instskip(NEXT) | instid1(VALU_DEP_1)
	v_add_nc_u64_e32 v[90:91], 0xe00, v[90:91]
	v_dual_cndmask_b32 v91, v83, v91, s0 :: v_dual_cndmask_b32 v90, v82, v90, s0
	global_load_b128 v[90:93], v[90:91], off
	global_store_b64 v[86:87], v[66:67], off offset:1792
	s_wait_loadcnt 0x0
	global_store_b128 v[88:89], v[90:93], off offset:3584
.LBB311_37:                             ;   in Loop: Header=BB311_21 Depth=1
	s_wait_xcnt 0x0
	s_or_b32 exec_lo, exec_lo, s6
	v_add_nc_u64_e32 v[86:87], s[4:5], v[30:31]
	v_lshl_add_u64 v[84:85], s[40:41], 4, v[84:85]
	s_delay_alu instid0(VALU_DEP_2) | instskip(NEXT) | instid1(VALU_DEP_1)
	v_mad_nc_u64_u32 v[88:89], v86, s20, s[38:39]
	v_mad_u32 v87, v87, s20, v89
	s_delay_alu instid0(VALU_DEP_1) | instskip(NEXT) | instid1(VALU_DEP_1)
	v_mad_u32 v89, v86, s21, v87
	v_add_nc_u64_e32 v[88:89], v[88:89], v[2:3]
	s_delay_alu instid0(VALU_DEP_1)
	v_lshl_add_u64 v[86:87], v[88:89], 3, s[26:27]
	v_lshl_add_u64 v[88:89], v[88:89], 4, s[34:35]
	s_and_saveexec_b32 s6, s42
	s_cbranch_execnz .LBB311_99
; %bb.38:                               ;   in Loop: Header=BB311_21 Depth=1
	s_or_b32 exec_lo, exec_lo, s6
	s_and_saveexec_b32 s6, s43
	s_cbranch_execnz .LBB311_100
.LBB311_39:                             ;   in Loop: Header=BB311_21 Depth=1
	s_or_b32 exec_lo, exec_lo, s6
	s_and_saveexec_b32 s6, s51
	s_cbranch_execnz .LBB311_101
.LBB311_40:                             ;   in Loop: Header=BB311_21 Depth=1
	s_or_b32 exec_lo, exec_lo, s6
	s_and_saveexec_b32 s6, s52
	s_cbranch_execnz .LBB311_102
.LBB311_41:                             ;   in Loop: Header=BB311_21 Depth=1
	s_or_b32 exec_lo, exec_lo, s6
	s_and_saveexec_b32 s6, s53
	s_cbranch_execnz .LBB311_103
.LBB311_42:                             ;   in Loop: Header=BB311_21 Depth=1
	s_or_b32 exec_lo, exec_lo, s6
	s_and_saveexec_b32 s6, s54
	s_cbranch_execnz .LBB311_104
.LBB311_43:                             ;   in Loop: Header=BB311_21 Depth=1
	s_or_b32 exec_lo, exec_lo, s6
	s_and_saveexec_b32 s6, s55
	s_cbranch_execnz .LBB311_105
.LBB311_44:                             ;   in Loop: Header=BB311_21 Depth=1
	s_or_b32 exec_lo, exec_lo, s6
	s_and_saveexec_b32 s6, s56
	s_cbranch_execz .LBB311_46
.LBB311_45:                             ;   in Loop: Header=BB311_21 Depth=1
	v_add_nc_u64_e32 v[90:91], v[84:85], v[0:1]
	v_add_nc_u64_e32 v[92:93], 0x200, v[82:83]
	s_delay_alu instid0(VALU_DEP_2) | instskip(NEXT) | instid1(VALU_DEP_1)
	v_add_nc_u64_e32 v[90:91], 0xe00, v[90:91]
	v_dual_cndmask_b32 v91, v93, v91, s0 :: v_dual_cndmask_b32 v90, v92, v90, s0
	global_load_b128 v[90:93], v[90:91], off
	global_store_b64 v[86:87], v[66:67], off offset:1792
	s_wait_loadcnt 0x0
	global_store_b128 v[88:89], v[90:93], off offset:3584
.LBB311_46:                             ;   in Loop: Header=BB311_21 Depth=1
	s_wait_xcnt 0x0
	s_or_b32 exec_lo, exec_lo, s6
	v_add_nc_u64_e32 v[86:87], s[4:5], v[34:35]
	v_lshl_add_u64 v[84:85], s[40:41], 4, v[84:85]
	s_delay_alu instid0(VALU_DEP_2) | instskip(NEXT) | instid1(VALU_DEP_1)
	v_mad_nc_u64_u32 v[88:89], v86, s20, s[38:39]
	v_mad_u32 v87, v87, s20, v89
	s_delay_alu instid0(VALU_DEP_1) | instskip(NEXT) | instid1(VALU_DEP_1)
	v_mad_u32 v89, v86, s21, v87
	v_add_nc_u64_e32 v[88:89], v[88:89], v[2:3]
	s_delay_alu instid0(VALU_DEP_1)
	v_lshl_add_u64 v[86:87], v[88:89], 3, s[26:27]
	v_lshl_add_u64 v[88:89], v[88:89], 4, s[34:35]
	s_and_saveexec_b32 s6, s57
	s_cbranch_execnz .LBB311_106
; %bb.47:                               ;   in Loop: Header=BB311_21 Depth=1
	s_or_b32 exec_lo, exec_lo, s6
	s_and_saveexec_b32 s6, s58
	s_cbranch_execnz .LBB311_107
.LBB311_48:                             ;   in Loop: Header=BB311_21 Depth=1
	s_or_b32 exec_lo, exec_lo, s6
	s_and_saveexec_b32 s6, s59
	s_cbranch_execnz .LBB311_108
.LBB311_49:                             ;   in Loop: Header=BB311_21 Depth=1
	s_or_b32 exec_lo, exec_lo, s6
	s_and_saveexec_b32 s6, s60
	s_cbranch_execnz .LBB311_109
.LBB311_50:                             ;   in Loop: Header=BB311_21 Depth=1
	s_or_b32 exec_lo, exec_lo, s6
	s_and_saveexec_b32 s6, s61
	s_cbranch_execnz .LBB311_110
.LBB311_51:                             ;   in Loop: Header=BB311_21 Depth=1
	s_or_b32 exec_lo, exec_lo, s6
	s_and_saveexec_b32 s6, s62
	s_cbranch_execnz .LBB311_111
.LBB311_52:                             ;   in Loop: Header=BB311_21 Depth=1
	s_or_b32 exec_lo, exec_lo, s6
	s_and_saveexec_b32 s6, s63
	s_cbranch_execnz .LBB311_112
.LBB311_53:                             ;   in Loop: Header=BB311_21 Depth=1
	s_or_b32 exec_lo, exec_lo, s6
	s_and_saveexec_b32 s6, s64
	s_cbranch_execz .LBB311_55
.LBB311_54:                             ;   in Loop: Header=BB311_21 Depth=1
	v_add_nc_u64_e32 v[90:91], v[84:85], v[0:1]
	v_add_nc_u64_e32 v[92:93], 0x400, v[82:83]
	s_delay_alu instid0(VALU_DEP_2) | instskip(NEXT) | instid1(VALU_DEP_1)
	v_add_nc_u64_e32 v[90:91], 0xe00, v[90:91]
	v_dual_cndmask_b32 v91, v93, v91, s0 :: v_dual_cndmask_b32 v90, v92, v90, s0
	global_load_b128 v[90:93], v[90:91], off
	global_store_b64 v[86:87], v[66:67], off offset:1792
	s_wait_loadcnt 0x0
	global_store_b128 v[88:89], v[90:93], off offset:3584
.LBB311_55:                             ;   in Loop: Header=BB311_21 Depth=1
	s_wait_xcnt 0x0
	s_or_b32 exec_lo, exec_lo, s6
	v_add_nc_u64_e32 v[86:87], s[4:5], v[38:39]
	v_lshl_add_u64 v[84:85], s[40:41], 4, v[84:85]
	s_delay_alu instid0(VALU_DEP_2) | instskip(NEXT) | instid1(VALU_DEP_1)
	v_mad_nc_u64_u32 v[88:89], v86, s20, s[38:39]
	v_mad_u32 v87, v87, s20, v89
	s_delay_alu instid0(VALU_DEP_1) | instskip(NEXT) | instid1(VALU_DEP_1)
	v_mad_u32 v89, v86, s21, v87
	v_add_nc_u64_e32 v[88:89], v[88:89], v[2:3]
	s_delay_alu instid0(VALU_DEP_1)
	v_lshl_add_u64 v[86:87], v[88:89], 3, s[26:27]
	v_lshl_add_u64 v[88:89], v[88:89], 4, s[34:35]
	s_and_saveexec_b32 s6, s65
	s_cbranch_execnz .LBB311_113
; %bb.56:                               ;   in Loop: Header=BB311_21 Depth=1
	s_or_b32 exec_lo, exec_lo, s6
	s_and_saveexec_b32 s6, s66
	s_cbranch_execnz .LBB311_114
.LBB311_57:                             ;   in Loop: Header=BB311_21 Depth=1
	s_or_b32 exec_lo, exec_lo, s6
	s_and_saveexec_b32 s6, s67
	s_cbranch_execnz .LBB311_115
.LBB311_58:                             ;   in Loop: Header=BB311_21 Depth=1
	s_or_b32 exec_lo, exec_lo, s6
	s_and_saveexec_b32 s6, s68
	s_cbranch_execnz .LBB311_116
.LBB311_59:                             ;   in Loop: Header=BB311_21 Depth=1
	s_or_b32 exec_lo, exec_lo, s6
	s_and_saveexec_b32 s6, s69
	s_cbranch_execnz .LBB311_117
.LBB311_60:                             ;   in Loop: Header=BB311_21 Depth=1
	s_or_b32 exec_lo, exec_lo, s6
	s_and_saveexec_b32 s6, s70
	s_cbranch_execnz .LBB311_118
.LBB311_61:                             ;   in Loop: Header=BB311_21 Depth=1
	s_or_b32 exec_lo, exec_lo, s6
	s_and_saveexec_b32 s6, s71
	s_cbranch_execnz .LBB311_119
.LBB311_62:                             ;   in Loop: Header=BB311_21 Depth=1
	s_or_b32 exec_lo, exec_lo, s6
	s_and_saveexec_b32 s6, s72
	s_cbranch_execz .LBB311_64
.LBB311_63:                             ;   in Loop: Header=BB311_21 Depth=1
	v_add_nc_u64_e32 v[90:91], v[84:85], v[0:1]
	v_add_nc_u64_e32 v[92:93], 0x600, v[82:83]
	s_delay_alu instid0(VALU_DEP_2) | instskip(NEXT) | instid1(VALU_DEP_1)
	v_add_nc_u64_e32 v[90:91], 0xe00, v[90:91]
	v_dual_cndmask_b32 v91, v93, v91, s0 :: v_dual_cndmask_b32 v90, v92, v90, s0
	global_load_b128 v[90:93], v[90:91], off
	global_store_b64 v[86:87], v[66:67], off offset:1792
	s_wait_loadcnt 0x0
	global_store_b128 v[88:89], v[90:93], off offset:3584
.LBB311_64:                             ;   in Loop: Header=BB311_21 Depth=1
	s_wait_xcnt 0x0
	s_or_b32 exec_lo, exec_lo, s6
	v_add_nc_u64_e32 v[86:87], s[4:5], v[42:43]
	v_lshl_add_u64 v[84:85], s[40:41], 4, v[84:85]
	s_delay_alu instid0(VALU_DEP_2) | instskip(NEXT) | instid1(VALU_DEP_1)
	v_mad_nc_u64_u32 v[88:89], v86, s20, s[38:39]
	v_mad_u32 v87, v87, s20, v89
	s_delay_alu instid0(VALU_DEP_1) | instskip(NEXT) | instid1(VALU_DEP_1)
	v_mad_u32 v89, v86, s21, v87
	v_add_nc_u64_e32 v[88:89], v[88:89], v[2:3]
	s_delay_alu instid0(VALU_DEP_1)
	v_lshl_add_u64 v[86:87], v[88:89], 3, s[26:27]
	v_lshl_add_u64 v[88:89], v[88:89], 4, s[34:35]
	s_and_saveexec_b32 s6, s73
	s_cbranch_execnz .LBB311_120
; %bb.65:                               ;   in Loop: Header=BB311_21 Depth=1
	s_or_b32 exec_lo, exec_lo, s6
	s_and_saveexec_b32 s6, s74
	s_cbranch_execnz .LBB311_121
.LBB311_66:                             ;   in Loop: Header=BB311_21 Depth=1
	s_or_b32 exec_lo, exec_lo, s6
	s_and_saveexec_b32 s6, s75
	s_cbranch_execnz .LBB311_122
.LBB311_67:                             ;   in Loop: Header=BB311_21 Depth=1
	s_or_b32 exec_lo, exec_lo, s6
	s_and_saveexec_b32 s6, s76
	s_cbranch_execnz .LBB311_123
.LBB311_68:                             ;   in Loop: Header=BB311_21 Depth=1
	s_or_b32 exec_lo, exec_lo, s6
	s_and_saveexec_b32 s6, s77
	s_cbranch_execnz .LBB311_124
.LBB311_69:                             ;   in Loop: Header=BB311_21 Depth=1
	s_or_b32 exec_lo, exec_lo, s6
	s_and_saveexec_b32 s6, s78
	s_cbranch_execnz .LBB311_125
.LBB311_70:                             ;   in Loop: Header=BB311_21 Depth=1
	s_or_b32 exec_lo, exec_lo, s6
	s_and_saveexec_b32 s6, s79
	s_cbranch_execnz .LBB311_126
.LBB311_71:                             ;   in Loop: Header=BB311_21 Depth=1
	s_or_b32 exec_lo, exec_lo, s6
	s_and_saveexec_b32 s6, s80
	s_cbranch_execz .LBB311_73
.LBB311_72:                             ;   in Loop: Header=BB311_21 Depth=1
	v_add_nc_u64_e32 v[90:91], v[84:85], v[0:1]
	v_add_nc_u64_e32 v[92:93], 0x800, v[82:83]
	s_delay_alu instid0(VALU_DEP_2) | instskip(NEXT) | instid1(VALU_DEP_1)
	v_add_nc_u64_e32 v[90:91], 0xe00, v[90:91]
	v_dual_cndmask_b32 v91, v93, v91, s0 :: v_dual_cndmask_b32 v90, v92, v90, s0
	global_load_b128 v[90:93], v[90:91], off
	global_store_b64 v[86:87], v[66:67], off offset:1792
	s_wait_loadcnt 0x0
	global_store_b128 v[88:89], v[90:93], off offset:3584
.LBB311_73:                             ;   in Loop: Header=BB311_21 Depth=1
	s_wait_xcnt 0x0
	s_or_b32 exec_lo, exec_lo, s6
	v_add_nc_u64_e32 v[86:87], s[4:5], v[44:45]
	v_lshl_add_u64 v[84:85], s[40:41], 4, v[84:85]
	s_delay_alu instid0(VALU_DEP_2) | instskip(NEXT) | instid1(VALU_DEP_1)
	v_mad_nc_u64_u32 v[88:89], v86, s20, s[38:39]
	v_mad_u32 v87, v87, s20, v89
	s_delay_alu instid0(VALU_DEP_1) | instskip(NEXT) | instid1(VALU_DEP_1)
	v_mad_u32 v89, v86, s21, v87
	v_add_nc_u64_e32 v[88:89], v[88:89], v[2:3]
	s_delay_alu instid0(VALU_DEP_1)
	v_lshl_add_u64 v[86:87], v[88:89], 3, s[26:27]
	v_lshl_add_u64 v[88:89], v[88:89], 4, s[34:35]
	s_and_saveexec_b32 s6, s81
	s_cbranch_execnz .LBB311_127
; %bb.74:                               ;   in Loop: Header=BB311_21 Depth=1
	s_or_b32 exec_lo, exec_lo, s6
	s_and_saveexec_b32 s6, s82
	s_cbranch_execnz .LBB311_128
.LBB311_75:                             ;   in Loop: Header=BB311_21 Depth=1
	s_or_b32 exec_lo, exec_lo, s6
	s_and_saveexec_b32 s6, s83
	s_cbranch_execnz .LBB311_129
.LBB311_76:                             ;   in Loop: Header=BB311_21 Depth=1
	s_or_b32 exec_lo, exec_lo, s6
	s_and_saveexec_b32 s6, s84
	s_cbranch_execnz .LBB311_130
.LBB311_77:                             ;   in Loop: Header=BB311_21 Depth=1
	s_or_b32 exec_lo, exec_lo, s6
	s_and_saveexec_b32 s6, s85
	s_cbranch_execnz .LBB311_131
.LBB311_78:                             ;   in Loop: Header=BB311_21 Depth=1
	s_or_b32 exec_lo, exec_lo, s6
	s_and_saveexec_b32 s6, s86
	s_cbranch_execnz .LBB311_132
.LBB311_79:                             ;   in Loop: Header=BB311_21 Depth=1
	s_or_b32 exec_lo, exec_lo, s6
	s_and_saveexec_b32 s6, s87
	s_cbranch_execnz .LBB311_133
.LBB311_80:                             ;   in Loop: Header=BB311_21 Depth=1
	s_or_b32 exec_lo, exec_lo, s6
	s_and_saveexec_b32 s6, s88
	s_cbranch_execz .LBB311_82
.LBB311_81:                             ;   in Loop: Header=BB311_21 Depth=1
	v_add_nc_u64_e32 v[90:91], v[84:85], v[0:1]
	v_add_nc_u64_e32 v[92:93], 0xa00, v[82:83]
	s_delay_alu instid0(VALU_DEP_2) | instskip(NEXT) | instid1(VALU_DEP_1)
	v_add_nc_u64_e32 v[90:91], 0xe00, v[90:91]
	v_dual_cndmask_b32 v91, v93, v91, s0 :: v_dual_cndmask_b32 v90, v92, v90, s0
	global_load_b128 v[90:93], v[90:91], off
	global_store_b64 v[86:87], v[66:67], off offset:1792
	s_wait_loadcnt 0x0
	global_store_b128 v[88:89], v[90:93], off offset:3584
.LBB311_82:                             ;   in Loop: Header=BB311_21 Depth=1
	s_wait_xcnt 0x0
	s_or_b32 exec_lo, exec_lo, s6
	v_add_nc_u64_e32 v[86:87], s[4:5], v[46:47]
	v_lshl_add_u64 v[84:85], s[40:41], 4, v[84:85]
	s_delay_alu instid0(VALU_DEP_2) | instskip(NEXT) | instid1(VALU_DEP_1)
	v_mad_nc_u64_u32 v[88:89], v86, s20, s[38:39]
	v_mad_u32 v87, v87, s20, v89
	s_delay_alu instid0(VALU_DEP_1) | instskip(NEXT) | instid1(VALU_DEP_1)
	v_mad_u32 v89, v86, s21, v87
	v_add_nc_u64_e32 v[88:89], v[88:89], v[2:3]
	s_delay_alu instid0(VALU_DEP_1)
	v_lshl_add_u64 v[86:87], v[88:89], 3, s[26:27]
	v_lshl_add_u64 v[88:89], v[88:89], 4, s[34:35]
	s_and_saveexec_b32 s6, s89
	s_cbranch_execnz .LBB311_134
; %bb.83:                               ;   in Loop: Header=BB311_21 Depth=1
	s_or_b32 exec_lo, exec_lo, s6
	s_and_saveexec_b32 s6, s90
	s_cbranch_execnz .LBB311_135
.LBB311_84:                             ;   in Loop: Header=BB311_21 Depth=1
	s_or_b32 exec_lo, exec_lo, s6
	s_and_saveexec_b32 s6, s91
	s_cbranch_execnz .LBB311_136
.LBB311_85:                             ;   in Loop: Header=BB311_21 Depth=1
	s_or_b32 exec_lo, exec_lo, s6
	s_and_saveexec_b32 s6, s92
	s_cbranch_execnz .LBB311_137
.LBB311_86:                             ;   in Loop: Header=BB311_21 Depth=1
	s_or_b32 exec_lo, exec_lo, s6
	s_and_saveexec_b32 s6, s93
	s_cbranch_execnz .LBB311_138
.LBB311_87:                             ;   in Loop: Header=BB311_21 Depth=1
	s_or_b32 exec_lo, exec_lo, s6
	s_and_saveexec_b32 s6, s94
	s_cbranch_execnz .LBB311_139
.LBB311_88:                             ;   in Loop: Header=BB311_21 Depth=1
	s_or_b32 exec_lo, exec_lo, s6
	s_and_saveexec_b32 s6, s95
	s_cbranch_execnz .LBB311_140
.LBB311_89:                             ;   in Loop: Header=BB311_21 Depth=1
	s_or_b32 exec_lo, exec_lo, s6
	s_and_saveexec_b32 s6, s8
	s_cbranch_execz .LBB311_91
.LBB311_90:                             ;   in Loop: Header=BB311_21 Depth=1
	v_add_nc_u64_e32 v[90:91], v[84:85], v[0:1]
	v_add_nc_u64_e32 v[92:93], 0xc00, v[82:83]
	s_delay_alu instid0(VALU_DEP_2) | instskip(NEXT) | instid1(VALU_DEP_1)
	v_add_nc_u64_e32 v[90:91], 0xe00, v[90:91]
	v_dual_cndmask_b32 v91, v93, v91, s0 :: v_dual_cndmask_b32 v90, v92, v90, s0
	global_load_b128 v[90:93], v[90:91], off
	global_store_b64 v[86:87], v[66:67], off offset:1792
	s_wait_loadcnt 0x0
	global_store_b128 v[88:89], v[90:93], off offset:3584
.LBB311_91:                             ;   in Loop: Header=BB311_21 Depth=1
	s_wait_xcnt 0x0
	s_or_b32 exec_lo, exec_lo, s6
	v_add_nc_u64_e32 v[86:87], s[4:5], v[48:49]
	s_delay_alu instid0(VALU_DEP_1) | instskip(NEXT) | instid1(VALU_DEP_1)
	v_mad_nc_u64_u32 v[88:89], v86, s20, s[38:39]
	v_mad_u32 v87, v87, s20, v89
	s_delay_alu instid0(VALU_DEP_1) | instskip(NEXT) | instid1(VALU_DEP_1)
	v_mad_u32 v89, v86, s21, v87
	v_add_nc_u64_e32 v[86:87], v[88:89], v[2:3]
	v_lshl_add_u64 v[88:89], s[40:41], 4, v[84:85]
	s_delay_alu instid0(VALU_DEP_2)
	v_lshl_add_u64 v[84:85], v[86:87], 3, s[26:27]
	v_lshl_add_u64 v[86:87], v[86:87], 4, s[34:35]
	s_and_saveexec_b32 s4, s96
	s_cbranch_execnz .LBB311_141
; %bb.92:                               ;   in Loop: Header=BB311_21 Depth=1
	s_or_b32 exec_lo, exec_lo, s4
	s_and_saveexec_b32 s4, s1
	s_cbranch_execnz .LBB311_142
.LBB311_93:                             ;   in Loop: Header=BB311_21 Depth=1
	s_or_b32 exec_lo, exec_lo, s4
	s_and_saveexec_b32 s4, s10
	s_cbranch_execnz .LBB311_143
.LBB311_94:                             ;   in Loop: Header=BB311_21 Depth=1
	s_or_b32 exec_lo, exec_lo, s4
	s_and_saveexec_b32 s4, s11
	s_cbranch_execnz .LBB311_144
.LBB311_95:                             ;   in Loop: Header=BB311_21 Depth=1
	s_or_b32 exec_lo, exec_lo, s4
	s_and_saveexec_b32 s4, s12
	s_cbranch_execnz .LBB311_145
.LBB311_96:                             ;   in Loop: Header=BB311_21 Depth=1
	s_or_b32 exec_lo, exec_lo, s4
	s_and_saveexec_b32 s4, s13
	s_cbranch_execnz .LBB311_146
.LBB311_97:                             ;   in Loop: Header=BB311_21 Depth=1
	s_or_b32 exec_lo, exec_lo, s4
	s_and_saveexec_b32 s4, s14
	s_cbranch_execnz .LBB311_147
.LBB311_98:                             ;   in Loop: Header=BB311_21 Depth=1
	s_or_b32 exec_lo, exec_lo, s4
	s_and_saveexec_b32 s4, s9
	s_cbranch_execz .LBB311_20
	s_branch .LBB311_148
.LBB311_99:                             ;   in Loop: Header=BB311_21 Depth=1
	v_add_nc_u64_e32 v[90:91], v[84:85], v[0:1]
	v_add_nc_u64_e32 v[92:93], 0x200, v[68:69]
	s_delay_alu instid0(VALU_DEP_1)
	v_dual_cndmask_b32 v91, v93, v91, s0 :: v_dual_cndmask_b32 v90, v92, v90, s0
	global_load_b128 v[90:93], v[90:91], off
	global_store_b64 v[86:87], v[52:53], off
	s_wait_loadcnt 0x0
	global_store_b128 v[88:89], v[90:93], off
	s_wait_xcnt 0x0
	s_or_b32 exec_lo, exec_lo, s6
	s_and_saveexec_b32 s6, s43
	s_cbranch_execz .LBB311_39
.LBB311_100:                            ;   in Loop: Header=BB311_21 Depth=1
	v_add_nc_u64_e32 v[90:91], v[84:85], v[0:1]
	v_add_nc_u64_e32 v[92:93], 0x200, v[80:81]
	s_delay_alu instid0(VALU_DEP_2) | instskip(NEXT) | instid1(VALU_DEP_1)
	v_add_nc_u64_e32 v[90:91], 0x200, v[90:91]
	v_dual_cndmask_b32 v91, v93, v91, s0 :: v_dual_cndmask_b32 v90, v92, v90, s0
	global_load_b128 v[90:93], v[90:91], off
	global_store_b64 v[86:87], v[54:55], off offset:256
	s_wait_loadcnt 0x0
	global_store_b128 v[88:89], v[90:93], off offset:512
	s_wait_xcnt 0x0
	s_or_b32 exec_lo, exec_lo, s6
	s_and_saveexec_b32 s6, s51
	s_cbranch_execz .LBB311_40
.LBB311_101:                            ;   in Loop: Header=BB311_21 Depth=1
	v_add_nc_u64_e32 v[90:91], v[84:85], v[0:1]
	v_add_nc_u64_e32 v[92:93], 0x200, v[78:79]
	s_delay_alu instid0(VALU_DEP_2) | instskip(NEXT) | instid1(VALU_DEP_1)
	v_add_nc_u64_e32 v[90:91], 0x400, v[90:91]
	v_dual_cndmask_b32 v91, v93, v91, s0 :: v_dual_cndmask_b32 v90, v92, v90, s0
	global_load_b128 v[90:93], v[90:91], off
	global_store_b64 v[86:87], v[56:57], off offset:512
	s_wait_loadcnt 0x0
	global_store_b128 v[88:89], v[90:93], off offset:1024
	s_wait_xcnt 0x0
	s_or_b32 exec_lo, exec_lo, s6
	s_and_saveexec_b32 s6, s52
	s_cbranch_execz .LBB311_41
.LBB311_102:                            ;   in Loop: Header=BB311_21 Depth=1
	v_add_nc_u64_e32 v[90:91], v[84:85], v[0:1]
	v_add_nc_u64_e32 v[92:93], 0x200, v[76:77]
	s_delay_alu instid0(VALU_DEP_2) | instskip(NEXT) | instid1(VALU_DEP_1)
	v_add_nc_u64_e32 v[90:91], 0x600, v[90:91]
	v_dual_cndmask_b32 v91, v93, v91, s0 :: v_dual_cndmask_b32 v90, v92, v90, s0
	global_load_b128 v[90:93], v[90:91], off
	global_store_b64 v[86:87], v[58:59], off offset:768
	s_wait_loadcnt 0x0
	global_store_b128 v[88:89], v[90:93], off offset:1536
	s_wait_xcnt 0x0
	s_or_b32 exec_lo, exec_lo, s6
	s_and_saveexec_b32 s6, s53
	s_cbranch_execz .LBB311_42
.LBB311_103:                            ;   in Loop: Header=BB311_21 Depth=1
	v_add_nc_u64_e32 v[90:91], v[84:85], v[0:1]
	v_add_nc_u64_e32 v[92:93], 0x200, v[74:75]
	s_delay_alu instid0(VALU_DEP_2) | instskip(NEXT) | instid1(VALU_DEP_1)
	v_add_nc_u64_e32 v[90:91], 0x800, v[90:91]
	v_dual_cndmask_b32 v91, v93, v91, s0 :: v_dual_cndmask_b32 v90, v92, v90, s0
	global_load_b128 v[90:93], v[90:91], off
	global_store_b64 v[86:87], v[60:61], off offset:1024
	s_wait_loadcnt 0x0
	global_store_b128 v[88:89], v[90:93], off offset:2048
	s_wait_xcnt 0x0
	s_or_b32 exec_lo, exec_lo, s6
	s_and_saveexec_b32 s6, s54
	s_cbranch_execz .LBB311_43
.LBB311_104:                            ;   in Loop: Header=BB311_21 Depth=1
	v_add_nc_u64_e32 v[90:91], v[84:85], v[0:1]
	v_add_nc_u64_e32 v[92:93], 0x200, v[72:73]
	s_delay_alu instid0(VALU_DEP_2) | instskip(NEXT) | instid1(VALU_DEP_1)
	v_add_nc_u64_e32 v[90:91], 0xa00, v[90:91]
	v_dual_cndmask_b32 v91, v93, v91, s0 :: v_dual_cndmask_b32 v90, v92, v90, s0
	global_load_b128 v[90:93], v[90:91], off
	global_store_b64 v[86:87], v[62:63], off offset:1280
	s_wait_loadcnt 0x0
	global_store_b128 v[88:89], v[90:93], off offset:2560
	s_wait_xcnt 0x0
	s_or_b32 exec_lo, exec_lo, s6
	s_and_saveexec_b32 s6, s55
	s_cbranch_execz .LBB311_44
.LBB311_105:                            ;   in Loop: Header=BB311_21 Depth=1
	v_add_nc_u64_e32 v[90:91], v[84:85], v[0:1]
	v_add_nc_u64_e32 v[92:93], 0x200, v[70:71]
	s_delay_alu instid0(VALU_DEP_2) | instskip(NEXT) | instid1(VALU_DEP_1)
	v_add_nc_u64_e32 v[90:91], 0xc00, v[90:91]
	v_dual_cndmask_b32 v91, v93, v91, s0 :: v_dual_cndmask_b32 v90, v92, v90, s0
	global_load_b128 v[90:93], v[90:91], off
	global_store_b64 v[86:87], v[64:65], off offset:1536
	s_wait_loadcnt 0x0
	global_store_b128 v[88:89], v[90:93], off offset:3072
	s_wait_xcnt 0x0
	s_or_b32 exec_lo, exec_lo, s6
	s_and_saveexec_b32 s6, s56
	s_cbranch_execnz .LBB311_45
	s_branch .LBB311_46
.LBB311_106:                            ;   in Loop: Header=BB311_21 Depth=1
	v_add_nc_u64_e32 v[90:91], v[84:85], v[0:1]
	v_add_nc_u64_e32 v[92:93], 0x400, v[68:69]
	s_delay_alu instid0(VALU_DEP_1)
	v_dual_cndmask_b32 v91, v93, v91, s0 :: v_dual_cndmask_b32 v90, v92, v90, s0
	global_load_b128 v[90:93], v[90:91], off
	global_store_b64 v[86:87], v[52:53], off
	s_wait_loadcnt 0x0
	global_store_b128 v[88:89], v[90:93], off
	s_wait_xcnt 0x0
	s_or_b32 exec_lo, exec_lo, s6
	s_and_saveexec_b32 s6, s58
	s_cbranch_execz .LBB311_48
.LBB311_107:                            ;   in Loop: Header=BB311_21 Depth=1
	v_add_nc_u64_e32 v[90:91], v[84:85], v[0:1]
	v_add_nc_u64_e32 v[92:93], 0x400, v[80:81]
	s_delay_alu instid0(VALU_DEP_2) | instskip(NEXT) | instid1(VALU_DEP_1)
	v_add_nc_u64_e32 v[90:91], 0x200, v[90:91]
	v_dual_cndmask_b32 v91, v93, v91, s0 :: v_dual_cndmask_b32 v90, v92, v90, s0
	global_load_b128 v[90:93], v[90:91], off
	global_store_b64 v[86:87], v[54:55], off offset:256
	s_wait_loadcnt 0x0
	global_store_b128 v[88:89], v[90:93], off offset:512
	s_wait_xcnt 0x0
	s_or_b32 exec_lo, exec_lo, s6
	s_and_saveexec_b32 s6, s59
	s_cbranch_execz .LBB311_49
.LBB311_108:                            ;   in Loop: Header=BB311_21 Depth=1
	v_add_nc_u64_e32 v[90:91], v[84:85], v[0:1]
	v_add_nc_u64_e32 v[92:93], 0x400, v[78:79]
	s_delay_alu instid0(VALU_DEP_2) | instskip(NEXT) | instid1(VALU_DEP_1)
	v_add_nc_u64_e32 v[90:91], 0x400, v[90:91]
	v_dual_cndmask_b32 v91, v93, v91, s0 :: v_dual_cndmask_b32 v90, v92, v90, s0
	global_load_b128 v[90:93], v[90:91], off
	global_store_b64 v[86:87], v[56:57], off offset:512
	s_wait_loadcnt 0x0
	global_store_b128 v[88:89], v[90:93], off offset:1024
	s_wait_xcnt 0x0
	s_or_b32 exec_lo, exec_lo, s6
	s_and_saveexec_b32 s6, s60
	s_cbranch_execz .LBB311_50
.LBB311_109:                            ;   in Loop: Header=BB311_21 Depth=1
	v_add_nc_u64_e32 v[90:91], v[84:85], v[0:1]
	v_add_nc_u64_e32 v[92:93], 0x400, v[76:77]
	s_delay_alu instid0(VALU_DEP_2) | instskip(NEXT) | instid1(VALU_DEP_1)
	v_add_nc_u64_e32 v[90:91], 0x600, v[90:91]
	v_dual_cndmask_b32 v91, v93, v91, s0 :: v_dual_cndmask_b32 v90, v92, v90, s0
	global_load_b128 v[90:93], v[90:91], off
	global_store_b64 v[86:87], v[58:59], off offset:768
	s_wait_loadcnt 0x0
	global_store_b128 v[88:89], v[90:93], off offset:1536
	s_wait_xcnt 0x0
	s_or_b32 exec_lo, exec_lo, s6
	s_and_saveexec_b32 s6, s61
	s_cbranch_execz .LBB311_51
.LBB311_110:                            ;   in Loop: Header=BB311_21 Depth=1
	v_add_nc_u64_e32 v[90:91], v[84:85], v[0:1]
	v_add_nc_u64_e32 v[92:93], 0x400, v[74:75]
	s_delay_alu instid0(VALU_DEP_2) | instskip(NEXT) | instid1(VALU_DEP_1)
	v_add_nc_u64_e32 v[90:91], 0x800, v[90:91]
	v_dual_cndmask_b32 v91, v93, v91, s0 :: v_dual_cndmask_b32 v90, v92, v90, s0
	global_load_b128 v[90:93], v[90:91], off
	global_store_b64 v[86:87], v[60:61], off offset:1024
	s_wait_loadcnt 0x0
	global_store_b128 v[88:89], v[90:93], off offset:2048
	s_wait_xcnt 0x0
	s_or_b32 exec_lo, exec_lo, s6
	s_and_saveexec_b32 s6, s62
	s_cbranch_execz .LBB311_52
.LBB311_111:                            ;   in Loop: Header=BB311_21 Depth=1
	v_add_nc_u64_e32 v[90:91], v[84:85], v[0:1]
	v_add_nc_u64_e32 v[92:93], 0x400, v[72:73]
	s_delay_alu instid0(VALU_DEP_2) | instskip(NEXT) | instid1(VALU_DEP_1)
	v_add_nc_u64_e32 v[90:91], 0xa00, v[90:91]
	v_dual_cndmask_b32 v91, v93, v91, s0 :: v_dual_cndmask_b32 v90, v92, v90, s0
	global_load_b128 v[90:93], v[90:91], off
	global_store_b64 v[86:87], v[62:63], off offset:1280
	s_wait_loadcnt 0x0
	global_store_b128 v[88:89], v[90:93], off offset:2560
	s_wait_xcnt 0x0
	s_or_b32 exec_lo, exec_lo, s6
	s_and_saveexec_b32 s6, s63
	s_cbranch_execz .LBB311_53
.LBB311_112:                            ;   in Loop: Header=BB311_21 Depth=1
	v_add_nc_u64_e32 v[90:91], v[84:85], v[0:1]
	v_add_nc_u64_e32 v[92:93], 0x400, v[70:71]
	s_delay_alu instid0(VALU_DEP_2) | instskip(NEXT) | instid1(VALU_DEP_1)
	v_add_nc_u64_e32 v[90:91], 0xc00, v[90:91]
	v_dual_cndmask_b32 v91, v93, v91, s0 :: v_dual_cndmask_b32 v90, v92, v90, s0
	global_load_b128 v[90:93], v[90:91], off
	global_store_b64 v[86:87], v[64:65], off offset:1536
	s_wait_loadcnt 0x0
	global_store_b128 v[88:89], v[90:93], off offset:3072
	s_wait_xcnt 0x0
	s_or_b32 exec_lo, exec_lo, s6
	s_and_saveexec_b32 s6, s64
	s_cbranch_execnz .LBB311_54
	s_branch .LBB311_55
.LBB311_113:                            ;   in Loop: Header=BB311_21 Depth=1
	v_add_nc_u64_e32 v[90:91], v[84:85], v[0:1]
	v_add_nc_u64_e32 v[92:93], 0x600, v[68:69]
	s_delay_alu instid0(VALU_DEP_1)
	v_dual_cndmask_b32 v91, v93, v91, s0 :: v_dual_cndmask_b32 v90, v92, v90, s0
	global_load_b128 v[90:93], v[90:91], off
	global_store_b64 v[86:87], v[52:53], off
	s_wait_loadcnt 0x0
	global_store_b128 v[88:89], v[90:93], off
	s_wait_xcnt 0x0
	s_or_b32 exec_lo, exec_lo, s6
	s_and_saveexec_b32 s6, s66
	s_cbranch_execz .LBB311_57
.LBB311_114:                            ;   in Loop: Header=BB311_21 Depth=1
	v_add_nc_u64_e32 v[90:91], v[84:85], v[0:1]
	v_add_nc_u64_e32 v[92:93], 0x600, v[80:81]
	s_delay_alu instid0(VALU_DEP_2) | instskip(NEXT) | instid1(VALU_DEP_1)
	v_add_nc_u64_e32 v[90:91], 0x200, v[90:91]
	v_dual_cndmask_b32 v91, v93, v91, s0 :: v_dual_cndmask_b32 v90, v92, v90, s0
	global_load_b128 v[90:93], v[90:91], off
	global_store_b64 v[86:87], v[54:55], off offset:256
	s_wait_loadcnt 0x0
	global_store_b128 v[88:89], v[90:93], off offset:512
	s_wait_xcnt 0x0
	s_or_b32 exec_lo, exec_lo, s6
	s_and_saveexec_b32 s6, s67
	s_cbranch_execz .LBB311_58
.LBB311_115:                            ;   in Loop: Header=BB311_21 Depth=1
	v_add_nc_u64_e32 v[90:91], v[84:85], v[0:1]
	v_add_nc_u64_e32 v[92:93], 0x600, v[78:79]
	s_delay_alu instid0(VALU_DEP_2) | instskip(NEXT) | instid1(VALU_DEP_1)
	v_add_nc_u64_e32 v[90:91], 0x400, v[90:91]
	v_dual_cndmask_b32 v91, v93, v91, s0 :: v_dual_cndmask_b32 v90, v92, v90, s0
	global_load_b128 v[90:93], v[90:91], off
	global_store_b64 v[86:87], v[56:57], off offset:512
	s_wait_loadcnt 0x0
	global_store_b128 v[88:89], v[90:93], off offset:1024
	s_wait_xcnt 0x0
	s_or_b32 exec_lo, exec_lo, s6
	s_and_saveexec_b32 s6, s68
	s_cbranch_execz .LBB311_59
.LBB311_116:                            ;   in Loop: Header=BB311_21 Depth=1
	v_add_nc_u64_e32 v[90:91], v[84:85], v[0:1]
	v_add_nc_u64_e32 v[92:93], 0x600, v[76:77]
	s_delay_alu instid0(VALU_DEP_2) | instskip(NEXT) | instid1(VALU_DEP_1)
	v_add_nc_u64_e32 v[90:91], 0x600, v[90:91]
	v_dual_cndmask_b32 v91, v93, v91, s0 :: v_dual_cndmask_b32 v90, v92, v90, s0
	global_load_b128 v[90:93], v[90:91], off
	global_store_b64 v[86:87], v[58:59], off offset:768
	s_wait_loadcnt 0x0
	global_store_b128 v[88:89], v[90:93], off offset:1536
	s_wait_xcnt 0x0
	s_or_b32 exec_lo, exec_lo, s6
	s_and_saveexec_b32 s6, s69
	s_cbranch_execz .LBB311_60
.LBB311_117:                            ;   in Loop: Header=BB311_21 Depth=1
	v_add_nc_u64_e32 v[90:91], v[84:85], v[0:1]
	v_add_nc_u64_e32 v[92:93], 0x600, v[74:75]
	s_delay_alu instid0(VALU_DEP_2) | instskip(NEXT) | instid1(VALU_DEP_1)
	v_add_nc_u64_e32 v[90:91], 0x800, v[90:91]
	v_dual_cndmask_b32 v91, v93, v91, s0 :: v_dual_cndmask_b32 v90, v92, v90, s0
	global_load_b128 v[90:93], v[90:91], off
	global_store_b64 v[86:87], v[60:61], off offset:1024
	s_wait_loadcnt 0x0
	global_store_b128 v[88:89], v[90:93], off offset:2048
	s_wait_xcnt 0x0
	s_or_b32 exec_lo, exec_lo, s6
	s_and_saveexec_b32 s6, s70
	s_cbranch_execz .LBB311_61
.LBB311_118:                            ;   in Loop: Header=BB311_21 Depth=1
	v_add_nc_u64_e32 v[90:91], v[84:85], v[0:1]
	v_add_nc_u64_e32 v[92:93], 0x600, v[72:73]
	s_delay_alu instid0(VALU_DEP_2) | instskip(NEXT) | instid1(VALU_DEP_1)
	v_add_nc_u64_e32 v[90:91], 0xa00, v[90:91]
	v_dual_cndmask_b32 v91, v93, v91, s0 :: v_dual_cndmask_b32 v90, v92, v90, s0
	global_load_b128 v[90:93], v[90:91], off
	global_store_b64 v[86:87], v[62:63], off offset:1280
	s_wait_loadcnt 0x0
	global_store_b128 v[88:89], v[90:93], off offset:2560
	s_wait_xcnt 0x0
	s_or_b32 exec_lo, exec_lo, s6
	s_and_saveexec_b32 s6, s71
	s_cbranch_execz .LBB311_62
.LBB311_119:                            ;   in Loop: Header=BB311_21 Depth=1
	v_add_nc_u64_e32 v[90:91], v[84:85], v[0:1]
	v_add_nc_u64_e32 v[92:93], 0x600, v[70:71]
	s_delay_alu instid0(VALU_DEP_2) | instskip(NEXT) | instid1(VALU_DEP_1)
	v_add_nc_u64_e32 v[90:91], 0xc00, v[90:91]
	v_dual_cndmask_b32 v91, v93, v91, s0 :: v_dual_cndmask_b32 v90, v92, v90, s0
	global_load_b128 v[90:93], v[90:91], off
	global_store_b64 v[86:87], v[64:65], off offset:1536
	s_wait_loadcnt 0x0
	global_store_b128 v[88:89], v[90:93], off offset:3072
	s_wait_xcnt 0x0
	s_or_b32 exec_lo, exec_lo, s6
	s_and_saveexec_b32 s6, s72
	s_cbranch_execnz .LBB311_63
	s_branch .LBB311_64
.LBB311_120:                            ;   in Loop: Header=BB311_21 Depth=1
	v_add_nc_u64_e32 v[90:91], v[84:85], v[0:1]
	v_add_nc_u64_e32 v[92:93], 0x800, v[68:69]
	s_delay_alu instid0(VALU_DEP_1)
	v_dual_cndmask_b32 v91, v93, v91, s0 :: v_dual_cndmask_b32 v90, v92, v90, s0
	global_load_b128 v[90:93], v[90:91], off
	global_store_b64 v[86:87], v[52:53], off
	s_wait_loadcnt 0x0
	global_store_b128 v[88:89], v[90:93], off
	s_wait_xcnt 0x0
	s_or_b32 exec_lo, exec_lo, s6
	s_and_saveexec_b32 s6, s74
	s_cbranch_execz .LBB311_66
.LBB311_121:                            ;   in Loop: Header=BB311_21 Depth=1
	v_add_nc_u64_e32 v[90:91], v[84:85], v[0:1]
	v_add_nc_u64_e32 v[92:93], 0x800, v[80:81]
	s_delay_alu instid0(VALU_DEP_2) | instskip(NEXT) | instid1(VALU_DEP_1)
	v_add_nc_u64_e32 v[90:91], 0x200, v[90:91]
	v_dual_cndmask_b32 v91, v93, v91, s0 :: v_dual_cndmask_b32 v90, v92, v90, s0
	global_load_b128 v[90:93], v[90:91], off
	global_store_b64 v[86:87], v[54:55], off offset:256
	s_wait_loadcnt 0x0
	global_store_b128 v[88:89], v[90:93], off offset:512
	s_wait_xcnt 0x0
	s_or_b32 exec_lo, exec_lo, s6
	s_and_saveexec_b32 s6, s75
	s_cbranch_execz .LBB311_67
.LBB311_122:                            ;   in Loop: Header=BB311_21 Depth=1
	v_add_nc_u64_e32 v[90:91], v[84:85], v[0:1]
	v_add_nc_u64_e32 v[92:93], 0x800, v[78:79]
	s_delay_alu instid0(VALU_DEP_2) | instskip(NEXT) | instid1(VALU_DEP_1)
	v_add_nc_u64_e32 v[90:91], 0x400, v[90:91]
	v_dual_cndmask_b32 v91, v93, v91, s0 :: v_dual_cndmask_b32 v90, v92, v90, s0
	global_load_b128 v[90:93], v[90:91], off
	global_store_b64 v[86:87], v[56:57], off offset:512
	s_wait_loadcnt 0x0
	global_store_b128 v[88:89], v[90:93], off offset:1024
	s_wait_xcnt 0x0
	s_or_b32 exec_lo, exec_lo, s6
	s_and_saveexec_b32 s6, s76
	s_cbranch_execz .LBB311_68
.LBB311_123:                            ;   in Loop: Header=BB311_21 Depth=1
	v_add_nc_u64_e32 v[90:91], v[84:85], v[0:1]
	v_add_nc_u64_e32 v[92:93], 0x800, v[76:77]
	s_delay_alu instid0(VALU_DEP_2) | instskip(NEXT) | instid1(VALU_DEP_1)
	v_add_nc_u64_e32 v[90:91], 0x600, v[90:91]
	v_dual_cndmask_b32 v91, v93, v91, s0 :: v_dual_cndmask_b32 v90, v92, v90, s0
	global_load_b128 v[90:93], v[90:91], off
	global_store_b64 v[86:87], v[58:59], off offset:768
	s_wait_loadcnt 0x0
	global_store_b128 v[88:89], v[90:93], off offset:1536
	s_wait_xcnt 0x0
	s_or_b32 exec_lo, exec_lo, s6
	s_and_saveexec_b32 s6, s77
	s_cbranch_execz .LBB311_69
.LBB311_124:                            ;   in Loop: Header=BB311_21 Depth=1
	v_add_nc_u64_e32 v[90:91], v[84:85], v[0:1]
	v_add_nc_u64_e32 v[92:93], 0x800, v[74:75]
	s_delay_alu instid0(VALU_DEP_2) | instskip(NEXT) | instid1(VALU_DEP_1)
	v_add_nc_u64_e32 v[90:91], 0x800, v[90:91]
	v_dual_cndmask_b32 v91, v93, v91, s0 :: v_dual_cndmask_b32 v90, v92, v90, s0
	global_load_b128 v[90:93], v[90:91], off
	global_store_b64 v[86:87], v[60:61], off offset:1024
	s_wait_loadcnt 0x0
	global_store_b128 v[88:89], v[90:93], off offset:2048
	s_wait_xcnt 0x0
	s_or_b32 exec_lo, exec_lo, s6
	s_and_saveexec_b32 s6, s78
	s_cbranch_execz .LBB311_70
.LBB311_125:                            ;   in Loop: Header=BB311_21 Depth=1
	v_add_nc_u64_e32 v[90:91], v[84:85], v[0:1]
	v_add_nc_u64_e32 v[92:93], 0x800, v[72:73]
	s_delay_alu instid0(VALU_DEP_2) | instskip(NEXT) | instid1(VALU_DEP_1)
	v_add_nc_u64_e32 v[90:91], 0xa00, v[90:91]
	v_dual_cndmask_b32 v91, v93, v91, s0 :: v_dual_cndmask_b32 v90, v92, v90, s0
	global_load_b128 v[90:93], v[90:91], off
	global_store_b64 v[86:87], v[62:63], off offset:1280
	s_wait_loadcnt 0x0
	global_store_b128 v[88:89], v[90:93], off offset:2560
	s_wait_xcnt 0x0
	s_or_b32 exec_lo, exec_lo, s6
	s_and_saveexec_b32 s6, s79
	s_cbranch_execz .LBB311_71
.LBB311_126:                            ;   in Loop: Header=BB311_21 Depth=1
	v_add_nc_u64_e32 v[90:91], v[84:85], v[0:1]
	v_add_nc_u64_e32 v[92:93], 0x800, v[70:71]
	s_delay_alu instid0(VALU_DEP_2) | instskip(NEXT) | instid1(VALU_DEP_1)
	v_add_nc_u64_e32 v[90:91], 0xc00, v[90:91]
	v_dual_cndmask_b32 v91, v93, v91, s0 :: v_dual_cndmask_b32 v90, v92, v90, s0
	global_load_b128 v[90:93], v[90:91], off
	global_store_b64 v[86:87], v[64:65], off offset:1536
	s_wait_loadcnt 0x0
	global_store_b128 v[88:89], v[90:93], off offset:3072
	s_wait_xcnt 0x0
	s_or_b32 exec_lo, exec_lo, s6
	s_and_saveexec_b32 s6, s80
	s_cbranch_execnz .LBB311_72
	s_branch .LBB311_73
.LBB311_127:                            ;   in Loop: Header=BB311_21 Depth=1
	v_add_nc_u64_e32 v[90:91], v[84:85], v[0:1]
	v_add_nc_u64_e32 v[92:93], 0xa00, v[68:69]
	s_delay_alu instid0(VALU_DEP_1)
	v_dual_cndmask_b32 v91, v93, v91, s0 :: v_dual_cndmask_b32 v90, v92, v90, s0
	global_load_b128 v[90:93], v[90:91], off
	global_store_b64 v[86:87], v[52:53], off
	s_wait_loadcnt 0x0
	global_store_b128 v[88:89], v[90:93], off
	s_wait_xcnt 0x0
	s_or_b32 exec_lo, exec_lo, s6
	s_and_saveexec_b32 s6, s82
	s_cbranch_execz .LBB311_75
.LBB311_128:                            ;   in Loop: Header=BB311_21 Depth=1
	v_add_nc_u64_e32 v[90:91], v[84:85], v[0:1]
	v_add_nc_u64_e32 v[92:93], 0xa00, v[80:81]
	s_delay_alu instid0(VALU_DEP_2) | instskip(NEXT) | instid1(VALU_DEP_1)
	v_add_nc_u64_e32 v[90:91], 0x200, v[90:91]
	v_dual_cndmask_b32 v91, v93, v91, s0 :: v_dual_cndmask_b32 v90, v92, v90, s0
	global_load_b128 v[90:93], v[90:91], off
	global_store_b64 v[86:87], v[54:55], off offset:256
	s_wait_loadcnt 0x0
	global_store_b128 v[88:89], v[90:93], off offset:512
	s_wait_xcnt 0x0
	s_or_b32 exec_lo, exec_lo, s6
	s_and_saveexec_b32 s6, s83
	s_cbranch_execz .LBB311_76
.LBB311_129:                            ;   in Loop: Header=BB311_21 Depth=1
	v_add_nc_u64_e32 v[90:91], v[84:85], v[0:1]
	v_add_nc_u64_e32 v[92:93], 0xa00, v[78:79]
	s_delay_alu instid0(VALU_DEP_2) | instskip(NEXT) | instid1(VALU_DEP_1)
	v_add_nc_u64_e32 v[90:91], 0x400, v[90:91]
	v_dual_cndmask_b32 v91, v93, v91, s0 :: v_dual_cndmask_b32 v90, v92, v90, s0
	global_load_b128 v[90:93], v[90:91], off
	global_store_b64 v[86:87], v[56:57], off offset:512
	s_wait_loadcnt 0x0
	global_store_b128 v[88:89], v[90:93], off offset:1024
	s_wait_xcnt 0x0
	s_or_b32 exec_lo, exec_lo, s6
	s_and_saveexec_b32 s6, s84
	s_cbranch_execz .LBB311_77
.LBB311_130:                            ;   in Loop: Header=BB311_21 Depth=1
	v_add_nc_u64_e32 v[90:91], v[84:85], v[0:1]
	v_add_nc_u64_e32 v[92:93], 0xa00, v[76:77]
	s_delay_alu instid0(VALU_DEP_2) | instskip(NEXT) | instid1(VALU_DEP_1)
	v_add_nc_u64_e32 v[90:91], 0x600, v[90:91]
	v_dual_cndmask_b32 v91, v93, v91, s0 :: v_dual_cndmask_b32 v90, v92, v90, s0
	global_load_b128 v[90:93], v[90:91], off
	global_store_b64 v[86:87], v[58:59], off offset:768
	s_wait_loadcnt 0x0
	global_store_b128 v[88:89], v[90:93], off offset:1536
	s_wait_xcnt 0x0
	s_or_b32 exec_lo, exec_lo, s6
	s_and_saveexec_b32 s6, s85
	s_cbranch_execz .LBB311_78
.LBB311_131:                            ;   in Loop: Header=BB311_21 Depth=1
	v_add_nc_u64_e32 v[90:91], v[84:85], v[0:1]
	v_add_nc_u64_e32 v[92:93], 0xa00, v[74:75]
	s_delay_alu instid0(VALU_DEP_2) | instskip(NEXT) | instid1(VALU_DEP_1)
	v_add_nc_u64_e32 v[90:91], 0x800, v[90:91]
	v_dual_cndmask_b32 v91, v93, v91, s0 :: v_dual_cndmask_b32 v90, v92, v90, s0
	global_load_b128 v[90:93], v[90:91], off
	global_store_b64 v[86:87], v[60:61], off offset:1024
	s_wait_loadcnt 0x0
	global_store_b128 v[88:89], v[90:93], off offset:2048
	s_wait_xcnt 0x0
	s_or_b32 exec_lo, exec_lo, s6
	s_and_saveexec_b32 s6, s86
	s_cbranch_execz .LBB311_79
.LBB311_132:                            ;   in Loop: Header=BB311_21 Depth=1
	v_add_nc_u64_e32 v[90:91], v[84:85], v[0:1]
	v_add_nc_u64_e32 v[92:93], 0xa00, v[72:73]
	s_delay_alu instid0(VALU_DEP_2) | instskip(NEXT) | instid1(VALU_DEP_1)
	v_add_nc_u64_e32 v[90:91], 0xa00, v[90:91]
	v_dual_cndmask_b32 v91, v93, v91, s0 :: v_dual_cndmask_b32 v90, v92, v90, s0
	global_load_b128 v[90:93], v[90:91], off
	global_store_b64 v[86:87], v[62:63], off offset:1280
	s_wait_loadcnt 0x0
	global_store_b128 v[88:89], v[90:93], off offset:2560
	s_wait_xcnt 0x0
	s_or_b32 exec_lo, exec_lo, s6
	s_and_saveexec_b32 s6, s87
	s_cbranch_execz .LBB311_80
.LBB311_133:                            ;   in Loop: Header=BB311_21 Depth=1
	v_add_nc_u64_e32 v[90:91], v[84:85], v[0:1]
	v_add_nc_u64_e32 v[92:93], 0xa00, v[70:71]
	s_delay_alu instid0(VALU_DEP_2) | instskip(NEXT) | instid1(VALU_DEP_1)
	v_add_nc_u64_e32 v[90:91], 0xc00, v[90:91]
	v_dual_cndmask_b32 v91, v93, v91, s0 :: v_dual_cndmask_b32 v90, v92, v90, s0
	global_load_b128 v[90:93], v[90:91], off
	global_store_b64 v[86:87], v[64:65], off offset:1536
	s_wait_loadcnt 0x0
	global_store_b128 v[88:89], v[90:93], off offset:3072
	s_wait_xcnt 0x0
	s_or_b32 exec_lo, exec_lo, s6
	s_and_saveexec_b32 s6, s88
	s_cbranch_execnz .LBB311_81
	s_branch .LBB311_82
.LBB311_134:                            ;   in Loop: Header=BB311_21 Depth=1
	v_add_nc_u64_e32 v[90:91], v[84:85], v[0:1]
	v_add_nc_u64_e32 v[92:93], 0xc00, v[68:69]
	s_delay_alu instid0(VALU_DEP_1)
	v_dual_cndmask_b32 v91, v93, v91, s0 :: v_dual_cndmask_b32 v90, v92, v90, s0
	global_load_b128 v[90:93], v[90:91], off
	global_store_b64 v[86:87], v[52:53], off
	s_wait_loadcnt 0x0
	global_store_b128 v[88:89], v[90:93], off
	s_wait_xcnt 0x0
	s_or_b32 exec_lo, exec_lo, s6
	s_and_saveexec_b32 s6, s90
	s_cbranch_execz .LBB311_84
.LBB311_135:                            ;   in Loop: Header=BB311_21 Depth=1
	v_add_nc_u64_e32 v[90:91], v[84:85], v[0:1]
	v_add_nc_u64_e32 v[92:93], 0xc00, v[80:81]
	s_delay_alu instid0(VALU_DEP_2) | instskip(NEXT) | instid1(VALU_DEP_1)
	v_add_nc_u64_e32 v[90:91], 0x200, v[90:91]
	v_dual_cndmask_b32 v91, v93, v91, s0 :: v_dual_cndmask_b32 v90, v92, v90, s0
	global_load_b128 v[90:93], v[90:91], off
	global_store_b64 v[86:87], v[54:55], off offset:256
	s_wait_loadcnt 0x0
	global_store_b128 v[88:89], v[90:93], off offset:512
	s_wait_xcnt 0x0
	s_or_b32 exec_lo, exec_lo, s6
	s_and_saveexec_b32 s6, s91
	s_cbranch_execz .LBB311_85
.LBB311_136:                            ;   in Loop: Header=BB311_21 Depth=1
	v_add_nc_u64_e32 v[90:91], v[84:85], v[0:1]
	v_add_nc_u64_e32 v[92:93], 0xc00, v[78:79]
	s_delay_alu instid0(VALU_DEP_2) | instskip(NEXT) | instid1(VALU_DEP_1)
	v_add_nc_u64_e32 v[90:91], 0x400, v[90:91]
	v_dual_cndmask_b32 v91, v93, v91, s0 :: v_dual_cndmask_b32 v90, v92, v90, s0
	global_load_b128 v[90:93], v[90:91], off
	global_store_b64 v[86:87], v[56:57], off offset:512
	s_wait_loadcnt 0x0
	global_store_b128 v[88:89], v[90:93], off offset:1024
	s_wait_xcnt 0x0
	s_or_b32 exec_lo, exec_lo, s6
	s_and_saveexec_b32 s6, s92
	s_cbranch_execz .LBB311_86
.LBB311_137:                            ;   in Loop: Header=BB311_21 Depth=1
	v_add_nc_u64_e32 v[90:91], v[84:85], v[0:1]
	v_add_nc_u64_e32 v[92:93], 0xc00, v[76:77]
	s_delay_alu instid0(VALU_DEP_2) | instskip(NEXT) | instid1(VALU_DEP_1)
	v_add_nc_u64_e32 v[90:91], 0x600, v[90:91]
	v_dual_cndmask_b32 v91, v93, v91, s0 :: v_dual_cndmask_b32 v90, v92, v90, s0
	global_load_b128 v[90:93], v[90:91], off
	global_store_b64 v[86:87], v[58:59], off offset:768
	s_wait_loadcnt 0x0
	global_store_b128 v[88:89], v[90:93], off offset:1536
	s_wait_xcnt 0x0
	s_or_b32 exec_lo, exec_lo, s6
	s_and_saveexec_b32 s6, s93
	s_cbranch_execz .LBB311_87
.LBB311_138:                            ;   in Loop: Header=BB311_21 Depth=1
	v_add_nc_u64_e32 v[90:91], v[84:85], v[0:1]
	v_add_nc_u64_e32 v[92:93], 0xc00, v[74:75]
	s_delay_alu instid0(VALU_DEP_2) | instskip(NEXT) | instid1(VALU_DEP_1)
	v_add_nc_u64_e32 v[90:91], 0x800, v[90:91]
	v_dual_cndmask_b32 v91, v93, v91, s0 :: v_dual_cndmask_b32 v90, v92, v90, s0
	global_load_b128 v[90:93], v[90:91], off
	global_store_b64 v[86:87], v[60:61], off offset:1024
	s_wait_loadcnt 0x0
	global_store_b128 v[88:89], v[90:93], off offset:2048
	s_wait_xcnt 0x0
	s_or_b32 exec_lo, exec_lo, s6
	s_and_saveexec_b32 s6, s94
	s_cbranch_execz .LBB311_88
.LBB311_139:                            ;   in Loop: Header=BB311_21 Depth=1
	v_add_nc_u64_e32 v[90:91], v[84:85], v[0:1]
	v_add_nc_u64_e32 v[92:93], 0xc00, v[72:73]
	s_delay_alu instid0(VALU_DEP_2) | instskip(NEXT) | instid1(VALU_DEP_1)
	v_add_nc_u64_e32 v[90:91], 0xa00, v[90:91]
	v_dual_cndmask_b32 v91, v93, v91, s0 :: v_dual_cndmask_b32 v90, v92, v90, s0
	global_load_b128 v[90:93], v[90:91], off
	global_store_b64 v[86:87], v[62:63], off offset:1280
	s_wait_loadcnt 0x0
	global_store_b128 v[88:89], v[90:93], off offset:2560
	s_wait_xcnt 0x0
	s_or_b32 exec_lo, exec_lo, s6
	s_and_saveexec_b32 s6, s95
	s_cbranch_execz .LBB311_89
.LBB311_140:                            ;   in Loop: Header=BB311_21 Depth=1
	v_add_nc_u64_e32 v[90:91], v[84:85], v[0:1]
	v_add_nc_u64_e32 v[92:93], 0xc00, v[70:71]
	s_delay_alu instid0(VALU_DEP_2) | instskip(NEXT) | instid1(VALU_DEP_1)
	v_add_nc_u64_e32 v[90:91], 0xc00, v[90:91]
	v_dual_cndmask_b32 v91, v93, v91, s0 :: v_dual_cndmask_b32 v90, v92, v90, s0
	global_load_b128 v[90:93], v[90:91], off
	global_store_b64 v[86:87], v[64:65], off offset:1536
	s_wait_loadcnt 0x0
	global_store_b128 v[88:89], v[90:93], off offset:3072
	s_wait_xcnt 0x0
	s_or_b32 exec_lo, exec_lo, s6
	s_and_saveexec_b32 s6, s8
	s_cbranch_execnz .LBB311_90
	s_branch .LBB311_91
.LBB311_141:                            ;   in Loop: Header=BB311_21 Depth=1
	v_add_nc_u64_e32 v[90:91], v[88:89], v[0:1]
	v_add_nc_u64_e32 v[68:69], 0xe00, v[68:69]
	s_delay_alu instid0(VALU_DEP_1)
	v_dual_cndmask_b32 v69, v69, v91, s0 :: v_dual_cndmask_b32 v68, v68, v90, s0
	global_load_b128 v[90:93], v[68:69], off
	global_store_b64 v[84:85], v[52:53], off
	s_wait_loadcnt 0x0
	global_store_b128 v[86:87], v[90:93], off
	s_wait_xcnt 0x0
	s_or_b32 exec_lo, exec_lo, s4
	s_and_saveexec_b32 s4, s1
	s_cbranch_execz .LBB311_93
.LBB311_142:                            ;   in Loop: Header=BB311_21 Depth=1
	v_add_nc_u64_e32 v[52:53], v[88:89], v[0:1]
	v_add_nc_u64_e32 v[68:69], 0xe00, v[80:81]
	s_delay_alu instid0(VALU_DEP_2) | instskip(NEXT) | instid1(VALU_DEP_1)
	v_add_nc_u64_e32 v[52:53], 0x200, v[52:53]
	v_dual_cndmask_b32 v53, v69, v53, s0 :: v_dual_cndmask_b32 v52, v68, v52, s0
	global_load_b128 v[90:93], v[52:53], off
	global_store_b64 v[84:85], v[54:55], off offset:256
	s_wait_loadcnt 0x0
	global_store_b128 v[86:87], v[90:93], off offset:512
	s_wait_xcnt 0x0
	s_or_b32 exec_lo, exec_lo, s4
	s_and_saveexec_b32 s4, s10
	s_cbranch_execz .LBB311_94
.LBB311_143:                            ;   in Loop: Header=BB311_21 Depth=1
	v_add_nc_u64_e32 v[52:53], v[88:89], v[0:1]
	v_add_nc_u64_e32 v[54:55], 0xe00, v[78:79]
	s_delay_alu instid0(VALU_DEP_2) | instskip(NEXT) | instid1(VALU_DEP_1)
	v_add_nc_u64_e32 v[52:53], 0x400, v[52:53]
	v_dual_cndmask_b32 v53, v55, v53, s0 :: v_dual_cndmask_b32 v52, v54, v52, s0
	global_load_b128 v[52:55], v[52:53], off
	global_store_b64 v[84:85], v[56:57], off offset:512
	s_wait_loadcnt 0x0
	global_store_b128 v[86:87], v[52:55], off offset:1024
	s_wait_xcnt 0x0
	s_or_b32 exec_lo, exec_lo, s4
	s_and_saveexec_b32 s4, s11
	s_cbranch_execz .LBB311_95
.LBB311_144:                            ;   in Loop: Header=BB311_21 Depth=1
	v_add_nc_u64_e32 v[52:53], v[88:89], v[0:1]
	v_add_nc_u64_e32 v[54:55], 0xe00, v[76:77]
	s_delay_alu instid0(VALU_DEP_2) | instskip(NEXT) | instid1(VALU_DEP_1)
	v_add_nc_u64_e32 v[52:53], 0x600, v[52:53]
	v_dual_cndmask_b32 v53, v55, v53, s0 :: v_dual_cndmask_b32 v52, v54, v52, s0
	global_load_b128 v[52:55], v[52:53], off
	global_store_b64 v[84:85], v[58:59], off offset:768
	s_wait_loadcnt 0x0
	global_store_b128 v[86:87], v[52:55], off offset:1536
	s_wait_xcnt 0x0
	s_or_b32 exec_lo, exec_lo, s4
	s_and_saveexec_b32 s4, s12
	s_cbranch_execz .LBB311_96
.LBB311_145:                            ;   in Loop: Header=BB311_21 Depth=1
	v_add_nc_u64_e32 v[52:53], v[88:89], v[0:1]
	v_add_nc_u64_e32 v[54:55], 0xe00, v[74:75]
	s_delay_alu instid0(VALU_DEP_2) | instskip(NEXT) | instid1(VALU_DEP_1)
	v_add_nc_u64_e32 v[52:53], 0x800, v[52:53]
	v_dual_cndmask_b32 v53, v55, v53, s0 :: v_dual_cndmask_b32 v52, v54, v52, s0
	global_load_b128 v[52:55], v[52:53], off
	global_store_b64 v[84:85], v[60:61], off offset:1024
	s_wait_loadcnt 0x0
	global_store_b128 v[86:87], v[52:55], off offset:2048
	s_wait_xcnt 0x0
	s_or_b32 exec_lo, exec_lo, s4
	s_and_saveexec_b32 s4, s13
	s_cbranch_execz .LBB311_97
.LBB311_146:                            ;   in Loop: Header=BB311_21 Depth=1
	v_add_nc_u64_e32 v[52:53], v[88:89], v[0:1]
	v_add_nc_u64_e32 v[54:55], 0xe00, v[72:73]
	s_delay_alu instid0(VALU_DEP_2) | instskip(NEXT) | instid1(VALU_DEP_1)
	v_add_nc_u64_e32 v[52:53], 0xa00, v[52:53]
	v_dual_cndmask_b32 v53, v55, v53, s0 :: v_dual_cndmask_b32 v52, v54, v52, s0
	global_load_b128 v[52:55], v[52:53], off
	global_store_b64 v[84:85], v[62:63], off offset:1280
	s_wait_loadcnt 0x0
	global_store_b128 v[86:87], v[52:55], off offset:2560
	s_wait_xcnt 0x0
	s_or_b32 exec_lo, exec_lo, s4
	s_and_saveexec_b32 s4, s14
	s_cbranch_execz .LBB311_98
.LBB311_147:                            ;   in Loop: Header=BB311_21 Depth=1
	v_add_nc_u64_e32 v[52:53], v[88:89], v[0:1]
	v_add_nc_u64_e32 v[54:55], 0xe00, v[70:71]
	s_delay_alu instid0(VALU_DEP_2) | instskip(NEXT) | instid1(VALU_DEP_1)
	v_add_nc_u64_e32 v[52:53], 0xc00, v[52:53]
	v_dual_cndmask_b32 v53, v55, v53, s0 :: v_dual_cndmask_b32 v52, v54, v52, s0
	global_load_b128 v[52:55], v[52:53], off
	global_store_b64 v[84:85], v[64:65], off offset:1536
	s_wait_loadcnt 0x0
	global_store_b128 v[86:87], v[52:55], off offset:3072
	s_wait_xcnt 0x0
	s_or_b32 exec_lo, exec_lo, s4
	s_and_saveexec_b32 s4, s9
	s_cbranch_execz .LBB311_20
.LBB311_148:                            ;   in Loop: Header=BB311_21 Depth=1
	v_add_nc_u64_e32 v[52:53], v[88:89], v[0:1]
	v_add_nc_u64_e32 v[54:55], 0xe00, v[82:83]
	s_delay_alu instid0(VALU_DEP_2) | instskip(NEXT) | instid1(VALU_DEP_1)
	v_add_nc_u64_e32 v[52:53], 0xe00, v[52:53]
	v_dual_cndmask_b32 v53, v55, v53, s0 :: v_dual_cndmask_b32 v52, v54, v52, s0
	global_load_b128 v[52:55], v[52:53], off
	global_store_b64 v[84:85], v[66:67], off offset:1792
	s_wait_loadcnt 0x0
	global_store_b128 v[86:87], v[52:55], off offset:3584
	s_branch .LBB311_20
.LBB311_149:
	s_sendmsg sendmsg(MSG_DEALLOC_VGPRS)
	s_endpgm
	.section	.rodata,"a",@progbits
	.p2align	6, 0x0
	.amdhsa_kernel _ZN9rocsparseL35bsr2csr_block_per_row_33_256_kernelILj1024ELj256ELj32E21rocsparse_complex_numIdEllEEv20rocsparse_direction_T4_S4_21rocsparse_index_base_PKT2_PKT3_PKS4_S4_S5_PS6_PS9_PS4_
		.amdhsa_group_segment_fixed_size 0
		.amdhsa_private_segment_fixed_size 0
		.amdhsa_kernarg_size 96
		.amdhsa_user_sgpr_count 2
		.amdhsa_user_sgpr_dispatch_ptr 0
		.amdhsa_user_sgpr_queue_ptr 0
		.amdhsa_user_sgpr_kernarg_segment_ptr 1
		.amdhsa_user_sgpr_dispatch_id 0
		.amdhsa_user_sgpr_kernarg_preload_length 0
		.amdhsa_user_sgpr_kernarg_preload_offset 0
		.amdhsa_user_sgpr_private_segment_size 0
		.amdhsa_wavefront_size32 1
		.amdhsa_uses_dynamic_stack 0
		.amdhsa_enable_private_segment 0
		.amdhsa_system_sgpr_workgroup_id_x 1
		.amdhsa_system_sgpr_workgroup_id_y 0
		.amdhsa_system_sgpr_workgroup_id_z 0
		.amdhsa_system_sgpr_workgroup_info 0
		.amdhsa_system_vgpr_workitem_id 0
		.amdhsa_next_free_vgpr 94
		.amdhsa_next_free_sgpr 100
		.amdhsa_named_barrier_count 0
		.amdhsa_reserve_vcc 1
		.amdhsa_float_round_mode_32 0
		.amdhsa_float_round_mode_16_64 0
		.amdhsa_float_denorm_mode_32 3
		.amdhsa_float_denorm_mode_16_64 3
		.amdhsa_fp16_overflow 0
		.amdhsa_memory_ordered 1
		.amdhsa_forward_progress 1
		.amdhsa_inst_pref_size 67
		.amdhsa_round_robin_scheduling 0
		.amdhsa_exception_fp_ieee_invalid_op 0
		.amdhsa_exception_fp_denorm_src 0
		.amdhsa_exception_fp_ieee_div_zero 0
		.amdhsa_exception_fp_ieee_overflow 0
		.amdhsa_exception_fp_ieee_underflow 0
		.amdhsa_exception_fp_ieee_inexact 0
		.amdhsa_exception_int_div_zero 0
	.end_amdhsa_kernel
	.section	.text._ZN9rocsparseL35bsr2csr_block_per_row_33_256_kernelILj1024ELj256ELj32E21rocsparse_complex_numIdEllEEv20rocsparse_direction_T4_S4_21rocsparse_index_base_PKT2_PKT3_PKS4_S4_S5_PS6_PS9_PS4_,"axG",@progbits,_ZN9rocsparseL35bsr2csr_block_per_row_33_256_kernelILj1024ELj256ELj32E21rocsparse_complex_numIdEllEEv20rocsparse_direction_T4_S4_21rocsparse_index_base_PKT2_PKT3_PKS4_S4_S5_PS6_PS9_PS4_,comdat
.Lfunc_end311:
	.size	_ZN9rocsparseL35bsr2csr_block_per_row_33_256_kernelILj1024ELj256ELj32E21rocsparse_complex_numIdEllEEv20rocsparse_direction_T4_S4_21rocsparse_index_base_PKT2_PKT3_PKS4_S4_S5_PS6_PS9_PS4_, .Lfunc_end311-_ZN9rocsparseL35bsr2csr_block_per_row_33_256_kernelILj1024ELj256ELj32E21rocsparse_complex_numIdEllEEv20rocsparse_direction_T4_S4_21rocsparse_index_base_PKT2_PKT3_PKS4_S4_S5_PS6_PS9_PS4_
                                        ; -- End function
	.set _ZN9rocsparseL35bsr2csr_block_per_row_33_256_kernelILj1024ELj256ELj32E21rocsparse_complex_numIdEllEEv20rocsparse_direction_T4_S4_21rocsparse_index_base_PKT2_PKT3_PKS4_S4_S5_PS6_PS9_PS4_.num_vgpr, 94
	.set _ZN9rocsparseL35bsr2csr_block_per_row_33_256_kernelILj1024ELj256ELj32E21rocsparse_complex_numIdEllEEv20rocsparse_direction_T4_S4_21rocsparse_index_base_PKT2_PKT3_PKS4_S4_S5_PS6_PS9_PS4_.num_agpr, 0
	.set _ZN9rocsparseL35bsr2csr_block_per_row_33_256_kernelILj1024ELj256ELj32E21rocsparse_complex_numIdEllEEv20rocsparse_direction_T4_S4_21rocsparse_index_base_PKT2_PKT3_PKS4_S4_S5_PS6_PS9_PS4_.numbered_sgpr, 100
	.set _ZN9rocsparseL35bsr2csr_block_per_row_33_256_kernelILj1024ELj256ELj32E21rocsparse_complex_numIdEllEEv20rocsparse_direction_T4_S4_21rocsparse_index_base_PKT2_PKT3_PKS4_S4_S5_PS6_PS9_PS4_.num_named_barrier, 0
	.set _ZN9rocsparseL35bsr2csr_block_per_row_33_256_kernelILj1024ELj256ELj32E21rocsparse_complex_numIdEllEEv20rocsparse_direction_T4_S4_21rocsparse_index_base_PKT2_PKT3_PKS4_S4_S5_PS6_PS9_PS4_.private_seg_size, 0
	.set _ZN9rocsparseL35bsr2csr_block_per_row_33_256_kernelILj1024ELj256ELj32E21rocsparse_complex_numIdEllEEv20rocsparse_direction_T4_S4_21rocsparse_index_base_PKT2_PKT3_PKS4_S4_S5_PS6_PS9_PS4_.uses_vcc, 1
	.set _ZN9rocsparseL35bsr2csr_block_per_row_33_256_kernelILj1024ELj256ELj32E21rocsparse_complex_numIdEllEEv20rocsparse_direction_T4_S4_21rocsparse_index_base_PKT2_PKT3_PKS4_S4_S5_PS6_PS9_PS4_.uses_flat_scratch, 0
	.set _ZN9rocsparseL35bsr2csr_block_per_row_33_256_kernelILj1024ELj256ELj32E21rocsparse_complex_numIdEllEEv20rocsparse_direction_T4_S4_21rocsparse_index_base_PKT2_PKT3_PKS4_S4_S5_PS6_PS9_PS4_.has_dyn_sized_stack, 0
	.set _ZN9rocsparseL35bsr2csr_block_per_row_33_256_kernelILj1024ELj256ELj32E21rocsparse_complex_numIdEllEEv20rocsparse_direction_T4_S4_21rocsparse_index_base_PKT2_PKT3_PKS4_S4_S5_PS6_PS9_PS4_.has_recursion, 0
	.set _ZN9rocsparseL35bsr2csr_block_per_row_33_256_kernelILj1024ELj256ELj32E21rocsparse_complex_numIdEllEEv20rocsparse_direction_T4_S4_21rocsparse_index_base_PKT2_PKT3_PKS4_S4_S5_PS6_PS9_PS4_.has_indirect_call, 0
	.section	.AMDGPU.csdata,"",@progbits
; Kernel info:
; codeLenInByte = 8508
; TotalNumSgprs: 102
; NumVgprs: 94
; ScratchSize: 0
; MemoryBound: 0
; FloatMode: 240
; IeeeMode: 1
; LDSByteSize: 0 bytes/workgroup (compile time only)
; SGPRBlocks: 0
; VGPRBlocks: 5
; NumSGPRsForWavesPerEU: 102
; NumVGPRsForWavesPerEU: 94
; NamedBarCnt: 0
; Occupancy: 10
; WaveLimiterHint : 1
; COMPUTE_PGM_RSRC2:SCRATCH_EN: 0
; COMPUTE_PGM_RSRC2:USER_SGPR: 2
; COMPUTE_PGM_RSRC2:TRAP_HANDLER: 0
; COMPUTE_PGM_RSRC2:TGID_X_EN: 1
; COMPUTE_PGM_RSRC2:TGID_Y_EN: 0
; COMPUTE_PGM_RSRC2:TGID_Z_EN: 0
; COMPUTE_PGM_RSRC2:TIDIG_COMP_CNT: 0
	.section	.AMDGPU.gpr_maximums,"",@progbits
	.set amdgpu.max_num_vgpr, 0
	.set amdgpu.max_num_agpr, 0
	.set amdgpu.max_num_sgpr, 0
	.section	.AMDGPU.csdata,"",@progbits
	.type	__hip_cuid_a135d725f19cbea5,@object ; @__hip_cuid_a135d725f19cbea5
	.section	.bss,"aw",@nobits
	.globl	__hip_cuid_a135d725f19cbea5
__hip_cuid_a135d725f19cbea5:
	.byte	0                               ; 0x0
	.size	__hip_cuid_a135d725f19cbea5, 1

	.ident	"AMD clang version 22.0.0git (https://github.com/RadeonOpenCompute/llvm-project roc-7.2.4 26084 f58b06dce1f9c15707c5f808fd002e18c2accf7e)"
	.section	".note.GNU-stack","",@progbits
	.addrsig
	.addrsig_sym __hip_cuid_a135d725f19cbea5
	.amdgpu_metadata
---
amdhsa.kernels:
  - .args:
      - .offset:         0
        .size:           4
        .value_kind:     by_value
      - .offset:         4
        .size:           4
        .value_kind:     by_value
      - .offset:         8
        .size:           4
        .value_kind:     by_value
      - .actual_access:  read_only
        .address_space:  global
        .offset:         16
        .size:           8
        .value_kind:     global_buffer
      - .actual_access:  read_only
        .address_space:  global
        .offset:         24
        .size:           8
        .value_kind:     global_buffer
      - .actual_access:  read_only
        .address_space:  global
        .offset:         32
        .size:           8
        .value_kind:     global_buffer
      - .offset:         40
        .size:           4
        .value_kind:     by_value
      - .actual_access:  write_only
        .address_space:  global
        .offset:         48
        .size:           8
        .value_kind:     global_buffer
      - .actual_access:  write_only
        .address_space:  global
        .offset:         56
        .size:           8
        .value_kind:     global_buffer
      - .actual_access:  write_only
        .address_space:  global
        .offset:         64
        .size:           8
        .value_kind:     global_buffer
      - .offset:         72
        .size:           4
        .value_kind:     hidden_block_count_x
      - .offset:         76
        .size:           4
        .value_kind:     hidden_block_count_y
      - .offset:         80
        .size:           4
        .value_kind:     hidden_block_count_z
      - .offset:         84
        .size:           2
        .value_kind:     hidden_group_size_x
      - .offset:         86
        .size:           2
        .value_kind:     hidden_group_size_y
      - .offset:         88
        .size:           2
        .value_kind:     hidden_group_size_z
      - .offset:         90
        .size:           2
        .value_kind:     hidden_remainder_x
      - .offset:         92
        .size:           2
        .value_kind:     hidden_remainder_y
      - .offset:         94
        .size:           2
        .value_kind:     hidden_remainder_z
      - .offset:         112
        .size:           8
        .value_kind:     hidden_global_offset_x
      - .offset:         120
        .size:           8
        .value_kind:     hidden_global_offset_y
      - .offset:         128
        .size:           8
        .value_kind:     hidden_global_offset_z
      - .offset:         136
        .size:           2
        .value_kind:     hidden_grid_dims
    .group_segment_fixed_size: 0
    .kernarg_segment_align: 8
    .kernarg_segment_size: 328
    .language:       OpenCL C
    .language_version:
      - 2
      - 0
    .max_flat_workgroup_size: 1024
    .name:           _ZN9rocsparseL35bsr2csr_block_dim_equals_one_kernelILj1024EiiiEEvT2_S1_21rocsparse_index_base_PKT0_PKT1_PKS1_S2_PS3_PS6_PS1_
    .private_segment_fixed_size: 0
    .sgpr_count:     23
    .sgpr_spill_count: 0
    .symbol:         _ZN9rocsparseL35bsr2csr_block_dim_equals_one_kernelILj1024EiiiEEvT2_S1_21rocsparse_index_base_PKT0_PKT1_PKS1_S2_PS3_PS6_PS1_.kd
    .uniform_work_group_size: 1
    .uses_dynamic_stack: false
    .vgpr_count:     4
    .vgpr_spill_count: 0
    .wavefront_size: 32
  - .args:
      - .offset:         0
        .size:           4
        .value_kind:     by_value
      - .offset:         4
        .size:           4
        .value_kind:     by_value
      - .offset:         8
        .size:           4
        .value_kind:     by_value
      - .offset:         12
        .size:           4
        .value_kind:     by_value
      - .actual_access:  read_only
        .address_space:  global
        .offset:         16
        .size:           8
        .value_kind:     global_buffer
      - .actual_access:  read_only
        .address_space:  global
        .offset:         24
        .size:           8
        .value_kind:     global_buffer
      - .actual_access:  read_only
        .address_space:  global
        .offset:         32
        .size:           8
        .value_kind:     global_buffer
      - .offset:         40
        .size:           4
        .value_kind:     by_value
      - .offset:         44
        .size:           4
        .value_kind:     by_value
      - .actual_access:  write_only
        .address_space:  global
        .offset:         48
        .size:           8
        .value_kind:     global_buffer
      - .actual_access:  write_only
        .address_space:  global
        .offset:         56
        .size:           8
        .value_kind:     global_buffer
      - .actual_access:  write_only
        .address_space:  global
        .offset:         64
        .size:           8
        .value_kind:     global_buffer
    .group_segment_fixed_size: 0
    .kernarg_segment_align: 8
    .kernarg_segment_size: 72
    .language:       OpenCL C
    .language_version:
      - 2
      - 0
    .max_flat_workgroup_size: 256
    .name:           _ZN9rocsparseL32bsr2csr_block_per_row_2_7_kernelILj256ELj2EiiiEEv20rocsparse_direction_T3_S2_21rocsparse_index_base_PKT1_PKT2_PKS2_S2_S3_PS4_PS7_PS2_
    .private_segment_fixed_size: 0
    .sgpr_count:     23
    .sgpr_spill_count: 0
    .symbol:         _ZN9rocsparseL32bsr2csr_block_per_row_2_7_kernelILj256ELj2EiiiEEv20rocsparse_direction_T3_S2_21rocsparse_index_base_PKT1_PKT2_PKS2_S2_S3_PS4_PS7_PS2_.kd
    .uniform_work_group_size: 1
    .uses_dynamic_stack: false
    .vgpr_count:     32
    .vgpr_spill_count: 0
    .wavefront_size: 32
  - .args:
      - .offset:         0
        .size:           4
        .value_kind:     by_value
      - .offset:         4
        .size:           4
        .value_kind:     by_value
      - .offset:         8
        .size:           4
        .value_kind:     by_value
      - .offset:         12
        .size:           4
        .value_kind:     by_value
      - .actual_access:  read_only
        .address_space:  global
        .offset:         16
        .size:           8
        .value_kind:     global_buffer
      - .actual_access:  read_only
        .address_space:  global
        .offset:         24
        .size:           8
        .value_kind:     global_buffer
      - .actual_access:  read_only
        .address_space:  global
        .offset:         32
        .size:           8
        .value_kind:     global_buffer
      - .offset:         40
        .size:           4
        .value_kind:     by_value
      - .offset:         44
        .size:           4
        .value_kind:     by_value
      - .actual_access:  write_only
        .address_space:  global
        .offset:         48
        .size:           8
        .value_kind:     global_buffer
      - .actual_access:  write_only
        .address_space:  global
        .offset:         56
        .size:           8
        .value_kind:     global_buffer
      - .actual_access:  write_only
        .address_space:  global
        .offset:         64
        .size:           8
        .value_kind:     global_buffer
    .group_segment_fixed_size: 0
    .kernarg_segment_align: 8
    .kernarg_segment_size: 72
    .language:       OpenCL C
    .language_version:
      - 2
      - 0
    .max_flat_workgroup_size: 256
    .name:           _ZN9rocsparseL32bsr2csr_block_per_row_2_7_kernelILj256ELj3EiiiEEv20rocsparse_direction_T3_S2_21rocsparse_index_base_PKT1_PKT2_PKS2_S2_S3_PS4_PS7_PS2_
    .private_segment_fixed_size: 0
    .sgpr_count:     17
    .sgpr_spill_count: 0
    .symbol:         _ZN9rocsparseL32bsr2csr_block_per_row_2_7_kernelILj256ELj3EiiiEEv20rocsparse_direction_T3_S2_21rocsparse_index_base_PKT1_PKT2_PKS2_S2_S3_PS4_PS7_PS2_.kd
    .uniform_work_group_size: 1
    .uses_dynamic_stack: false
    .vgpr_count:     18
    .vgpr_spill_count: 0
    .wavefront_size: 32
  - .args:
      - .offset:         0
        .size:           4
        .value_kind:     by_value
      - .offset:         4
        .size:           4
        .value_kind:     by_value
      - .offset:         8
        .size:           4
        .value_kind:     by_value
      - .offset:         12
        .size:           4
        .value_kind:     by_value
      - .actual_access:  read_only
        .address_space:  global
        .offset:         16
        .size:           8
        .value_kind:     global_buffer
      - .actual_access:  read_only
        .address_space:  global
        .offset:         24
        .size:           8
        .value_kind:     global_buffer
      - .actual_access:  read_only
        .address_space:  global
        .offset:         32
        .size:           8
        .value_kind:     global_buffer
      - .offset:         40
        .size:           4
        .value_kind:     by_value
      - .offset:         44
        .size:           4
        .value_kind:     by_value
      - .actual_access:  write_only
        .address_space:  global
        .offset:         48
        .size:           8
        .value_kind:     global_buffer
      - .actual_access:  write_only
        .address_space:  global
        .offset:         56
        .size:           8
        .value_kind:     global_buffer
      - .actual_access:  write_only
        .address_space:  global
        .offset:         64
        .size:           8
        .value_kind:     global_buffer
    .group_segment_fixed_size: 0
    .kernarg_segment_align: 8
    .kernarg_segment_size: 72
    .language:       OpenCL C
    .language_version:
      - 2
      - 0
    .max_flat_workgroup_size: 256
    .name:           _ZN9rocsparseL32bsr2csr_block_per_row_2_7_kernelILj256ELj4EiiiEEv20rocsparse_direction_T3_S2_21rocsparse_index_base_PKT1_PKT2_PKS2_S2_S3_PS4_PS7_PS2_
    .private_segment_fixed_size: 0
    .sgpr_count:     23
    .sgpr_spill_count: 0
    .symbol:         _ZN9rocsparseL32bsr2csr_block_per_row_2_7_kernelILj256ELj4EiiiEEv20rocsparse_direction_T3_S2_21rocsparse_index_base_PKT1_PKT2_PKS2_S2_S3_PS4_PS7_PS2_.kd
    .uniform_work_group_size: 1
    .uses_dynamic_stack: false
    .vgpr_count:     38
    .vgpr_spill_count: 0
    .wavefront_size: 32
  - .args:
      - .offset:         0
        .size:           4
        .value_kind:     by_value
      - .offset:         4
        .size:           4
        .value_kind:     by_value
      - .offset:         8
        .size:           4
        .value_kind:     by_value
      - .offset:         12
        .size:           4
        .value_kind:     by_value
      - .actual_access:  read_only
        .address_space:  global
        .offset:         16
        .size:           8
        .value_kind:     global_buffer
      - .actual_access:  read_only
        .address_space:  global
        .offset:         24
        .size:           8
        .value_kind:     global_buffer
      - .actual_access:  read_only
        .address_space:  global
        .offset:         32
        .size:           8
        .value_kind:     global_buffer
      - .offset:         40
        .size:           4
        .value_kind:     by_value
      - .offset:         44
        .size:           4
        .value_kind:     by_value
      - .actual_access:  write_only
        .address_space:  global
        .offset:         48
        .size:           8
        .value_kind:     global_buffer
      - .actual_access:  write_only
        .address_space:  global
        .offset:         56
        .size:           8
        .value_kind:     global_buffer
      - .actual_access:  write_only
        .address_space:  global
        .offset:         64
        .size:           8
        .value_kind:     global_buffer
    .group_segment_fixed_size: 0
    .kernarg_segment_align: 8
    .kernarg_segment_size: 72
    .language:       OpenCL C
    .language_version:
      - 2
      - 0
    .max_flat_workgroup_size: 256
    .name:           _ZN9rocsparseL32bsr2csr_block_per_row_2_7_kernelILj256ELj5EiiiEEv20rocsparse_direction_T3_S2_21rocsparse_index_base_PKT1_PKT2_PKS2_S2_S3_PS4_PS7_PS2_
    .private_segment_fixed_size: 0
    .sgpr_count:     17
    .sgpr_spill_count: 0
    .symbol:         _ZN9rocsparseL32bsr2csr_block_per_row_2_7_kernelILj256ELj5EiiiEEv20rocsparse_direction_T3_S2_21rocsparse_index_base_PKT1_PKT2_PKS2_S2_S3_PS4_PS7_PS2_.kd
    .uniform_work_group_size: 1
    .uses_dynamic_stack: false
    .vgpr_count:     19
    .vgpr_spill_count: 0
    .wavefront_size: 32
  - .args:
      - .offset:         0
        .size:           4
        .value_kind:     by_value
      - .offset:         4
        .size:           4
        .value_kind:     by_value
      - .offset:         8
        .size:           4
        .value_kind:     by_value
      - .offset:         12
        .size:           4
        .value_kind:     by_value
      - .actual_access:  read_only
        .address_space:  global
        .offset:         16
        .size:           8
        .value_kind:     global_buffer
      - .actual_access:  read_only
        .address_space:  global
        .offset:         24
        .size:           8
        .value_kind:     global_buffer
      - .actual_access:  read_only
        .address_space:  global
        .offset:         32
        .size:           8
        .value_kind:     global_buffer
      - .offset:         40
        .size:           4
        .value_kind:     by_value
      - .offset:         44
        .size:           4
        .value_kind:     by_value
      - .actual_access:  write_only
        .address_space:  global
        .offset:         48
        .size:           8
        .value_kind:     global_buffer
      - .actual_access:  write_only
        .address_space:  global
        .offset:         56
        .size:           8
        .value_kind:     global_buffer
      - .actual_access:  write_only
        .address_space:  global
        .offset:         64
        .size:           8
        .value_kind:     global_buffer
    .group_segment_fixed_size: 0
    .kernarg_segment_align: 8
    .kernarg_segment_size: 72
    .language:       OpenCL C
    .language_version:
      - 2
      - 0
    .max_flat_workgroup_size: 256
    .name:           _ZN9rocsparseL32bsr2csr_block_per_row_2_7_kernelILj256ELj6EiiiEEv20rocsparse_direction_T3_S2_21rocsparse_index_base_PKT1_PKT2_PKS2_S2_S3_PS4_PS7_PS2_
    .private_segment_fixed_size: 0
    .sgpr_count:     17
    .sgpr_spill_count: 0
    .symbol:         _ZN9rocsparseL32bsr2csr_block_per_row_2_7_kernelILj256ELj6EiiiEEv20rocsparse_direction_T3_S2_21rocsparse_index_base_PKT1_PKT2_PKS2_S2_S3_PS4_PS7_PS2_.kd
    .uniform_work_group_size: 1
    .uses_dynamic_stack: false
    .vgpr_count:     22
    .vgpr_spill_count: 0
    .wavefront_size: 32
  - .args:
      - .offset:         0
        .size:           4
        .value_kind:     by_value
      - .offset:         4
        .size:           4
        .value_kind:     by_value
      - .offset:         8
        .size:           4
        .value_kind:     by_value
      - .offset:         12
        .size:           4
        .value_kind:     by_value
      - .actual_access:  read_only
        .address_space:  global
        .offset:         16
        .size:           8
        .value_kind:     global_buffer
      - .actual_access:  read_only
        .address_space:  global
        .offset:         24
        .size:           8
        .value_kind:     global_buffer
      - .actual_access:  read_only
        .address_space:  global
        .offset:         32
        .size:           8
        .value_kind:     global_buffer
      - .offset:         40
        .size:           4
        .value_kind:     by_value
      - .offset:         44
        .size:           4
        .value_kind:     by_value
      - .actual_access:  write_only
        .address_space:  global
        .offset:         48
        .size:           8
        .value_kind:     global_buffer
      - .actual_access:  write_only
        .address_space:  global
        .offset:         56
        .size:           8
        .value_kind:     global_buffer
      - .actual_access:  write_only
        .address_space:  global
        .offset:         64
        .size:           8
        .value_kind:     global_buffer
    .group_segment_fixed_size: 0
    .kernarg_segment_align: 8
    .kernarg_segment_size: 72
    .language:       OpenCL C
    .language_version:
      - 2
      - 0
    .max_flat_workgroup_size: 256
    .name:           _ZN9rocsparseL32bsr2csr_block_per_row_2_7_kernelILj256ELj7EiiiEEv20rocsparse_direction_T3_S2_21rocsparse_index_base_PKT1_PKT2_PKS2_S2_S3_PS4_PS7_PS2_
    .private_segment_fixed_size: 0
    .sgpr_count:     17
    .sgpr_spill_count: 0
    .symbol:         _ZN9rocsparseL32bsr2csr_block_per_row_2_7_kernelILj256ELj7EiiiEEv20rocsparse_direction_T3_S2_21rocsparse_index_base_PKT1_PKT2_PKS2_S2_S3_PS4_PS7_PS2_.kd
    .uniform_work_group_size: 1
    .uses_dynamic_stack: false
    .vgpr_count:     26
    .vgpr_spill_count: 0
    .wavefront_size: 32
  - .args:
      - .offset:         0
        .size:           4
        .value_kind:     by_value
      - .offset:         4
        .size:           4
        .value_kind:     by_value
      - .offset:         8
        .size:           4
        .value_kind:     by_value
      - .offset:         12
        .size:           4
        .value_kind:     by_value
      - .actual_access:  read_only
        .address_space:  global
        .offset:         16
        .size:           8
        .value_kind:     global_buffer
      - .actual_access:  read_only
        .address_space:  global
        .offset:         24
        .size:           8
        .value_kind:     global_buffer
      - .actual_access:  read_only
        .address_space:  global
        .offset:         32
        .size:           8
        .value_kind:     global_buffer
      - .offset:         40
        .size:           4
        .value_kind:     by_value
      - .offset:         44
        .size:           4
        .value_kind:     by_value
      - .actual_access:  write_only
        .address_space:  global
        .offset:         48
        .size:           8
        .value_kind:     global_buffer
      - .actual_access:  write_only
        .address_space:  global
        .offset:         56
        .size:           8
        .value_kind:     global_buffer
      - .actual_access:  write_only
        .address_space:  global
        .offset:         64
        .size:           8
        .value_kind:     global_buffer
    .group_segment_fixed_size: 0
    .kernarg_segment_align: 8
    .kernarg_segment_size: 72
    .language:       OpenCL C
    .language_version:
      - 2
      - 0
    .max_flat_workgroup_size: 1024
    .name:           _ZN9rocsparseL33bsr2csr_block_per_row_8_32_kernelILj1024ELj8EiiiEEv20rocsparse_direction_T3_S2_21rocsparse_index_base_PKT1_PKT2_PKS2_S2_S3_PS4_PS7_PS2_
    .private_segment_fixed_size: 0
    .sgpr_count:     26
    .sgpr_spill_count: 0
    .symbol:         _ZN9rocsparseL33bsr2csr_block_per_row_8_32_kernelILj1024ELj8EiiiEEv20rocsparse_direction_T3_S2_21rocsparse_index_base_PKT1_PKT2_PKS2_S2_S3_PS4_PS7_PS2_.kd
    .uniform_work_group_size: 1
    .uses_dynamic_stack: false
    .vgpr_count:     22
    .vgpr_spill_count: 0
    .wavefront_size: 32
  - .args:
      - .offset:         0
        .size:           4
        .value_kind:     by_value
      - .offset:         4
        .size:           4
        .value_kind:     by_value
      - .offset:         8
        .size:           4
        .value_kind:     by_value
      - .offset:         12
        .size:           4
        .value_kind:     by_value
      - .actual_access:  read_only
        .address_space:  global
        .offset:         16
        .size:           8
        .value_kind:     global_buffer
      - .actual_access:  read_only
        .address_space:  global
        .offset:         24
        .size:           8
        .value_kind:     global_buffer
      - .actual_access:  read_only
        .address_space:  global
        .offset:         32
        .size:           8
        .value_kind:     global_buffer
      - .offset:         40
        .size:           4
        .value_kind:     by_value
      - .offset:         44
        .size:           4
        .value_kind:     by_value
      - .actual_access:  write_only
        .address_space:  global
        .offset:         48
        .size:           8
        .value_kind:     global_buffer
      - .actual_access:  write_only
        .address_space:  global
        .offset:         56
        .size:           8
        .value_kind:     global_buffer
      - .actual_access:  write_only
        .address_space:  global
        .offset:         64
        .size:           8
        .value_kind:     global_buffer
    .group_segment_fixed_size: 0
    .kernarg_segment_align: 8
    .kernarg_segment_size: 72
    .language:       OpenCL C
    .language_version:
      - 2
      - 0
    .max_flat_workgroup_size: 1024
    .name:           _ZN9rocsparseL33bsr2csr_block_per_row_8_32_kernelILj1024ELj16EiiiEEv20rocsparse_direction_T3_S2_21rocsparse_index_base_PKT1_PKT2_PKS2_S2_S3_PS4_PS7_PS2_
    .private_segment_fixed_size: 0
    .sgpr_count:     26
    .sgpr_spill_count: 0
    .symbol:         _ZN9rocsparseL33bsr2csr_block_per_row_8_32_kernelILj1024ELj16EiiiEEv20rocsparse_direction_T3_S2_21rocsparse_index_base_PKT1_PKT2_PKS2_S2_S3_PS4_PS7_PS2_.kd
    .uniform_work_group_size: 1
    .uses_dynamic_stack: false
    .vgpr_count:     22
    .vgpr_spill_count: 0
    .wavefront_size: 32
  - .args:
      - .offset:         0
        .size:           4
        .value_kind:     by_value
      - .offset:         4
        .size:           4
        .value_kind:     by_value
      - .offset:         8
        .size:           4
        .value_kind:     by_value
      - .offset:         12
        .size:           4
        .value_kind:     by_value
      - .actual_access:  read_only
        .address_space:  global
        .offset:         16
        .size:           8
        .value_kind:     global_buffer
      - .actual_access:  read_only
        .address_space:  global
        .offset:         24
        .size:           8
        .value_kind:     global_buffer
      - .actual_access:  read_only
        .address_space:  global
        .offset:         32
        .size:           8
        .value_kind:     global_buffer
      - .offset:         40
        .size:           4
        .value_kind:     by_value
      - .offset:         44
        .size:           4
        .value_kind:     by_value
      - .actual_access:  write_only
        .address_space:  global
        .offset:         48
        .size:           8
        .value_kind:     global_buffer
      - .actual_access:  write_only
        .address_space:  global
        .offset:         56
        .size:           8
        .value_kind:     global_buffer
      - .actual_access:  write_only
        .address_space:  global
        .offset:         64
        .size:           8
        .value_kind:     global_buffer
    .group_segment_fixed_size: 0
    .kernarg_segment_align: 8
    .kernarg_segment_size: 72
    .language:       OpenCL C
    .language_version:
      - 2
      - 0
    .max_flat_workgroup_size: 1024
    .name:           _ZN9rocsparseL33bsr2csr_block_per_row_8_32_kernelILj1024ELj32EiiiEEv20rocsparse_direction_T3_S2_21rocsparse_index_base_PKT1_PKT2_PKS2_S2_S3_PS4_PS7_PS2_
    .private_segment_fixed_size: 0
    .sgpr_count:     34
    .sgpr_spill_count: 0
    .symbol:         _ZN9rocsparseL33bsr2csr_block_per_row_8_32_kernelILj1024ELj32EiiiEEv20rocsparse_direction_T3_S2_21rocsparse_index_base_PKT1_PKT2_PKS2_S2_S3_PS4_PS7_PS2_.kd
    .uniform_work_group_size: 1
    .uses_dynamic_stack: false
    .vgpr_count:     20
    .vgpr_spill_count: 0
    .wavefront_size: 32
  - .args:
      - .offset:         0
        .size:           4
        .value_kind:     by_value
      - .offset:         4
        .size:           4
        .value_kind:     by_value
      - .offset:         8
        .size:           4
        .value_kind:     by_value
      - .offset:         12
        .size:           4
        .value_kind:     by_value
      - .actual_access:  read_only
        .address_space:  global
        .offset:         16
        .size:           8
        .value_kind:     global_buffer
      - .actual_access:  read_only
        .address_space:  global
        .offset:         24
        .size:           8
        .value_kind:     global_buffer
      - .actual_access:  read_only
        .address_space:  global
        .offset:         32
        .size:           8
        .value_kind:     global_buffer
      - .offset:         40
        .size:           4
        .value_kind:     by_value
      - .offset:         44
        .size:           4
        .value_kind:     by_value
      - .actual_access:  write_only
        .address_space:  global
        .offset:         48
        .size:           8
        .value_kind:     global_buffer
      - .actual_access:  write_only
        .address_space:  global
        .offset:         56
        .size:           8
        .value_kind:     global_buffer
      - .actual_access:  write_only
        .address_space:  global
        .offset:         64
        .size:           8
        .value_kind:     global_buffer
    .group_segment_fixed_size: 0
    .kernarg_segment_align: 8
    .kernarg_segment_size: 72
    .language:       OpenCL C
    .language_version:
      - 2
      - 0
    .max_flat_workgroup_size: 1024
    .name:           _ZN9rocsparseL35bsr2csr_block_per_row_33_256_kernelILj1024ELj64ELj32EiiiEEv20rocsparse_direction_T4_S2_21rocsparse_index_base_PKT2_PKT3_PKS2_S2_S3_PS4_PS7_PS2_
    .private_segment_fixed_size: 0
    .sgpr_count:     26
    .sgpr_spill_count: 0
    .symbol:         _ZN9rocsparseL35bsr2csr_block_per_row_33_256_kernelILj1024ELj64ELj32EiiiEEv20rocsparse_direction_T4_S2_21rocsparse_index_base_PKT2_PKT3_PKS2_S2_S3_PS4_PS7_PS2_.kd
    .uniform_work_group_size: 1
    .uses_dynamic_stack: false
    .vgpr_count:     15
    .vgpr_spill_count: 0
    .wavefront_size: 32
  - .args:
      - .offset:         0
        .size:           4
        .value_kind:     by_value
      - .offset:         4
        .size:           4
        .value_kind:     by_value
      - .offset:         8
        .size:           4
        .value_kind:     by_value
      - .offset:         12
        .size:           4
        .value_kind:     by_value
      - .actual_access:  read_only
        .address_space:  global
        .offset:         16
        .size:           8
        .value_kind:     global_buffer
      - .actual_access:  read_only
        .address_space:  global
        .offset:         24
        .size:           8
        .value_kind:     global_buffer
      - .actual_access:  read_only
        .address_space:  global
        .offset:         32
        .size:           8
        .value_kind:     global_buffer
      - .offset:         40
        .size:           4
        .value_kind:     by_value
      - .offset:         44
        .size:           4
        .value_kind:     by_value
      - .actual_access:  write_only
        .address_space:  global
        .offset:         48
        .size:           8
        .value_kind:     global_buffer
      - .actual_access:  write_only
        .address_space:  global
        .offset:         56
        .size:           8
        .value_kind:     global_buffer
      - .actual_access:  write_only
        .address_space:  global
        .offset:         64
        .size:           8
        .value_kind:     global_buffer
    .group_segment_fixed_size: 0
    .kernarg_segment_align: 8
    .kernarg_segment_size: 72
    .language:       OpenCL C
    .language_version:
      - 2
      - 0
    .max_flat_workgroup_size: 1024
    .name:           _ZN9rocsparseL35bsr2csr_block_per_row_33_256_kernelILj1024ELj128ELj32EiiiEEv20rocsparse_direction_T4_S2_21rocsparse_index_base_PKT2_PKT3_PKS2_S2_S3_PS4_PS7_PS2_
    .private_segment_fixed_size: 0
    .sgpr_count:     38
    .sgpr_spill_count: 0
    .symbol:         _ZN9rocsparseL35bsr2csr_block_per_row_33_256_kernelILj1024ELj128ELj32EiiiEEv20rocsparse_direction_T4_S2_21rocsparse_index_base_PKT2_PKT3_PKS2_S2_S3_PS4_PS7_PS2_.kd
    .uniform_work_group_size: 1
    .uses_dynamic_stack: false
    .vgpr_count:     26
    .vgpr_spill_count: 0
    .wavefront_size: 32
  - .args:
      - .offset:         0
        .size:           4
        .value_kind:     by_value
      - .offset:         4
        .size:           4
        .value_kind:     by_value
      - .offset:         8
        .size:           4
        .value_kind:     by_value
      - .offset:         12
        .size:           4
        .value_kind:     by_value
      - .actual_access:  read_only
        .address_space:  global
        .offset:         16
        .size:           8
        .value_kind:     global_buffer
      - .actual_access:  read_only
        .address_space:  global
        .offset:         24
        .size:           8
        .value_kind:     global_buffer
      - .actual_access:  read_only
        .address_space:  global
        .offset:         32
        .size:           8
        .value_kind:     global_buffer
      - .offset:         40
        .size:           4
        .value_kind:     by_value
      - .offset:         44
        .size:           4
        .value_kind:     by_value
      - .actual_access:  write_only
        .address_space:  global
        .offset:         48
        .size:           8
        .value_kind:     global_buffer
      - .actual_access:  write_only
        .address_space:  global
        .offset:         56
        .size:           8
        .value_kind:     global_buffer
      - .actual_access:  write_only
        .address_space:  global
        .offset:         64
        .size:           8
        .value_kind:     global_buffer
    .group_segment_fixed_size: 0
    .kernarg_segment_align: 8
    .kernarg_segment_size: 72
    .language:       OpenCL C
    .language_version:
      - 2
      - 0
    .max_flat_workgroup_size: 1024
    .name:           _ZN9rocsparseL35bsr2csr_block_per_row_33_256_kernelILj1024ELj256ELj32EiiiEEv20rocsparse_direction_T4_S2_21rocsparse_index_base_PKT2_PKT3_PKS2_S2_S3_PS4_PS7_PS2_
    .private_segment_fixed_size: 0
    .sgpr_count:     89
    .sgpr_spill_count: 0
    .symbol:         _ZN9rocsparseL35bsr2csr_block_per_row_33_256_kernelILj1024ELj256ELj32EiiiEEv20rocsparse_direction_T4_S2_21rocsparse_index_base_PKT2_PKT3_PKS2_S2_S3_PS4_PS7_PS2_.kd
    .uniform_work_group_size: 1
    .uses_dynamic_stack: false
    .vgpr_count:     44
    .vgpr_spill_count: 0
    .wavefront_size: 32
  - .args:
      - .offset:         0
        .size:           4
        .value_kind:     by_value
      - .offset:         4
        .size:           4
        .value_kind:     by_value
      - .offset:         8
        .size:           4
        .value_kind:     by_value
      - .actual_access:  read_only
        .address_space:  global
        .offset:         16
        .size:           8
        .value_kind:     global_buffer
      - .actual_access:  read_only
        .address_space:  global
        .offset:         24
        .size:           8
        .value_kind:     global_buffer
      - .actual_access:  read_only
        .address_space:  global
        .offset:         32
        .size:           8
        .value_kind:     global_buffer
      - .offset:         40
        .size:           4
        .value_kind:     by_value
      - .actual_access:  write_only
        .address_space:  global
        .offset:         48
        .size:           8
        .value_kind:     global_buffer
      - .actual_access:  write_only
        .address_space:  global
        .offset:         56
        .size:           8
        .value_kind:     global_buffer
      - .actual_access:  write_only
        .address_space:  global
        .offset:         64
        .size:           8
        .value_kind:     global_buffer
      - .offset:         72
        .size:           4
        .value_kind:     hidden_block_count_x
      - .offset:         76
        .size:           4
        .value_kind:     hidden_block_count_y
      - .offset:         80
        .size:           4
        .value_kind:     hidden_block_count_z
      - .offset:         84
        .size:           2
        .value_kind:     hidden_group_size_x
      - .offset:         86
        .size:           2
        .value_kind:     hidden_group_size_y
      - .offset:         88
        .size:           2
        .value_kind:     hidden_group_size_z
      - .offset:         90
        .size:           2
        .value_kind:     hidden_remainder_x
      - .offset:         92
        .size:           2
        .value_kind:     hidden_remainder_y
      - .offset:         94
        .size:           2
        .value_kind:     hidden_remainder_z
      - .offset:         112
        .size:           8
        .value_kind:     hidden_global_offset_x
      - .offset:         120
        .size:           8
        .value_kind:     hidden_global_offset_y
      - .offset:         128
        .size:           8
        .value_kind:     hidden_global_offset_z
      - .offset:         136
        .size:           2
        .value_kind:     hidden_grid_dims
    .group_segment_fixed_size: 0
    .kernarg_segment_align: 8
    .kernarg_segment_size: 328
    .language:       OpenCL C
    .language_version:
      - 2
      - 0
    .max_flat_workgroup_size: 1024
    .name:           _ZN9rocsparseL35bsr2csr_block_dim_equals_one_kernelILj1024EiliEEvT2_S1_21rocsparse_index_base_PKT0_PKT1_PKS1_S2_PS3_PS6_PS1_
    .private_segment_fixed_size: 0
    .sgpr_count:     26
    .sgpr_spill_count: 0
    .symbol:         _ZN9rocsparseL35bsr2csr_block_dim_equals_one_kernelILj1024EiliEEvT2_S1_21rocsparse_index_base_PKT0_PKT1_PKS1_S2_PS3_PS6_PS1_.kd
    .uniform_work_group_size: 1
    .uses_dynamic_stack: false
    .vgpr_count:     10
    .vgpr_spill_count: 0
    .wavefront_size: 32
  - .args:
      - .offset:         0
        .size:           4
        .value_kind:     by_value
      - .offset:         4
        .size:           4
        .value_kind:     by_value
      - .offset:         8
        .size:           4
        .value_kind:     by_value
      - .offset:         12
        .size:           4
        .value_kind:     by_value
      - .actual_access:  read_only
        .address_space:  global
        .offset:         16
        .size:           8
        .value_kind:     global_buffer
      - .actual_access:  read_only
        .address_space:  global
        .offset:         24
        .size:           8
        .value_kind:     global_buffer
      - .actual_access:  read_only
        .address_space:  global
        .offset:         32
        .size:           8
        .value_kind:     global_buffer
      - .offset:         40
        .size:           4
        .value_kind:     by_value
      - .offset:         44
        .size:           4
        .value_kind:     by_value
      - .actual_access:  write_only
        .address_space:  global
        .offset:         48
        .size:           8
        .value_kind:     global_buffer
      - .actual_access:  write_only
        .address_space:  global
        .offset:         56
        .size:           8
        .value_kind:     global_buffer
      - .actual_access:  write_only
        .address_space:  global
        .offset:         64
        .size:           8
        .value_kind:     global_buffer
    .group_segment_fixed_size: 0
    .kernarg_segment_align: 8
    .kernarg_segment_size: 72
    .language:       OpenCL C
    .language_version:
      - 2
      - 0
    .max_flat_workgroup_size: 256
    .name:           _ZN9rocsparseL32bsr2csr_block_per_row_2_7_kernelILj256ELj2EiliEEv20rocsparse_direction_T3_S2_21rocsparse_index_base_PKT1_PKT2_PKS2_S2_S3_PS4_PS7_PS2_
    .private_segment_fixed_size: 0
    .sgpr_count:     27
    .sgpr_spill_count: 0
    .symbol:         _ZN9rocsparseL32bsr2csr_block_per_row_2_7_kernelILj256ELj2EiliEEv20rocsparse_direction_T3_S2_21rocsparse_index_base_PKT1_PKT2_PKS2_S2_S3_PS4_PS7_PS2_.kd
    .uniform_work_group_size: 1
    .uses_dynamic_stack: false
    .vgpr_count:     50
    .vgpr_spill_count: 0
    .wavefront_size: 32
  - .args:
      - .offset:         0
        .size:           4
        .value_kind:     by_value
      - .offset:         4
        .size:           4
        .value_kind:     by_value
      - .offset:         8
        .size:           4
        .value_kind:     by_value
      - .offset:         12
        .size:           4
        .value_kind:     by_value
      - .actual_access:  read_only
        .address_space:  global
        .offset:         16
        .size:           8
        .value_kind:     global_buffer
      - .actual_access:  read_only
        .address_space:  global
        .offset:         24
        .size:           8
        .value_kind:     global_buffer
      - .actual_access:  read_only
        .address_space:  global
        .offset:         32
        .size:           8
        .value_kind:     global_buffer
      - .offset:         40
        .size:           4
        .value_kind:     by_value
      - .offset:         44
        .size:           4
        .value_kind:     by_value
      - .actual_access:  write_only
        .address_space:  global
        .offset:         48
        .size:           8
        .value_kind:     global_buffer
      - .actual_access:  write_only
        .address_space:  global
        .offset:         56
        .size:           8
        .value_kind:     global_buffer
      - .actual_access:  write_only
        .address_space:  global
        .offset:         64
        .size:           8
        .value_kind:     global_buffer
    .group_segment_fixed_size: 0
    .kernarg_segment_align: 8
    .kernarg_segment_size: 72
    .language:       OpenCL C
    .language_version:
      - 2
      - 0
    .max_flat_workgroup_size: 256
    .name:           _ZN9rocsparseL32bsr2csr_block_per_row_2_7_kernelILj256ELj3EiliEEv20rocsparse_direction_T3_S2_21rocsparse_index_base_PKT1_PKT2_PKS2_S2_S3_PS4_PS7_PS2_
    .private_segment_fixed_size: 0
    .sgpr_count:     27
    .sgpr_spill_count: 0
    .symbol:         _ZN9rocsparseL32bsr2csr_block_per_row_2_7_kernelILj256ELj3EiliEEv20rocsparse_direction_T3_S2_21rocsparse_index_base_PKT1_PKT2_PKS2_S2_S3_PS4_PS7_PS2_.kd
    .uniform_work_group_size: 1
    .uses_dynamic_stack: false
    .vgpr_count:     58
    .vgpr_spill_count: 0
    .wavefront_size: 32
  - .args:
      - .offset:         0
        .size:           4
        .value_kind:     by_value
      - .offset:         4
        .size:           4
        .value_kind:     by_value
      - .offset:         8
        .size:           4
        .value_kind:     by_value
      - .offset:         12
        .size:           4
        .value_kind:     by_value
      - .actual_access:  read_only
        .address_space:  global
        .offset:         16
        .size:           8
        .value_kind:     global_buffer
      - .actual_access:  read_only
        .address_space:  global
        .offset:         24
        .size:           8
        .value_kind:     global_buffer
      - .actual_access:  read_only
        .address_space:  global
        .offset:         32
        .size:           8
        .value_kind:     global_buffer
      - .offset:         40
        .size:           4
        .value_kind:     by_value
      - .offset:         44
        .size:           4
        .value_kind:     by_value
      - .actual_access:  write_only
        .address_space:  global
        .offset:         48
        .size:           8
        .value_kind:     global_buffer
      - .actual_access:  write_only
        .address_space:  global
        .offset:         56
        .size:           8
        .value_kind:     global_buffer
      - .actual_access:  write_only
        .address_space:  global
        .offset:         64
        .size:           8
        .value_kind:     global_buffer
    .group_segment_fixed_size: 0
    .kernarg_segment_align: 8
    .kernarg_segment_size: 72
    .language:       OpenCL C
    .language_version:
      - 2
      - 0
    .max_flat_workgroup_size: 256
    .name:           _ZN9rocsparseL32bsr2csr_block_per_row_2_7_kernelILj256ELj4EiliEEv20rocsparse_direction_T3_S2_21rocsparse_index_base_PKT1_PKT2_PKS2_S2_S3_PS4_PS7_PS2_
    .private_segment_fixed_size: 0
    .sgpr_count:     27
    .sgpr_spill_count: 0
    .symbol:         _ZN9rocsparseL32bsr2csr_block_per_row_2_7_kernelILj256ELj4EiliEEv20rocsparse_direction_T3_S2_21rocsparse_index_base_PKT1_PKT2_PKS2_S2_S3_PS4_PS7_PS2_.kd
    .uniform_work_group_size: 1
    .uses_dynamic_stack: false
    .vgpr_count:     69
    .vgpr_spill_count: 0
    .wavefront_size: 32
  - .args:
      - .offset:         0
        .size:           4
        .value_kind:     by_value
      - .offset:         4
        .size:           4
        .value_kind:     by_value
      - .offset:         8
        .size:           4
        .value_kind:     by_value
      - .offset:         12
        .size:           4
        .value_kind:     by_value
      - .actual_access:  read_only
        .address_space:  global
        .offset:         16
        .size:           8
        .value_kind:     global_buffer
      - .actual_access:  read_only
        .address_space:  global
        .offset:         24
        .size:           8
        .value_kind:     global_buffer
      - .actual_access:  read_only
        .address_space:  global
        .offset:         32
        .size:           8
        .value_kind:     global_buffer
      - .offset:         40
        .size:           4
        .value_kind:     by_value
      - .offset:         44
        .size:           4
        .value_kind:     by_value
      - .actual_access:  write_only
        .address_space:  global
        .offset:         48
        .size:           8
        .value_kind:     global_buffer
      - .actual_access:  write_only
        .address_space:  global
        .offset:         56
        .size:           8
        .value_kind:     global_buffer
      - .actual_access:  write_only
        .address_space:  global
        .offset:         64
        .size:           8
        .value_kind:     global_buffer
    .group_segment_fixed_size: 0
    .kernarg_segment_align: 8
    .kernarg_segment_size: 72
    .language:       OpenCL C
    .language_version:
      - 2
      - 0
    .max_flat_workgroup_size: 256
    .name:           _ZN9rocsparseL32bsr2csr_block_per_row_2_7_kernelILj256ELj5EiliEEv20rocsparse_direction_T3_S2_21rocsparse_index_base_PKT1_PKT2_PKS2_S2_S3_PS4_PS7_PS2_
    .private_segment_fixed_size: 0
    .sgpr_count:     29
    .sgpr_spill_count: 0
    .symbol:         _ZN9rocsparseL32bsr2csr_block_per_row_2_7_kernelILj256ELj5EiliEEv20rocsparse_direction_T3_S2_21rocsparse_index_base_PKT1_PKT2_PKS2_S2_S3_PS4_PS7_PS2_.kd
    .uniform_work_group_size: 1
    .uses_dynamic_stack: false
    .vgpr_count:     80
    .vgpr_spill_count: 0
    .wavefront_size: 32
  - .args:
      - .offset:         0
        .size:           4
        .value_kind:     by_value
      - .offset:         4
        .size:           4
        .value_kind:     by_value
      - .offset:         8
        .size:           4
        .value_kind:     by_value
      - .offset:         12
        .size:           4
        .value_kind:     by_value
      - .actual_access:  read_only
        .address_space:  global
        .offset:         16
        .size:           8
        .value_kind:     global_buffer
      - .actual_access:  read_only
        .address_space:  global
        .offset:         24
        .size:           8
        .value_kind:     global_buffer
      - .actual_access:  read_only
        .address_space:  global
        .offset:         32
        .size:           8
        .value_kind:     global_buffer
      - .offset:         40
        .size:           4
        .value_kind:     by_value
      - .offset:         44
        .size:           4
        .value_kind:     by_value
      - .actual_access:  write_only
        .address_space:  global
        .offset:         48
        .size:           8
        .value_kind:     global_buffer
      - .actual_access:  write_only
        .address_space:  global
        .offset:         56
        .size:           8
        .value_kind:     global_buffer
      - .actual_access:  write_only
        .address_space:  global
        .offset:         64
        .size:           8
        .value_kind:     global_buffer
    .group_segment_fixed_size: 0
    .kernarg_segment_align: 8
    .kernarg_segment_size: 72
    .language:       OpenCL C
    .language_version:
      - 2
      - 0
    .max_flat_workgroup_size: 256
    .name:           _ZN9rocsparseL32bsr2csr_block_per_row_2_7_kernelILj256ELj6EiliEEv20rocsparse_direction_T3_S2_21rocsparse_index_base_PKT1_PKT2_PKS2_S2_S3_PS4_PS7_PS2_
    .private_segment_fixed_size: 0
    .sgpr_count:     29
    .sgpr_spill_count: 0
    .symbol:         _ZN9rocsparseL32bsr2csr_block_per_row_2_7_kernelILj256ELj6EiliEEv20rocsparse_direction_T3_S2_21rocsparse_index_base_PKT1_PKT2_PKS2_S2_S3_PS4_PS7_PS2_.kd
    .uniform_work_group_size: 1
    .uses_dynamic_stack: false
    .vgpr_count:     86
    .vgpr_spill_count: 0
    .wavefront_size: 32
  - .args:
      - .offset:         0
        .size:           4
        .value_kind:     by_value
      - .offset:         4
        .size:           4
        .value_kind:     by_value
      - .offset:         8
        .size:           4
        .value_kind:     by_value
      - .offset:         12
        .size:           4
        .value_kind:     by_value
      - .actual_access:  read_only
        .address_space:  global
        .offset:         16
        .size:           8
        .value_kind:     global_buffer
      - .actual_access:  read_only
        .address_space:  global
        .offset:         24
        .size:           8
        .value_kind:     global_buffer
      - .actual_access:  read_only
        .address_space:  global
        .offset:         32
        .size:           8
        .value_kind:     global_buffer
      - .offset:         40
        .size:           4
        .value_kind:     by_value
      - .offset:         44
        .size:           4
        .value_kind:     by_value
      - .actual_access:  write_only
        .address_space:  global
        .offset:         48
        .size:           8
        .value_kind:     global_buffer
      - .actual_access:  write_only
        .address_space:  global
        .offset:         56
        .size:           8
        .value_kind:     global_buffer
      - .actual_access:  write_only
        .address_space:  global
        .offset:         64
        .size:           8
        .value_kind:     global_buffer
    .group_segment_fixed_size: 0
    .kernarg_segment_align: 8
    .kernarg_segment_size: 72
    .language:       OpenCL C
    .language_version:
      - 2
      - 0
    .max_flat_workgroup_size: 256
    .name:           _ZN9rocsparseL32bsr2csr_block_per_row_2_7_kernelILj256ELj7EiliEEv20rocsparse_direction_T3_S2_21rocsparse_index_base_PKT1_PKT2_PKS2_S2_S3_PS4_PS7_PS2_
    .private_segment_fixed_size: 0
    .sgpr_count:     29
    .sgpr_spill_count: 0
    .symbol:         _ZN9rocsparseL32bsr2csr_block_per_row_2_7_kernelILj256ELj7EiliEEv20rocsparse_direction_T3_S2_21rocsparse_index_base_PKT1_PKT2_PKS2_S2_S3_PS4_PS7_PS2_.kd
    .uniform_work_group_size: 1
    .uses_dynamic_stack: false
    .vgpr_count:     88
    .vgpr_spill_count: 0
    .wavefront_size: 32
  - .args:
      - .offset:         0
        .size:           4
        .value_kind:     by_value
      - .offset:         4
        .size:           4
        .value_kind:     by_value
      - .offset:         8
        .size:           4
        .value_kind:     by_value
      - .offset:         12
        .size:           4
        .value_kind:     by_value
      - .actual_access:  read_only
        .address_space:  global
        .offset:         16
        .size:           8
        .value_kind:     global_buffer
      - .actual_access:  read_only
        .address_space:  global
        .offset:         24
        .size:           8
        .value_kind:     global_buffer
      - .actual_access:  read_only
        .address_space:  global
        .offset:         32
        .size:           8
        .value_kind:     global_buffer
      - .offset:         40
        .size:           4
        .value_kind:     by_value
      - .offset:         44
        .size:           4
        .value_kind:     by_value
      - .actual_access:  write_only
        .address_space:  global
        .offset:         48
        .size:           8
        .value_kind:     global_buffer
      - .actual_access:  write_only
        .address_space:  global
        .offset:         56
        .size:           8
        .value_kind:     global_buffer
      - .actual_access:  write_only
        .address_space:  global
        .offset:         64
        .size:           8
        .value_kind:     global_buffer
    .group_segment_fixed_size: 0
    .kernarg_segment_align: 8
    .kernarg_segment_size: 72
    .language:       OpenCL C
    .language_version:
      - 2
      - 0
    .max_flat_workgroup_size: 1024
    .name:           _ZN9rocsparseL33bsr2csr_block_per_row_8_32_kernelILj1024ELj8EiliEEv20rocsparse_direction_T3_S2_21rocsparse_index_base_PKT1_PKT2_PKS2_S2_S3_PS4_PS7_PS2_
    .private_segment_fixed_size: 0
    .sgpr_count:     36
    .sgpr_spill_count: 0
    .symbol:         _ZN9rocsparseL33bsr2csr_block_per_row_8_32_kernelILj1024ELj8EiliEEv20rocsparse_direction_T3_S2_21rocsparse_index_base_PKT1_PKT2_PKS2_S2_S3_PS4_PS7_PS2_.kd
    .uniform_work_group_size: 1
    .uses_dynamic_stack: false
    .vgpr_count:     37
    .vgpr_spill_count: 0
    .wavefront_size: 32
  - .args:
      - .offset:         0
        .size:           4
        .value_kind:     by_value
      - .offset:         4
        .size:           4
        .value_kind:     by_value
      - .offset:         8
        .size:           4
        .value_kind:     by_value
      - .offset:         12
        .size:           4
        .value_kind:     by_value
      - .actual_access:  read_only
        .address_space:  global
        .offset:         16
        .size:           8
        .value_kind:     global_buffer
      - .actual_access:  read_only
        .address_space:  global
        .offset:         24
        .size:           8
        .value_kind:     global_buffer
      - .actual_access:  read_only
        .address_space:  global
        .offset:         32
        .size:           8
        .value_kind:     global_buffer
      - .offset:         40
        .size:           4
        .value_kind:     by_value
      - .offset:         44
        .size:           4
        .value_kind:     by_value
      - .actual_access:  write_only
        .address_space:  global
        .offset:         48
        .size:           8
        .value_kind:     global_buffer
      - .actual_access:  write_only
        .address_space:  global
        .offset:         56
        .size:           8
        .value_kind:     global_buffer
      - .actual_access:  write_only
        .address_space:  global
        .offset:         64
        .size:           8
        .value_kind:     global_buffer
    .group_segment_fixed_size: 0
    .kernarg_segment_align: 8
    .kernarg_segment_size: 72
    .language:       OpenCL C
    .language_version:
      - 2
      - 0
    .max_flat_workgroup_size: 1024
    .name:           _ZN9rocsparseL33bsr2csr_block_per_row_8_32_kernelILj1024ELj16EiliEEv20rocsparse_direction_T3_S2_21rocsparse_index_base_PKT1_PKT2_PKS2_S2_S3_PS4_PS7_PS2_
    .private_segment_fixed_size: 0
    .sgpr_count:     36
    .sgpr_spill_count: 0
    .symbol:         _ZN9rocsparseL33bsr2csr_block_per_row_8_32_kernelILj1024ELj16EiliEEv20rocsparse_direction_T3_S2_21rocsparse_index_base_PKT1_PKT2_PKS2_S2_S3_PS4_PS7_PS2_.kd
    .uniform_work_group_size: 1
    .uses_dynamic_stack: false
    .vgpr_count:     37
    .vgpr_spill_count: 0
    .wavefront_size: 32
  - .args:
      - .offset:         0
        .size:           4
        .value_kind:     by_value
      - .offset:         4
        .size:           4
        .value_kind:     by_value
      - .offset:         8
        .size:           4
        .value_kind:     by_value
      - .offset:         12
        .size:           4
        .value_kind:     by_value
      - .actual_access:  read_only
        .address_space:  global
        .offset:         16
        .size:           8
        .value_kind:     global_buffer
      - .actual_access:  read_only
        .address_space:  global
        .offset:         24
        .size:           8
        .value_kind:     global_buffer
      - .actual_access:  read_only
        .address_space:  global
        .offset:         32
        .size:           8
        .value_kind:     global_buffer
      - .offset:         40
        .size:           4
        .value_kind:     by_value
      - .offset:         44
        .size:           4
        .value_kind:     by_value
      - .actual_access:  write_only
        .address_space:  global
        .offset:         48
        .size:           8
        .value_kind:     global_buffer
      - .actual_access:  write_only
        .address_space:  global
        .offset:         56
        .size:           8
        .value_kind:     global_buffer
      - .actual_access:  write_only
        .address_space:  global
        .offset:         64
        .size:           8
        .value_kind:     global_buffer
    .group_segment_fixed_size: 0
    .kernarg_segment_align: 8
    .kernarg_segment_size: 72
    .language:       OpenCL C
    .language_version:
      - 2
      - 0
    .max_flat_workgroup_size: 1024
    .name:           _ZN9rocsparseL33bsr2csr_block_per_row_8_32_kernelILj1024ELj32EiliEEv20rocsparse_direction_T3_S2_21rocsparse_index_base_PKT1_PKT2_PKS2_S2_S3_PS4_PS7_PS2_
    .private_segment_fixed_size: 0
    .sgpr_count:     30
    .sgpr_spill_count: 0
    .symbol:         _ZN9rocsparseL33bsr2csr_block_per_row_8_32_kernelILj1024ELj32EiliEEv20rocsparse_direction_T3_S2_21rocsparse_index_base_PKT1_PKT2_PKS2_S2_S3_PS4_PS7_PS2_.kd
    .uniform_work_group_size: 1
    .uses_dynamic_stack: false
    .vgpr_count:     12
    .vgpr_spill_count: 0
    .wavefront_size: 32
  - .args:
      - .offset:         0
        .size:           4
        .value_kind:     by_value
      - .offset:         4
        .size:           4
        .value_kind:     by_value
      - .offset:         8
        .size:           4
        .value_kind:     by_value
      - .offset:         12
        .size:           4
        .value_kind:     by_value
      - .actual_access:  read_only
        .address_space:  global
        .offset:         16
        .size:           8
        .value_kind:     global_buffer
      - .actual_access:  read_only
        .address_space:  global
        .offset:         24
        .size:           8
        .value_kind:     global_buffer
      - .actual_access:  read_only
        .address_space:  global
        .offset:         32
        .size:           8
        .value_kind:     global_buffer
      - .offset:         40
        .size:           4
        .value_kind:     by_value
      - .offset:         44
        .size:           4
        .value_kind:     by_value
      - .actual_access:  write_only
        .address_space:  global
        .offset:         48
        .size:           8
        .value_kind:     global_buffer
      - .actual_access:  write_only
        .address_space:  global
        .offset:         56
        .size:           8
        .value_kind:     global_buffer
      - .actual_access:  write_only
        .address_space:  global
        .offset:         64
        .size:           8
        .value_kind:     global_buffer
    .group_segment_fixed_size: 0
    .kernarg_segment_align: 8
    .kernarg_segment_size: 72
    .language:       OpenCL C
    .language_version:
      - 2
      - 0
    .max_flat_workgroup_size: 1024
    .name:           _ZN9rocsparseL35bsr2csr_block_per_row_33_256_kernelILj1024ELj64ELj32EiliEEv20rocsparse_direction_T4_S2_21rocsparse_index_base_PKT2_PKT3_PKS2_S2_S3_PS4_PS7_PS2_
    .private_segment_fixed_size: 0
    .sgpr_count:     34
    .sgpr_spill_count: 0
    .symbol:         _ZN9rocsparseL35bsr2csr_block_per_row_33_256_kernelILj1024ELj64ELj32EiliEEv20rocsparse_direction_T4_S2_21rocsparse_index_base_PKT2_PKT3_PKS2_S2_S3_PS4_PS7_PS2_.kd
    .uniform_work_group_size: 1
    .uses_dynamic_stack: false
    .vgpr_count:     32
    .vgpr_spill_count: 0
    .wavefront_size: 32
  - .args:
      - .offset:         0
        .size:           4
        .value_kind:     by_value
      - .offset:         4
        .size:           4
        .value_kind:     by_value
      - .offset:         8
        .size:           4
        .value_kind:     by_value
      - .offset:         12
        .size:           4
        .value_kind:     by_value
      - .actual_access:  read_only
        .address_space:  global
        .offset:         16
        .size:           8
        .value_kind:     global_buffer
      - .actual_access:  read_only
        .address_space:  global
        .offset:         24
        .size:           8
        .value_kind:     global_buffer
      - .actual_access:  read_only
        .address_space:  global
        .offset:         32
        .size:           8
        .value_kind:     global_buffer
      - .offset:         40
        .size:           4
        .value_kind:     by_value
      - .offset:         44
        .size:           4
        .value_kind:     by_value
      - .actual_access:  write_only
        .address_space:  global
        .offset:         48
        .size:           8
        .value_kind:     global_buffer
      - .actual_access:  write_only
        .address_space:  global
        .offset:         56
        .size:           8
        .value_kind:     global_buffer
      - .actual_access:  write_only
        .address_space:  global
        .offset:         64
        .size:           8
        .value_kind:     global_buffer
    .group_segment_fixed_size: 0
    .kernarg_segment_align: 8
    .kernarg_segment_size: 72
    .language:       OpenCL C
    .language_version:
      - 2
      - 0
    .max_flat_workgroup_size: 1024
    .name:           _ZN9rocsparseL35bsr2csr_block_per_row_33_256_kernelILj1024ELj128ELj32EiliEEv20rocsparse_direction_T4_S2_21rocsparse_index_base_PKT2_PKT3_PKS2_S2_S3_PS4_PS7_PS2_
    .private_segment_fixed_size: 0
    .sgpr_count:     49
    .sgpr_spill_count: 0
    .symbol:         _ZN9rocsparseL35bsr2csr_block_per_row_33_256_kernelILj1024ELj128ELj32EiliEEv20rocsparse_direction_T4_S2_21rocsparse_index_base_PKT2_PKT3_PKS2_S2_S3_PS4_PS7_PS2_.kd
    .uniform_work_group_size: 1
    .uses_dynamic_stack: false
    .vgpr_count:     58
    .vgpr_spill_count: 0
    .wavefront_size: 32
  - .args:
      - .offset:         0
        .size:           4
        .value_kind:     by_value
      - .offset:         4
        .size:           4
        .value_kind:     by_value
      - .offset:         8
        .size:           4
        .value_kind:     by_value
      - .offset:         12
        .size:           4
        .value_kind:     by_value
      - .actual_access:  read_only
        .address_space:  global
        .offset:         16
        .size:           8
        .value_kind:     global_buffer
      - .actual_access:  read_only
        .address_space:  global
        .offset:         24
        .size:           8
        .value_kind:     global_buffer
      - .actual_access:  read_only
        .address_space:  global
        .offset:         32
        .size:           8
        .value_kind:     global_buffer
      - .offset:         40
        .size:           4
        .value_kind:     by_value
      - .offset:         44
        .size:           4
        .value_kind:     by_value
      - .actual_access:  write_only
        .address_space:  global
        .offset:         48
        .size:           8
        .value_kind:     global_buffer
      - .actual_access:  write_only
        .address_space:  global
        .offset:         56
        .size:           8
        .value_kind:     global_buffer
      - .actual_access:  write_only
        .address_space:  global
        .offset:         64
        .size:           8
        .value_kind:     global_buffer
    .group_segment_fixed_size: 0
    .kernarg_segment_align: 8
    .kernarg_segment_size: 72
    .language:       OpenCL C
    .language_version:
      - 2
      - 0
    .max_flat_workgroup_size: 1024
    .name:           _ZN9rocsparseL35bsr2csr_block_per_row_33_256_kernelILj1024ELj256ELj32EiliEEv20rocsparse_direction_T4_S2_21rocsparse_index_base_PKT2_PKT3_PKS2_S2_S3_PS4_PS7_PS2_
    .private_segment_fixed_size: 0
    .sgpr_count:     95
    .sgpr_spill_count: 0
    .symbol:         _ZN9rocsparseL35bsr2csr_block_per_row_33_256_kernelILj1024ELj256ELj32EiliEEv20rocsparse_direction_T4_S2_21rocsparse_index_base_PKT2_PKT3_PKS2_S2_S3_PS4_PS7_PS2_.kd
    .uniform_work_group_size: 1
    .uses_dynamic_stack: false
    .vgpr_count:     94
    .vgpr_spill_count: 0
    .wavefront_size: 32
  - .args:
      - .offset:         0
        .size:           8
        .value_kind:     by_value
      - .offset:         8
        .size:           8
        .value_kind:     by_value
      - .offset:         16
        .size:           4
        .value_kind:     by_value
      - .actual_access:  read_only
        .address_space:  global
        .offset:         24
        .size:           8
        .value_kind:     global_buffer
      - .actual_access:  read_only
        .address_space:  global
        .offset:         32
        .size:           8
        .value_kind:     global_buffer
      - .actual_access:  read_only
        .address_space:  global
        .offset:         40
        .size:           8
        .value_kind:     global_buffer
      - .offset:         48
        .size:           4
        .value_kind:     by_value
      - .actual_access:  write_only
        .address_space:  global
        .offset:         56
        .size:           8
        .value_kind:     global_buffer
      - .actual_access:  write_only
        .address_space:  global
        .offset:         64
        .size:           8
        .value_kind:     global_buffer
      - .actual_access:  write_only
        .address_space:  global
        .offset:         72
        .size:           8
        .value_kind:     global_buffer
      - .offset:         80
        .size:           4
        .value_kind:     hidden_block_count_x
      - .offset:         84
        .size:           4
        .value_kind:     hidden_block_count_y
      - .offset:         88
        .size:           4
        .value_kind:     hidden_block_count_z
      - .offset:         92
        .size:           2
        .value_kind:     hidden_group_size_x
      - .offset:         94
        .size:           2
        .value_kind:     hidden_group_size_y
      - .offset:         96
        .size:           2
        .value_kind:     hidden_group_size_z
      - .offset:         98
        .size:           2
        .value_kind:     hidden_remainder_x
      - .offset:         100
        .size:           2
        .value_kind:     hidden_remainder_y
      - .offset:         102
        .size:           2
        .value_kind:     hidden_remainder_z
      - .offset:         120
        .size:           8
        .value_kind:     hidden_global_offset_x
      - .offset:         128
        .size:           8
        .value_kind:     hidden_global_offset_y
      - .offset:         136
        .size:           8
        .value_kind:     hidden_global_offset_z
      - .offset:         144
        .size:           2
        .value_kind:     hidden_grid_dims
    .group_segment_fixed_size: 0
    .kernarg_segment_align: 8
    .kernarg_segment_size: 336
    .language:       OpenCL C
    .language_version:
      - 2
      - 0
    .max_flat_workgroup_size: 1024
    .name:           _ZN9rocsparseL35bsr2csr_block_dim_equals_one_kernelILj1024EiilEEvT2_S1_21rocsparse_index_base_PKT0_PKT1_PKS1_S2_PS3_PS6_PS1_
    .private_segment_fixed_size: 0
    .sgpr_count:     21
    .sgpr_spill_count: 0
    .symbol:         _ZN9rocsparseL35bsr2csr_block_dim_equals_one_kernelILj1024EiilEEvT2_S1_21rocsparse_index_base_PKT0_PKT1_PKS1_S2_PS3_PS6_PS1_.kd
    .uniform_work_group_size: 1
    .uses_dynamic_stack: false
    .vgpr_count:     13
    .vgpr_spill_count: 0
    .wavefront_size: 32
  - .args:
      - .offset:         0
        .size:           4
        .value_kind:     by_value
      - .offset:         8
        .size:           8
        .value_kind:     by_value
      - .offset:         16
        .size:           8
        .value_kind:     by_value
      - .offset:         24
        .size:           4
        .value_kind:     by_value
      - .actual_access:  read_only
        .address_space:  global
        .offset:         32
        .size:           8
        .value_kind:     global_buffer
      - .actual_access:  read_only
        .address_space:  global
        .offset:         40
        .size:           8
        .value_kind:     global_buffer
      - .actual_access:  read_only
        .address_space:  global
        .offset:         48
        .size:           8
        .value_kind:     global_buffer
      - .offset:         56
        .size:           8
        .value_kind:     by_value
      - .offset:         64
        .size:           4
        .value_kind:     by_value
      - .actual_access:  write_only
        .address_space:  global
        .offset:         72
        .size:           8
        .value_kind:     global_buffer
      - .actual_access:  write_only
        .address_space:  global
        .offset:         80
        .size:           8
        .value_kind:     global_buffer
      - .actual_access:  write_only
        .address_space:  global
        .offset:         88
        .size:           8
        .value_kind:     global_buffer
    .group_segment_fixed_size: 0
    .kernarg_segment_align: 8
    .kernarg_segment_size: 96
    .language:       OpenCL C
    .language_version:
      - 2
      - 0
    .max_flat_workgroup_size: 256
    .name:           _ZN9rocsparseL32bsr2csr_block_per_row_2_7_kernelILj256ELj2EiilEEv20rocsparse_direction_T3_S2_21rocsparse_index_base_PKT1_PKT2_PKS2_S2_S3_PS4_PS7_PS2_
    .private_segment_fixed_size: 0
    .sgpr_count:     18
    .sgpr_spill_count: 0
    .symbol:         _ZN9rocsparseL32bsr2csr_block_per_row_2_7_kernelILj256ELj2EiilEEv20rocsparse_direction_T3_S2_21rocsparse_index_base_PKT1_PKT2_PKS2_S2_S3_PS4_PS7_PS2_.kd
    .uniform_work_group_size: 1
    .uses_dynamic_stack: false
    .vgpr_count:     20
    .vgpr_spill_count: 0
    .wavefront_size: 32
  - .args:
      - .offset:         0
        .size:           4
        .value_kind:     by_value
      - .offset:         8
        .size:           8
        .value_kind:     by_value
      - .offset:         16
        .size:           8
        .value_kind:     by_value
      - .offset:         24
        .size:           4
        .value_kind:     by_value
      - .actual_access:  read_only
        .address_space:  global
        .offset:         32
        .size:           8
        .value_kind:     global_buffer
      - .actual_access:  read_only
        .address_space:  global
        .offset:         40
        .size:           8
        .value_kind:     global_buffer
      - .actual_access:  read_only
        .address_space:  global
        .offset:         48
        .size:           8
        .value_kind:     global_buffer
      - .offset:         56
        .size:           8
        .value_kind:     by_value
      - .offset:         64
        .size:           4
        .value_kind:     by_value
      - .actual_access:  write_only
        .address_space:  global
        .offset:         72
        .size:           8
        .value_kind:     global_buffer
      - .actual_access:  write_only
        .address_space:  global
        .offset:         80
        .size:           8
        .value_kind:     global_buffer
      - .actual_access:  write_only
        .address_space:  global
        .offset:         88
        .size:           8
        .value_kind:     global_buffer
    .group_segment_fixed_size: 0
    .kernarg_segment_align: 8
    .kernarg_segment_size: 96
    .language:       OpenCL C
    .language_version:
      - 2
      - 0
    .max_flat_workgroup_size: 256
    .name:           _ZN9rocsparseL32bsr2csr_block_per_row_2_7_kernelILj256ELj3EiilEEv20rocsparse_direction_T3_S2_21rocsparse_index_base_PKT1_PKT2_PKS2_S2_S3_PS4_PS7_PS2_
    .private_segment_fixed_size: 0
    .sgpr_count:     18
    .sgpr_spill_count: 0
    .symbol:         _ZN9rocsparseL32bsr2csr_block_per_row_2_7_kernelILj256ELj3EiilEEv20rocsparse_direction_T3_S2_21rocsparse_index_base_PKT1_PKT2_PKS2_S2_S3_PS4_PS7_PS2_.kd
    .uniform_work_group_size: 1
    .uses_dynamic_stack: false
    .vgpr_count:     24
    .vgpr_spill_count: 0
    .wavefront_size: 32
  - .args:
      - .offset:         0
        .size:           4
        .value_kind:     by_value
      - .offset:         8
        .size:           8
        .value_kind:     by_value
      - .offset:         16
        .size:           8
        .value_kind:     by_value
      - .offset:         24
        .size:           4
        .value_kind:     by_value
      - .actual_access:  read_only
        .address_space:  global
        .offset:         32
        .size:           8
        .value_kind:     global_buffer
      - .actual_access:  read_only
        .address_space:  global
        .offset:         40
        .size:           8
        .value_kind:     global_buffer
      - .actual_access:  read_only
        .address_space:  global
        .offset:         48
        .size:           8
        .value_kind:     global_buffer
      - .offset:         56
        .size:           8
        .value_kind:     by_value
      - .offset:         64
        .size:           4
        .value_kind:     by_value
      - .actual_access:  write_only
        .address_space:  global
        .offset:         72
        .size:           8
        .value_kind:     global_buffer
      - .actual_access:  write_only
        .address_space:  global
        .offset:         80
        .size:           8
        .value_kind:     global_buffer
      - .actual_access:  write_only
        .address_space:  global
        .offset:         88
        .size:           8
        .value_kind:     global_buffer
    .group_segment_fixed_size: 0
    .kernarg_segment_align: 8
    .kernarg_segment_size: 96
    .language:       OpenCL C
    .language_version:
      - 2
      - 0
    .max_flat_workgroup_size: 256
    .name:           _ZN9rocsparseL32bsr2csr_block_per_row_2_7_kernelILj256ELj4EiilEEv20rocsparse_direction_T3_S2_21rocsparse_index_base_PKT1_PKT2_PKS2_S2_S3_PS4_PS7_PS2_
    .private_segment_fixed_size: 0
    .sgpr_count:     18
    .sgpr_spill_count: 0
    .symbol:         _ZN9rocsparseL32bsr2csr_block_per_row_2_7_kernelILj256ELj4EiilEEv20rocsparse_direction_T3_S2_21rocsparse_index_base_PKT1_PKT2_PKS2_S2_S3_PS4_PS7_PS2_.kd
    .uniform_work_group_size: 1
    .uses_dynamic_stack: false
    .vgpr_count:     30
    .vgpr_spill_count: 0
    .wavefront_size: 32
  - .args:
      - .offset:         0
        .size:           4
        .value_kind:     by_value
      - .offset:         8
        .size:           8
        .value_kind:     by_value
      - .offset:         16
        .size:           8
        .value_kind:     by_value
      - .offset:         24
        .size:           4
        .value_kind:     by_value
      - .actual_access:  read_only
        .address_space:  global
        .offset:         32
        .size:           8
        .value_kind:     global_buffer
      - .actual_access:  read_only
        .address_space:  global
        .offset:         40
        .size:           8
        .value_kind:     global_buffer
      - .actual_access:  read_only
        .address_space:  global
        .offset:         48
        .size:           8
        .value_kind:     global_buffer
      - .offset:         56
        .size:           8
        .value_kind:     by_value
      - .offset:         64
        .size:           4
        .value_kind:     by_value
      - .actual_access:  write_only
        .address_space:  global
        .offset:         72
        .size:           8
        .value_kind:     global_buffer
      - .actual_access:  write_only
        .address_space:  global
        .offset:         80
        .size:           8
        .value_kind:     global_buffer
      - .actual_access:  write_only
        .address_space:  global
        .offset:         88
        .size:           8
        .value_kind:     global_buffer
    .group_segment_fixed_size: 0
    .kernarg_segment_align: 8
    .kernarg_segment_size: 96
    .language:       OpenCL C
    .language_version:
      - 2
      - 0
    .max_flat_workgroup_size: 256
    .name:           _ZN9rocsparseL32bsr2csr_block_per_row_2_7_kernelILj256ELj5EiilEEv20rocsparse_direction_T3_S2_21rocsparse_index_base_PKT1_PKT2_PKS2_S2_S3_PS4_PS7_PS2_
    .private_segment_fixed_size: 0
    .sgpr_count:     18
    .sgpr_spill_count: 0
    .symbol:         _ZN9rocsparseL32bsr2csr_block_per_row_2_7_kernelILj256ELj5EiilEEv20rocsparse_direction_T3_S2_21rocsparse_index_base_PKT1_PKT2_PKS2_S2_S3_PS4_PS7_PS2_.kd
    .uniform_work_group_size: 1
    .uses_dynamic_stack: false
    .vgpr_count:     32
    .vgpr_spill_count: 0
    .wavefront_size: 32
  - .args:
      - .offset:         0
        .size:           4
        .value_kind:     by_value
      - .offset:         8
        .size:           8
        .value_kind:     by_value
      - .offset:         16
        .size:           8
        .value_kind:     by_value
      - .offset:         24
        .size:           4
        .value_kind:     by_value
      - .actual_access:  read_only
        .address_space:  global
        .offset:         32
        .size:           8
        .value_kind:     global_buffer
      - .actual_access:  read_only
        .address_space:  global
        .offset:         40
        .size:           8
        .value_kind:     global_buffer
      - .actual_access:  read_only
        .address_space:  global
        .offset:         48
        .size:           8
        .value_kind:     global_buffer
      - .offset:         56
        .size:           8
        .value_kind:     by_value
      - .offset:         64
        .size:           4
        .value_kind:     by_value
      - .actual_access:  write_only
        .address_space:  global
        .offset:         72
        .size:           8
        .value_kind:     global_buffer
      - .actual_access:  write_only
        .address_space:  global
        .offset:         80
        .size:           8
        .value_kind:     global_buffer
      - .actual_access:  write_only
        .address_space:  global
        .offset:         88
        .size:           8
        .value_kind:     global_buffer
    .group_segment_fixed_size: 0
    .kernarg_segment_align: 8
    .kernarg_segment_size: 96
    .language:       OpenCL C
    .language_version:
      - 2
      - 0
    .max_flat_workgroup_size: 256
    .name:           _ZN9rocsparseL32bsr2csr_block_per_row_2_7_kernelILj256ELj6EiilEEv20rocsparse_direction_T3_S2_21rocsparse_index_base_PKT1_PKT2_PKS2_S2_S3_PS4_PS7_PS2_
    .private_segment_fixed_size: 0
    .sgpr_count:     18
    .sgpr_spill_count: 0
    .symbol:         _ZN9rocsparseL32bsr2csr_block_per_row_2_7_kernelILj256ELj6EiilEEv20rocsparse_direction_T3_S2_21rocsparse_index_base_PKT1_PKT2_PKS2_S2_S3_PS4_PS7_PS2_.kd
    .uniform_work_group_size: 1
    .uses_dynamic_stack: false
    .vgpr_count:     36
    .vgpr_spill_count: 0
    .wavefront_size: 32
  - .args:
      - .offset:         0
        .size:           4
        .value_kind:     by_value
      - .offset:         8
        .size:           8
        .value_kind:     by_value
      - .offset:         16
        .size:           8
        .value_kind:     by_value
      - .offset:         24
        .size:           4
        .value_kind:     by_value
      - .actual_access:  read_only
        .address_space:  global
        .offset:         32
        .size:           8
        .value_kind:     global_buffer
      - .actual_access:  read_only
        .address_space:  global
        .offset:         40
        .size:           8
        .value_kind:     global_buffer
      - .actual_access:  read_only
        .address_space:  global
        .offset:         48
        .size:           8
        .value_kind:     global_buffer
      - .offset:         56
        .size:           8
        .value_kind:     by_value
      - .offset:         64
        .size:           4
        .value_kind:     by_value
      - .actual_access:  write_only
        .address_space:  global
        .offset:         72
        .size:           8
        .value_kind:     global_buffer
      - .actual_access:  write_only
        .address_space:  global
        .offset:         80
        .size:           8
        .value_kind:     global_buffer
      - .actual_access:  write_only
        .address_space:  global
        .offset:         88
        .size:           8
        .value_kind:     global_buffer
    .group_segment_fixed_size: 0
    .kernarg_segment_align: 8
    .kernarg_segment_size: 96
    .language:       OpenCL C
    .language_version:
      - 2
      - 0
    .max_flat_workgroup_size: 256
    .name:           _ZN9rocsparseL32bsr2csr_block_per_row_2_7_kernelILj256ELj7EiilEEv20rocsparse_direction_T3_S2_21rocsparse_index_base_PKT1_PKT2_PKS2_S2_S3_PS4_PS7_PS2_
    .private_segment_fixed_size: 0
    .sgpr_count:     18
    .sgpr_spill_count: 0
    .symbol:         _ZN9rocsparseL32bsr2csr_block_per_row_2_7_kernelILj256ELj7EiilEEv20rocsparse_direction_T3_S2_21rocsparse_index_base_PKT1_PKT2_PKS2_S2_S3_PS4_PS7_PS2_.kd
    .uniform_work_group_size: 1
    .uses_dynamic_stack: false
    .vgpr_count:     40
    .vgpr_spill_count: 0
    .wavefront_size: 32
  - .args:
      - .offset:         0
        .size:           4
        .value_kind:     by_value
      - .offset:         8
        .size:           8
        .value_kind:     by_value
      - .offset:         16
        .size:           8
        .value_kind:     by_value
      - .offset:         24
        .size:           4
        .value_kind:     by_value
      - .actual_access:  read_only
        .address_space:  global
        .offset:         32
        .size:           8
        .value_kind:     global_buffer
      - .actual_access:  read_only
        .address_space:  global
        .offset:         40
        .size:           8
        .value_kind:     global_buffer
      - .actual_access:  read_only
        .address_space:  global
        .offset:         48
        .size:           8
        .value_kind:     global_buffer
      - .offset:         56
        .size:           8
        .value_kind:     by_value
      - .offset:         64
        .size:           4
        .value_kind:     by_value
      - .actual_access:  write_only
        .address_space:  global
        .offset:         72
        .size:           8
        .value_kind:     global_buffer
      - .actual_access:  write_only
        .address_space:  global
        .offset:         80
        .size:           8
        .value_kind:     global_buffer
      - .actual_access:  write_only
        .address_space:  global
        .offset:         88
        .size:           8
        .value_kind:     global_buffer
    .group_segment_fixed_size: 0
    .kernarg_segment_align: 8
    .kernarg_segment_size: 96
    .language:       OpenCL C
    .language_version:
      - 2
      - 0
    .max_flat_workgroup_size: 1024
    .name:           _ZN9rocsparseL33bsr2csr_block_per_row_8_32_kernelILj1024ELj8EiilEEv20rocsparse_direction_T3_S2_21rocsparse_index_base_PKT1_PKT2_PKS2_S2_S3_PS4_PS7_PS2_
    .private_segment_fixed_size: 0
    .sgpr_count:     22
    .sgpr_spill_count: 0
    .symbol:         _ZN9rocsparseL33bsr2csr_block_per_row_8_32_kernelILj1024ELj8EiilEEv20rocsparse_direction_T3_S2_21rocsparse_index_base_PKT1_PKT2_PKS2_S2_S3_PS4_PS7_PS2_.kd
    .uniform_work_group_size: 1
    .uses_dynamic_stack: false
    .vgpr_count:     16
    .vgpr_spill_count: 0
    .wavefront_size: 32
  - .args:
      - .offset:         0
        .size:           4
        .value_kind:     by_value
      - .offset:         8
        .size:           8
        .value_kind:     by_value
      - .offset:         16
        .size:           8
        .value_kind:     by_value
      - .offset:         24
        .size:           4
        .value_kind:     by_value
      - .actual_access:  read_only
        .address_space:  global
        .offset:         32
        .size:           8
        .value_kind:     global_buffer
      - .actual_access:  read_only
        .address_space:  global
        .offset:         40
        .size:           8
        .value_kind:     global_buffer
      - .actual_access:  read_only
        .address_space:  global
        .offset:         48
        .size:           8
        .value_kind:     global_buffer
      - .offset:         56
        .size:           8
        .value_kind:     by_value
      - .offset:         64
        .size:           4
        .value_kind:     by_value
      - .actual_access:  write_only
        .address_space:  global
        .offset:         72
        .size:           8
        .value_kind:     global_buffer
      - .actual_access:  write_only
        .address_space:  global
        .offset:         80
        .size:           8
        .value_kind:     global_buffer
      - .actual_access:  write_only
        .address_space:  global
        .offset:         88
        .size:           8
        .value_kind:     global_buffer
    .group_segment_fixed_size: 0
    .kernarg_segment_align: 8
    .kernarg_segment_size: 96
    .language:       OpenCL C
    .language_version:
      - 2
      - 0
    .max_flat_workgroup_size: 1024
    .name:           _ZN9rocsparseL33bsr2csr_block_per_row_8_32_kernelILj1024ELj16EiilEEv20rocsparse_direction_T3_S2_21rocsparse_index_base_PKT1_PKT2_PKS2_S2_S3_PS4_PS7_PS2_
    .private_segment_fixed_size: 0
    .sgpr_count:     22
    .sgpr_spill_count: 0
    .symbol:         _ZN9rocsparseL33bsr2csr_block_per_row_8_32_kernelILj1024ELj16EiilEEv20rocsparse_direction_T3_S2_21rocsparse_index_base_PKT1_PKT2_PKS2_S2_S3_PS4_PS7_PS2_.kd
    .uniform_work_group_size: 1
    .uses_dynamic_stack: false
    .vgpr_count:     16
    .vgpr_spill_count: 0
    .wavefront_size: 32
  - .args:
      - .offset:         0
        .size:           4
        .value_kind:     by_value
      - .offset:         8
        .size:           8
        .value_kind:     by_value
      - .offset:         16
        .size:           8
        .value_kind:     by_value
      - .offset:         24
        .size:           4
        .value_kind:     by_value
      - .actual_access:  read_only
        .address_space:  global
        .offset:         32
        .size:           8
        .value_kind:     global_buffer
      - .actual_access:  read_only
        .address_space:  global
        .offset:         40
        .size:           8
        .value_kind:     global_buffer
      - .actual_access:  read_only
        .address_space:  global
        .offset:         48
        .size:           8
        .value_kind:     global_buffer
      - .offset:         56
        .size:           8
        .value_kind:     by_value
      - .offset:         64
        .size:           4
        .value_kind:     by_value
      - .actual_access:  write_only
        .address_space:  global
        .offset:         72
        .size:           8
        .value_kind:     global_buffer
      - .actual_access:  write_only
        .address_space:  global
        .offset:         80
        .size:           8
        .value_kind:     global_buffer
      - .actual_access:  write_only
        .address_space:  global
        .offset:         88
        .size:           8
        .value_kind:     global_buffer
    .group_segment_fixed_size: 0
    .kernarg_segment_align: 8
    .kernarg_segment_size: 96
    .language:       OpenCL C
    .language_version:
      - 2
      - 0
    .max_flat_workgroup_size: 1024
    .name:           _ZN9rocsparseL33bsr2csr_block_per_row_8_32_kernelILj1024ELj32EiilEEv20rocsparse_direction_T3_S2_21rocsparse_index_base_PKT1_PKT2_PKS2_S2_S3_PS4_PS7_PS2_
    .private_segment_fixed_size: 0
    .sgpr_count:     24
    .sgpr_spill_count: 0
    .symbol:         _ZN9rocsparseL33bsr2csr_block_per_row_8_32_kernelILj1024ELj32EiilEEv20rocsparse_direction_T3_S2_21rocsparse_index_base_PKT1_PKT2_PKS2_S2_S3_PS4_PS7_PS2_.kd
    .uniform_work_group_size: 1
    .uses_dynamic_stack: false
    .vgpr_count:     13
    .vgpr_spill_count: 0
    .wavefront_size: 32
  - .args:
      - .offset:         0
        .size:           4
        .value_kind:     by_value
      - .offset:         8
        .size:           8
        .value_kind:     by_value
      - .offset:         16
        .size:           8
        .value_kind:     by_value
      - .offset:         24
        .size:           4
        .value_kind:     by_value
      - .actual_access:  read_only
        .address_space:  global
        .offset:         32
        .size:           8
        .value_kind:     global_buffer
      - .actual_access:  read_only
        .address_space:  global
        .offset:         40
        .size:           8
        .value_kind:     global_buffer
      - .actual_access:  read_only
        .address_space:  global
        .offset:         48
        .size:           8
        .value_kind:     global_buffer
      - .offset:         56
        .size:           8
        .value_kind:     by_value
      - .offset:         64
        .size:           4
        .value_kind:     by_value
      - .actual_access:  write_only
        .address_space:  global
        .offset:         72
        .size:           8
        .value_kind:     global_buffer
      - .actual_access:  write_only
        .address_space:  global
        .offset:         80
        .size:           8
        .value_kind:     global_buffer
      - .actual_access:  write_only
        .address_space:  global
        .offset:         88
        .size:           8
        .value_kind:     global_buffer
    .group_segment_fixed_size: 0
    .kernarg_segment_align: 8
    .kernarg_segment_size: 96
    .language:       OpenCL C
    .language_version:
      - 2
      - 0
    .max_flat_workgroup_size: 1024
    .name:           _ZN9rocsparseL35bsr2csr_block_per_row_33_256_kernelILj1024ELj64ELj32EiilEEv20rocsparse_direction_T4_S2_21rocsparse_index_base_PKT2_PKT3_PKS2_S2_S3_PS4_PS7_PS2_
    .private_segment_fixed_size: 0
    .sgpr_count:     30
    .sgpr_spill_count: 0
    .symbol:         _ZN9rocsparseL35bsr2csr_block_per_row_33_256_kernelILj1024ELj64ELj32EiilEEv20rocsparse_direction_T4_S2_21rocsparse_index_base_PKT2_PKT3_PKS2_S2_S3_PS4_PS7_PS2_.kd
    .uniform_work_group_size: 1
    .uses_dynamic_stack: false
    .vgpr_count:     33
    .vgpr_spill_count: 0
    .wavefront_size: 32
  - .args:
      - .offset:         0
        .size:           4
        .value_kind:     by_value
      - .offset:         8
        .size:           8
        .value_kind:     by_value
      - .offset:         16
        .size:           8
        .value_kind:     by_value
      - .offset:         24
        .size:           4
        .value_kind:     by_value
      - .actual_access:  read_only
        .address_space:  global
        .offset:         32
        .size:           8
        .value_kind:     global_buffer
      - .actual_access:  read_only
        .address_space:  global
        .offset:         40
        .size:           8
        .value_kind:     global_buffer
      - .actual_access:  read_only
        .address_space:  global
        .offset:         48
        .size:           8
        .value_kind:     global_buffer
      - .offset:         56
        .size:           8
        .value_kind:     by_value
      - .offset:         64
        .size:           4
        .value_kind:     by_value
      - .actual_access:  write_only
        .address_space:  global
        .offset:         72
        .size:           8
        .value_kind:     global_buffer
      - .actual_access:  write_only
        .address_space:  global
        .offset:         80
        .size:           8
        .value_kind:     global_buffer
      - .actual_access:  write_only
        .address_space:  global
        .offset:         88
        .size:           8
        .value_kind:     global_buffer
    .group_segment_fixed_size: 0
    .kernarg_segment_align: 8
    .kernarg_segment_size: 96
    .language:       OpenCL C
    .language_version:
      - 2
      - 0
    .max_flat_workgroup_size: 1024
    .name:           _ZN9rocsparseL35bsr2csr_block_per_row_33_256_kernelILj1024ELj128ELj32EiilEEv20rocsparse_direction_T4_S2_21rocsparse_index_base_PKT2_PKT3_PKS2_S2_S3_PS4_PS7_PS2_
    .private_segment_fixed_size: 0
    .sgpr_count:     47
    .sgpr_spill_count: 0
    .symbol:         _ZN9rocsparseL35bsr2csr_block_per_row_33_256_kernelILj1024ELj128ELj32EiilEEv20rocsparse_direction_T4_S2_21rocsparse_index_base_PKT2_PKT3_PKS2_S2_S3_PS4_PS7_PS2_.kd
    .uniform_work_group_size: 1
    .uses_dynamic_stack: false
    .vgpr_count:     59
    .vgpr_spill_count: 0
    .wavefront_size: 32
  - .args:
      - .offset:         0
        .size:           4
        .value_kind:     by_value
      - .offset:         8
        .size:           8
        .value_kind:     by_value
      - .offset:         16
        .size:           8
        .value_kind:     by_value
      - .offset:         24
        .size:           4
        .value_kind:     by_value
      - .actual_access:  read_only
        .address_space:  global
        .offset:         32
        .size:           8
        .value_kind:     global_buffer
      - .actual_access:  read_only
        .address_space:  global
        .offset:         40
        .size:           8
        .value_kind:     global_buffer
      - .actual_access:  read_only
        .address_space:  global
        .offset:         48
        .size:           8
        .value_kind:     global_buffer
      - .offset:         56
        .size:           8
        .value_kind:     by_value
      - .offset:         64
        .size:           4
        .value_kind:     by_value
      - .actual_access:  write_only
        .address_space:  global
        .offset:         72
        .size:           8
        .value_kind:     global_buffer
      - .actual_access:  write_only
        .address_space:  global
        .offset:         80
        .size:           8
        .value_kind:     global_buffer
      - .actual_access:  write_only
        .address_space:  global
        .offset:         88
        .size:           8
        .value_kind:     global_buffer
    .group_segment_fixed_size: 0
    .kernarg_segment_align: 8
    .kernarg_segment_size: 96
    .language:       OpenCL C
    .language_version:
      - 2
      - 0
    .max_flat_workgroup_size: 1024
    .name:           _ZN9rocsparseL35bsr2csr_block_per_row_33_256_kernelILj1024ELj256ELj32EiilEEv20rocsparse_direction_T4_S2_21rocsparse_index_base_PKT2_PKT3_PKS2_S2_S3_PS4_PS7_PS2_
    .private_segment_fixed_size: 0
    .sgpr_count:     97
    .sgpr_spill_count: 0
    .symbol:         _ZN9rocsparseL35bsr2csr_block_per_row_33_256_kernelILj1024ELj256ELj32EiilEEv20rocsparse_direction_T4_S2_21rocsparse_index_base_PKT2_PKT3_PKS2_S2_S3_PS4_PS7_PS2_.kd
    .uniform_work_group_size: 1
    .uses_dynamic_stack: false
    .vgpr_count:     107
    .vgpr_spill_count: 0
    .wavefront_size: 32
  - .args:
      - .offset:         0
        .size:           8
        .value_kind:     by_value
      - .offset:         8
        .size:           8
        .value_kind:     by_value
      - .offset:         16
        .size:           4
        .value_kind:     by_value
      - .actual_access:  read_only
        .address_space:  global
        .offset:         24
        .size:           8
        .value_kind:     global_buffer
      - .actual_access:  read_only
        .address_space:  global
        .offset:         32
        .size:           8
        .value_kind:     global_buffer
      - .actual_access:  read_only
        .address_space:  global
        .offset:         40
        .size:           8
        .value_kind:     global_buffer
      - .offset:         48
        .size:           4
        .value_kind:     by_value
      - .actual_access:  write_only
        .address_space:  global
        .offset:         56
        .size:           8
        .value_kind:     global_buffer
      - .actual_access:  write_only
        .address_space:  global
        .offset:         64
        .size:           8
        .value_kind:     global_buffer
      - .actual_access:  write_only
        .address_space:  global
        .offset:         72
        .size:           8
        .value_kind:     global_buffer
      - .offset:         80
        .size:           4
        .value_kind:     hidden_block_count_x
      - .offset:         84
        .size:           4
        .value_kind:     hidden_block_count_y
      - .offset:         88
        .size:           4
        .value_kind:     hidden_block_count_z
      - .offset:         92
        .size:           2
        .value_kind:     hidden_group_size_x
      - .offset:         94
        .size:           2
        .value_kind:     hidden_group_size_y
      - .offset:         96
        .size:           2
        .value_kind:     hidden_group_size_z
      - .offset:         98
        .size:           2
        .value_kind:     hidden_remainder_x
      - .offset:         100
        .size:           2
        .value_kind:     hidden_remainder_y
      - .offset:         102
        .size:           2
        .value_kind:     hidden_remainder_z
      - .offset:         120
        .size:           8
        .value_kind:     hidden_global_offset_x
      - .offset:         128
        .size:           8
        .value_kind:     hidden_global_offset_y
      - .offset:         136
        .size:           8
        .value_kind:     hidden_global_offset_z
      - .offset:         144
        .size:           2
        .value_kind:     hidden_grid_dims
    .group_segment_fixed_size: 0
    .kernarg_segment_align: 8
    .kernarg_segment_size: 336
    .language:       OpenCL C
    .language_version:
      - 2
      - 0
    .max_flat_workgroup_size: 1024
    .name:           _ZN9rocsparseL35bsr2csr_block_dim_equals_one_kernelILj1024EillEEvT2_S1_21rocsparse_index_base_PKT0_PKT1_PKS1_S2_PS3_PS6_PS1_
    .private_segment_fixed_size: 0
    .sgpr_count:     24
    .sgpr_spill_count: 0
    .symbol:         _ZN9rocsparseL35bsr2csr_block_dim_equals_one_kernelILj1024EillEEvT2_S1_21rocsparse_index_base_PKT0_PKT1_PKS1_S2_PS3_PS6_PS1_.kd
    .uniform_work_group_size: 1
    .uses_dynamic_stack: false
    .vgpr_count:     13
    .vgpr_spill_count: 0
    .wavefront_size: 32
  - .args:
      - .offset:         0
        .size:           4
        .value_kind:     by_value
      - .offset:         8
        .size:           8
        .value_kind:     by_value
      - .offset:         16
        .size:           8
        .value_kind:     by_value
      - .offset:         24
        .size:           4
        .value_kind:     by_value
      - .actual_access:  read_only
        .address_space:  global
        .offset:         32
        .size:           8
        .value_kind:     global_buffer
      - .actual_access:  read_only
        .address_space:  global
        .offset:         40
        .size:           8
        .value_kind:     global_buffer
      - .actual_access:  read_only
        .address_space:  global
        .offset:         48
        .size:           8
        .value_kind:     global_buffer
      - .offset:         56
        .size:           8
        .value_kind:     by_value
      - .offset:         64
        .size:           4
        .value_kind:     by_value
      - .actual_access:  write_only
        .address_space:  global
        .offset:         72
        .size:           8
        .value_kind:     global_buffer
      - .actual_access:  write_only
        .address_space:  global
        .offset:         80
        .size:           8
        .value_kind:     global_buffer
      - .actual_access:  write_only
        .address_space:  global
        .offset:         88
        .size:           8
        .value_kind:     global_buffer
    .group_segment_fixed_size: 0
    .kernarg_segment_align: 8
    .kernarg_segment_size: 96
    .language:       OpenCL C
    .language_version:
      - 2
      - 0
    .max_flat_workgroup_size: 256
    .name:           _ZN9rocsparseL32bsr2csr_block_per_row_2_7_kernelILj256ELj2EillEEv20rocsparse_direction_T3_S2_21rocsparse_index_base_PKT1_PKT2_PKS2_S2_S3_PS4_PS7_PS2_
    .private_segment_fixed_size: 0
    .sgpr_count:     21
    .sgpr_spill_count: 0
    .symbol:         _ZN9rocsparseL32bsr2csr_block_per_row_2_7_kernelILj256ELj2EillEEv20rocsparse_direction_T3_S2_21rocsparse_index_base_PKT1_PKT2_PKS2_S2_S3_PS4_PS7_PS2_.kd
    .uniform_work_group_size: 1
    .uses_dynamic_stack: false
    .vgpr_count:     22
    .vgpr_spill_count: 0
    .wavefront_size: 32
  - .args:
      - .offset:         0
        .size:           4
        .value_kind:     by_value
      - .offset:         8
        .size:           8
        .value_kind:     by_value
      - .offset:         16
        .size:           8
        .value_kind:     by_value
      - .offset:         24
        .size:           4
        .value_kind:     by_value
      - .actual_access:  read_only
        .address_space:  global
        .offset:         32
        .size:           8
        .value_kind:     global_buffer
      - .actual_access:  read_only
        .address_space:  global
        .offset:         40
        .size:           8
        .value_kind:     global_buffer
      - .actual_access:  read_only
        .address_space:  global
        .offset:         48
        .size:           8
        .value_kind:     global_buffer
      - .offset:         56
        .size:           8
        .value_kind:     by_value
      - .offset:         64
        .size:           4
        .value_kind:     by_value
      - .actual_access:  write_only
        .address_space:  global
        .offset:         72
        .size:           8
        .value_kind:     global_buffer
      - .actual_access:  write_only
        .address_space:  global
        .offset:         80
        .size:           8
        .value_kind:     global_buffer
      - .actual_access:  write_only
        .address_space:  global
        .offset:         88
        .size:           8
        .value_kind:     global_buffer
    .group_segment_fixed_size: 0
    .kernarg_segment_align: 8
    .kernarg_segment_size: 96
    .language:       OpenCL C
    .language_version:
      - 2
      - 0
    .max_flat_workgroup_size: 256
    .name:           _ZN9rocsparseL32bsr2csr_block_per_row_2_7_kernelILj256ELj3EillEEv20rocsparse_direction_T3_S2_21rocsparse_index_base_PKT1_PKT2_PKS2_S2_S3_PS4_PS7_PS2_
    .private_segment_fixed_size: 0
    .sgpr_count:     20
    .sgpr_spill_count: 0
    .symbol:         _ZN9rocsparseL32bsr2csr_block_per_row_2_7_kernelILj256ELj3EillEEv20rocsparse_direction_T3_S2_21rocsparse_index_base_PKT1_PKT2_PKS2_S2_S3_PS4_PS7_PS2_.kd
    .uniform_work_group_size: 1
    .uses_dynamic_stack: false
    .vgpr_count:     28
    .vgpr_spill_count: 0
    .wavefront_size: 32
  - .args:
      - .offset:         0
        .size:           4
        .value_kind:     by_value
      - .offset:         8
        .size:           8
        .value_kind:     by_value
      - .offset:         16
        .size:           8
        .value_kind:     by_value
      - .offset:         24
        .size:           4
        .value_kind:     by_value
      - .actual_access:  read_only
        .address_space:  global
        .offset:         32
        .size:           8
        .value_kind:     global_buffer
      - .actual_access:  read_only
        .address_space:  global
        .offset:         40
        .size:           8
        .value_kind:     global_buffer
      - .actual_access:  read_only
        .address_space:  global
        .offset:         48
        .size:           8
        .value_kind:     global_buffer
      - .offset:         56
        .size:           8
        .value_kind:     by_value
      - .offset:         64
        .size:           4
        .value_kind:     by_value
      - .actual_access:  write_only
        .address_space:  global
        .offset:         72
        .size:           8
        .value_kind:     global_buffer
      - .actual_access:  write_only
        .address_space:  global
        .offset:         80
        .size:           8
        .value_kind:     global_buffer
      - .actual_access:  write_only
        .address_space:  global
        .offset:         88
        .size:           8
        .value_kind:     global_buffer
    .group_segment_fixed_size: 0
    .kernarg_segment_align: 8
    .kernarg_segment_size: 96
    .language:       OpenCL C
    .language_version:
      - 2
      - 0
    .max_flat_workgroup_size: 256
    .name:           _ZN9rocsparseL32bsr2csr_block_per_row_2_7_kernelILj256ELj4EillEEv20rocsparse_direction_T3_S2_21rocsparse_index_base_PKT1_PKT2_PKS2_S2_S3_PS4_PS7_PS2_
    .private_segment_fixed_size: 0
    .sgpr_count:     20
    .sgpr_spill_count: 0
    .symbol:         _ZN9rocsparseL32bsr2csr_block_per_row_2_7_kernelILj256ELj4EillEEv20rocsparse_direction_T3_S2_21rocsparse_index_base_PKT1_PKT2_PKS2_S2_S3_PS4_PS7_PS2_.kd
    .uniform_work_group_size: 1
    .uses_dynamic_stack: false
    .vgpr_count:     30
    .vgpr_spill_count: 0
    .wavefront_size: 32
  - .args:
      - .offset:         0
        .size:           4
        .value_kind:     by_value
      - .offset:         8
        .size:           8
        .value_kind:     by_value
      - .offset:         16
        .size:           8
        .value_kind:     by_value
      - .offset:         24
        .size:           4
        .value_kind:     by_value
      - .actual_access:  read_only
        .address_space:  global
        .offset:         32
        .size:           8
        .value_kind:     global_buffer
      - .actual_access:  read_only
        .address_space:  global
        .offset:         40
        .size:           8
        .value_kind:     global_buffer
      - .actual_access:  read_only
        .address_space:  global
        .offset:         48
        .size:           8
        .value_kind:     global_buffer
      - .offset:         56
        .size:           8
        .value_kind:     by_value
      - .offset:         64
        .size:           4
        .value_kind:     by_value
      - .actual_access:  write_only
        .address_space:  global
        .offset:         72
        .size:           8
        .value_kind:     global_buffer
      - .actual_access:  write_only
        .address_space:  global
        .offset:         80
        .size:           8
        .value_kind:     global_buffer
      - .actual_access:  write_only
        .address_space:  global
        .offset:         88
        .size:           8
        .value_kind:     global_buffer
    .group_segment_fixed_size: 0
    .kernarg_segment_align: 8
    .kernarg_segment_size: 96
    .language:       OpenCL C
    .language_version:
      - 2
      - 0
    .max_flat_workgroup_size: 256
    .name:           _ZN9rocsparseL32bsr2csr_block_per_row_2_7_kernelILj256ELj5EillEEv20rocsparse_direction_T3_S2_21rocsparse_index_base_PKT1_PKT2_PKS2_S2_S3_PS4_PS7_PS2_
    .private_segment_fixed_size: 0
    .sgpr_count:     20
    .sgpr_spill_count: 0
    .symbol:         _ZN9rocsparseL32bsr2csr_block_per_row_2_7_kernelILj256ELj5EillEEv20rocsparse_direction_T3_S2_21rocsparse_index_base_PKT1_PKT2_PKS2_S2_S3_PS4_PS7_PS2_.kd
    .uniform_work_group_size: 1
    .uses_dynamic_stack: false
    .vgpr_count:     36
    .vgpr_spill_count: 0
    .wavefront_size: 32
  - .args:
      - .offset:         0
        .size:           4
        .value_kind:     by_value
      - .offset:         8
        .size:           8
        .value_kind:     by_value
      - .offset:         16
        .size:           8
        .value_kind:     by_value
      - .offset:         24
        .size:           4
        .value_kind:     by_value
      - .actual_access:  read_only
        .address_space:  global
        .offset:         32
        .size:           8
        .value_kind:     global_buffer
      - .actual_access:  read_only
        .address_space:  global
        .offset:         40
        .size:           8
        .value_kind:     global_buffer
      - .actual_access:  read_only
        .address_space:  global
        .offset:         48
        .size:           8
        .value_kind:     global_buffer
      - .offset:         56
        .size:           8
        .value_kind:     by_value
      - .offset:         64
        .size:           4
        .value_kind:     by_value
      - .actual_access:  write_only
        .address_space:  global
        .offset:         72
        .size:           8
        .value_kind:     global_buffer
      - .actual_access:  write_only
        .address_space:  global
        .offset:         80
        .size:           8
        .value_kind:     global_buffer
      - .actual_access:  write_only
        .address_space:  global
        .offset:         88
        .size:           8
        .value_kind:     global_buffer
    .group_segment_fixed_size: 0
    .kernarg_segment_align: 8
    .kernarg_segment_size: 96
    .language:       OpenCL C
    .language_version:
      - 2
      - 0
    .max_flat_workgroup_size: 256
    .name:           _ZN9rocsparseL32bsr2csr_block_per_row_2_7_kernelILj256ELj6EillEEv20rocsparse_direction_T3_S2_21rocsparse_index_base_PKT1_PKT2_PKS2_S2_S3_PS4_PS7_PS2_
    .private_segment_fixed_size: 0
    .sgpr_count:     20
    .sgpr_spill_count: 0
    .symbol:         _ZN9rocsparseL32bsr2csr_block_per_row_2_7_kernelILj256ELj6EillEEv20rocsparse_direction_T3_S2_21rocsparse_index_base_PKT1_PKT2_PKS2_S2_S3_PS4_PS7_PS2_.kd
    .uniform_work_group_size: 1
    .uses_dynamic_stack: false
    .vgpr_count:     36
    .vgpr_spill_count: 0
    .wavefront_size: 32
  - .args:
      - .offset:         0
        .size:           4
        .value_kind:     by_value
      - .offset:         8
        .size:           8
        .value_kind:     by_value
      - .offset:         16
        .size:           8
        .value_kind:     by_value
      - .offset:         24
        .size:           4
        .value_kind:     by_value
      - .actual_access:  read_only
        .address_space:  global
        .offset:         32
        .size:           8
        .value_kind:     global_buffer
      - .actual_access:  read_only
        .address_space:  global
        .offset:         40
        .size:           8
        .value_kind:     global_buffer
      - .actual_access:  read_only
        .address_space:  global
        .offset:         48
        .size:           8
        .value_kind:     global_buffer
      - .offset:         56
        .size:           8
        .value_kind:     by_value
      - .offset:         64
        .size:           4
        .value_kind:     by_value
      - .actual_access:  write_only
        .address_space:  global
        .offset:         72
        .size:           8
        .value_kind:     global_buffer
      - .actual_access:  write_only
        .address_space:  global
        .offset:         80
        .size:           8
        .value_kind:     global_buffer
      - .actual_access:  write_only
        .address_space:  global
        .offset:         88
        .size:           8
        .value_kind:     global_buffer
    .group_segment_fixed_size: 0
    .kernarg_segment_align: 8
    .kernarg_segment_size: 96
    .language:       OpenCL C
    .language_version:
      - 2
      - 0
    .max_flat_workgroup_size: 256
    .name:           _ZN9rocsparseL32bsr2csr_block_per_row_2_7_kernelILj256ELj7EillEEv20rocsparse_direction_T3_S2_21rocsparse_index_base_PKT1_PKT2_PKS2_S2_S3_PS4_PS7_PS2_
    .private_segment_fixed_size: 0
    .sgpr_count:     20
    .sgpr_spill_count: 0
    .symbol:         _ZN9rocsparseL32bsr2csr_block_per_row_2_7_kernelILj256ELj7EillEEv20rocsparse_direction_T3_S2_21rocsparse_index_base_PKT1_PKT2_PKS2_S2_S3_PS4_PS7_PS2_.kd
    .uniform_work_group_size: 1
    .uses_dynamic_stack: false
    .vgpr_count:     40
    .vgpr_spill_count: 0
    .wavefront_size: 32
  - .args:
      - .offset:         0
        .size:           4
        .value_kind:     by_value
      - .offset:         8
        .size:           8
        .value_kind:     by_value
      - .offset:         16
        .size:           8
        .value_kind:     by_value
      - .offset:         24
        .size:           4
        .value_kind:     by_value
      - .actual_access:  read_only
        .address_space:  global
        .offset:         32
        .size:           8
        .value_kind:     global_buffer
      - .actual_access:  read_only
        .address_space:  global
        .offset:         40
        .size:           8
        .value_kind:     global_buffer
      - .actual_access:  read_only
        .address_space:  global
        .offset:         48
        .size:           8
        .value_kind:     global_buffer
      - .offset:         56
        .size:           8
        .value_kind:     by_value
      - .offset:         64
        .size:           4
        .value_kind:     by_value
      - .actual_access:  write_only
        .address_space:  global
        .offset:         72
        .size:           8
        .value_kind:     global_buffer
      - .actual_access:  write_only
        .address_space:  global
        .offset:         80
        .size:           8
        .value_kind:     global_buffer
      - .actual_access:  write_only
        .address_space:  global
        .offset:         88
        .size:           8
        .value_kind:     global_buffer
    .group_segment_fixed_size: 0
    .kernarg_segment_align: 8
    .kernarg_segment_size: 96
    .language:       OpenCL C
    .language_version:
      - 2
      - 0
    .max_flat_workgroup_size: 1024
    .name:           _ZN9rocsparseL33bsr2csr_block_per_row_8_32_kernelILj1024ELj8EillEEv20rocsparse_direction_T3_S2_21rocsparse_index_base_PKT1_PKT2_PKS2_S2_S3_PS4_PS7_PS2_
    .private_segment_fixed_size: 0
    .sgpr_count:     28
    .sgpr_spill_count: 0
    .symbol:         _ZN9rocsparseL33bsr2csr_block_per_row_8_32_kernelILj1024ELj8EillEEv20rocsparse_direction_T3_S2_21rocsparse_index_base_PKT1_PKT2_PKS2_S2_S3_PS4_PS7_PS2_.kd
    .uniform_work_group_size: 1
    .uses_dynamic_stack: false
    .vgpr_count:     17
    .vgpr_spill_count: 0
    .wavefront_size: 32
  - .args:
      - .offset:         0
        .size:           4
        .value_kind:     by_value
      - .offset:         8
        .size:           8
        .value_kind:     by_value
      - .offset:         16
        .size:           8
        .value_kind:     by_value
      - .offset:         24
        .size:           4
        .value_kind:     by_value
      - .actual_access:  read_only
        .address_space:  global
        .offset:         32
        .size:           8
        .value_kind:     global_buffer
      - .actual_access:  read_only
        .address_space:  global
        .offset:         40
        .size:           8
        .value_kind:     global_buffer
      - .actual_access:  read_only
        .address_space:  global
        .offset:         48
        .size:           8
        .value_kind:     global_buffer
      - .offset:         56
        .size:           8
        .value_kind:     by_value
      - .offset:         64
        .size:           4
        .value_kind:     by_value
      - .actual_access:  write_only
        .address_space:  global
        .offset:         72
        .size:           8
        .value_kind:     global_buffer
      - .actual_access:  write_only
        .address_space:  global
        .offset:         80
        .size:           8
        .value_kind:     global_buffer
      - .actual_access:  write_only
        .address_space:  global
        .offset:         88
        .size:           8
        .value_kind:     global_buffer
    .group_segment_fixed_size: 0
    .kernarg_segment_align: 8
    .kernarg_segment_size: 96
    .language:       OpenCL C
    .language_version:
      - 2
      - 0
    .max_flat_workgroup_size: 1024
    .name:           _ZN9rocsparseL33bsr2csr_block_per_row_8_32_kernelILj1024ELj16EillEEv20rocsparse_direction_T3_S2_21rocsparse_index_base_PKT1_PKT2_PKS2_S2_S3_PS4_PS7_PS2_
    .private_segment_fixed_size: 0
    .sgpr_count:     28
    .sgpr_spill_count: 0
    .symbol:         _ZN9rocsparseL33bsr2csr_block_per_row_8_32_kernelILj1024ELj16EillEEv20rocsparse_direction_T3_S2_21rocsparse_index_base_PKT1_PKT2_PKS2_S2_S3_PS4_PS7_PS2_.kd
    .uniform_work_group_size: 1
    .uses_dynamic_stack: false
    .vgpr_count:     17
    .vgpr_spill_count: 0
    .wavefront_size: 32
  - .args:
      - .offset:         0
        .size:           4
        .value_kind:     by_value
      - .offset:         8
        .size:           8
        .value_kind:     by_value
      - .offset:         16
        .size:           8
        .value_kind:     by_value
      - .offset:         24
        .size:           4
        .value_kind:     by_value
      - .actual_access:  read_only
        .address_space:  global
        .offset:         32
        .size:           8
        .value_kind:     global_buffer
      - .actual_access:  read_only
        .address_space:  global
        .offset:         40
        .size:           8
        .value_kind:     global_buffer
      - .actual_access:  read_only
        .address_space:  global
        .offset:         48
        .size:           8
        .value_kind:     global_buffer
      - .offset:         56
        .size:           8
        .value_kind:     by_value
      - .offset:         64
        .size:           4
        .value_kind:     by_value
      - .actual_access:  write_only
        .address_space:  global
        .offset:         72
        .size:           8
        .value_kind:     global_buffer
      - .actual_access:  write_only
        .address_space:  global
        .offset:         80
        .size:           8
        .value_kind:     global_buffer
      - .actual_access:  write_only
        .address_space:  global
        .offset:         88
        .size:           8
        .value_kind:     global_buffer
    .group_segment_fixed_size: 0
    .kernarg_segment_align: 8
    .kernarg_segment_size: 96
    .language:       OpenCL C
    .language_version:
      - 2
      - 0
    .max_flat_workgroup_size: 1024
    .name:           _ZN9rocsparseL33bsr2csr_block_per_row_8_32_kernelILj1024ELj32EillEEv20rocsparse_direction_T3_S2_21rocsparse_index_base_PKT1_PKT2_PKS2_S2_S3_PS4_PS7_PS2_
    .private_segment_fixed_size: 0
    .sgpr_count:     32
    .sgpr_spill_count: 0
    .symbol:         _ZN9rocsparseL33bsr2csr_block_per_row_8_32_kernelILj1024ELj32EillEEv20rocsparse_direction_T3_S2_21rocsparse_index_base_PKT1_PKT2_PKS2_S2_S3_PS4_PS7_PS2_.kd
    .uniform_work_group_size: 1
    .uses_dynamic_stack: false
    .vgpr_count:     12
    .vgpr_spill_count: 0
    .wavefront_size: 32
  - .args:
      - .offset:         0
        .size:           4
        .value_kind:     by_value
      - .offset:         8
        .size:           8
        .value_kind:     by_value
      - .offset:         16
        .size:           8
        .value_kind:     by_value
      - .offset:         24
        .size:           4
        .value_kind:     by_value
      - .actual_access:  read_only
        .address_space:  global
        .offset:         32
        .size:           8
        .value_kind:     global_buffer
      - .actual_access:  read_only
        .address_space:  global
        .offset:         40
        .size:           8
        .value_kind:     global_buffer
      - .actual_access:  read_only
        .address_space:  global
        .offset:         48
        .size:           8
        .value_kind:     global_buffer
      - .offset:         56
        .size:           8
        .value_kind:     by_value
      - .offset:         64
        .size:           4
        .value_kind:     by_value
      - .actual_access:  write_only
        .address_space:  global
        .offset:         72
        .size:           8
        .value_kind:     global_buffer
      - .actual_access:  write_only
        .address_space:  global
        .offset:         80
        .size:           8
        .value_kind:     global_buffer
      - .actual_access:  write_only
        .address_space:  global
        .offset:         88
        .size:           8
        .value_kind:     global_buffer
    .group_segment_fixed_size: 0
    .kernarg_segment_align: 8
    .kernarg_segment_size: 96
    .language:       OpenCL C
    .language_version:
      - 2
      - 0
    .max_flat_workgroup_size: 1024
    .name:           _ZN9rocsparseL35bsr2csr_block_per_row_33_256_kernelILj1024ELj64ELj32EillEEv20rocsparse_direction_T4_S2_21rocsparse_index_base_PKT2_PKT3_PKS2_S2_S3_PS4_PS7_PS2_
    .private_segment_fixed_size: 0
    .sgpr_count:     32
    .sgpr_spill_count: 0
    .symbol:         _ZN9rocsparseL35bsr2csr_block_per_row_33_256_kernelILj1024ELj64ELj32EillEEv20rocsparse_direction_T4_S2_21rocsparse_index_base_PKT2_PKT3_PKS2_S2_S3_PS4_PS7_PS2_.kd
    .uniform_work_group_size: 1
    .uses_dynamic_stack: false
    .vgpr_count:     38
    .vgpr_spill_count: 0
    .wavefront_size: 32
  - .args:
      - .offset:         0
        .size:           4
        .value_kind:     by_value
      - .offset:         8
        .size:           8
        .value_kind:     by_value
      - .offset:         16
        .size:           8
        .value_kind:     by_value
      - .offset:         24
        .size:           4
        .value_kind:     by_value
      - .actual_access:  read_only
        .address_space:  global
        .offset:         32
        .size:           8
        .value_kind:     global_buffer
      - .actual_access:  read_only
        .address_space:  global
        .offset:         40
        .size:           8
        .value_kind:     global_buffer
      - .actual_access:  read_only
        .address_space:  global
        .offset:         48
        .size:           8
        .value_kind:     global_buffer
      - .offset:         56
        .size:           8
        .value_kind:     by_value
      - .offset:         64
        .size:           4
        .value_kind:     by_value
      - .actual_access:  write_only
        .address_space:  global
        .offset:         72
        .size:           8
        .value_kind:     global_buffer
      - .actual_access:  write_only
        .address_space:  global
        .offset:         80
        .size:           8
        .value_kind:     global_buffer
      - .actual_access:  write_only
        .address_space:  global
        .offset:         88
        .size:           8
        .value_kind:     global_buffer
    .group_segment_fixed_size: 0
    .kernarg_segment_align: 8
    .kernarg_segment_size: 96
    .language:       OpenCL C
    .language_version:
      - 2
      - 0
    .max_flat_workgroup_size: 1024
    .name:           _ZN9rocsparseL35bsr2csr_block_per_row_33_256_kernelILj1024ELj128ELj32EillEEv20rocsparse_direction_T4_S2_21rocsparse_index_base_PKT2_PKT3_PKS2_S2_S3_PS4_PS7_PS2_
    .private_segment_fixed_size: 0
    .sgpr_count:     48
    .sgpr_spill_count: 0
    .symbol:         _ZN9rocsparseL35bsr2csr_block_per_row_33_256_kernelILj1024ELj128ELj32EillEEv20rocsparse_direction_T4_S2_21rocsparse_index_base_PKT2_PKT3_PKS2_S2_S3_PS4_PS7_PS2_.kd
    .uniform_work_group_size: 1
    .uses_dynamic_stack: false
    .vgpr_count:     70
    .vgpr_spill_count: 0
    .wavefront_size: 32
  - .args:
      - .offset:         0
        .size:           4
        .value_kind:     by_value
      - .offset:         8
        .size:           8
        .value_kind:     by_value
      - .offset:         16
        .size:           8
        .value_kind:     by_value
      - .offset:         24
        .size:           4
        .value_kind:     by_value
      - .actual_access:  read_only
        .address_space:  global
        .offset:         32
        .size:           8
        .value_kind:     global_buffer
      - .actual_access:  read_only
        .address_space:  global
        .offset:         40
        .size:           8
        .value_kind:     global_buffer
      - .actual_access:  read_only
        .address_space:  global
        .offset:         48
        .size:           8
        .value_kind:     global_buffer
      - .offset:         56
        .size:           8
        .value_kind:     by_value
      - .offset:         64
        .size:           4
        .value_kind:     by_value
      - .actual_access:  write_only
        .address_space:  global
        .offset:         72
        .size:           8
        .value_kind:     global_buffer
      - .actual_access:  write_only
        .address_space:  global
        .offset:         80
        .size:           8
        .value_kind:     global_buffer
      - .actual_access:  write_only
        .address_space:  global
        .offset:         88
        .size:           8
        .value_kind:     global_buffer
    .group_segment_fixed_size: 0
    .kernarg_segment_align: 8
    .kernarg_segment_size: 96
    .language:       OpenCL C
    .language_version:
      - 2
      - 0
    .max_flat_workgroup_size: 1024
    .name:           _ZN9rocsparseL35bsr2csr_block_per_row_33_256_kernelILj1024ELj256ELj32EillEEv20rocsparse_direction_T4_S2_21rocsparse_index_base_PKT2_PKT3_PKS2_S2_S3_PS4_PS7_PS2_
    .private_segment_fixed_size: 0
    .sgpr_count:     102
    .sgpr_spill_count: 0
    .symbol:         _ZN9rocsparseL35bsr2csr_block_per_row_33_256_kernelILj1024ELj256ELj32EillEEv20rocsparse_direction_T4_S2_21rocsparse_index_base_PKT2_PKT3_PKS2_S2_S3_PS4_PS7_PS2_.kd
    .uniform_work_group_size: 1
    .uses_dynamic_stack: false
    .vgpr_count:     94
    .vgpr_spill_count: 0
    .wavefront_size: 32
  - .args:
      - .offset:         0
        .size:           4
        .value_kind:     by_value
      - .offset:         4
        .size:           4
        .value_kind:     by_value
      - .offset:         8
        .size:           4
        .value_kind:     by_value
      - .actual_access:  read_only
        .address_space:  global
        .offset:         16
        .size:           8
        .value_kind:     global_buffer
      - .actual_access:  read_only
        .address_space:  global
        .offset:         24
        .size:           8
        .value_kind:     global_buffer
      - .actual_access:  read_only
        .address_space:  global
        .offset:         32
        .size:           8
        .value_kind:     global_buffer
      - .offset:         40
        .size:           4
        .value_kind:     by_value
      - .actual_access:  write_only
        .address_space:  global
        .offset:         48
        .size:           8
        .value_kind:     global_buffer
      - .actual_access:  write_only
        .address_space:  global
        .offset:         56
        .size:           8
        .value_kind:     global_buffer
      - .actual_access:  write_only
        .address_space:  global
        .offset:         64
        .size:           8
        .value_kind:     global_buffer
      - .offset:         72
        .size:           4
        .value_kind:     hidden_block_count_x
      - .offset:         76
        .size:           4
        .value_kind:     hidden_block_count_y
      - .offset:         80
        .size:           4
        .value_kind:     hidden_block_count_z
      - .offset:         84
        .size:           2
        .value_kind:     hidden_group_size_x
      - .offset:         86
        .size:           2
        .value_kind:     hidden_group_size_y
      - .offset:         88
        .size:           2
        .value_kind:     hidden_group_size_z
      - .offset:         90
        .size:           2
        .value_kind:     hidden_remainder_x
      - .offset:         92
        .size:           2
        .value_kind:     hidden_remainder_y
      - .offset:         94
        .size:           2
        .value_kind:     hidden_remainder_z
      - .offset:         112
        .size:           8
        .value_kind:     hidden_global_offset_x
      - .offset:         120
        .size:           8
        .value_kind:     hidden_global_offset_y
      - .offset:         128
        .size:           8
        .value_kind:     hidden_global_offset_z
      - .offset:         136
        .size:           2
        .value_kind:     hidden_grid_dims
    .group_segment_fixed_size: 0
    .kernarg_segment_align: 8
    .kernarg_segment_size: 328
    .language:       OpenCL C
    .language_version:
      - 2
      - 0
    .max_flat_workgroup_size: 1024
    .name:           _ZN9rocsparseL35bsr2csr_block_dim_equals_one_kernelILj1024EliiEEvT2_S1_21rocsparse_index_base_PKT0_PKT1_PKS1_S2_PS3_PS6_PS1_
    .private_segment_fixed_size: 0
    .sgpr_count:     23
    .sgpr_spill_count: 0
    .symbol:         _ZN9rocsparseL35bsr2csr_block_dim_equals_one_kernelILj1024EliiEEvT2_S1_21rocsparse_index_base_PKT0_PKT1_PKS1_S2_PS3_PS6_PS1_.kd
    .uniform_work_group_size: 1
    .uses_dynamic_stack: false
    .vgpr_count:     4
    .vgpr_spill_count: 0
    .wavefront_size: 32
  - .args:
      - .offset:         0
        .size:           4
        .value_kind:     by_value
      - .offset:         4
        .size:           4
        .value_kind:     by_value
      - .offset:         8
        .size:           4
        .value_kind:     by_value
      - .offset:         12
        .size:           4
        .value_kind:     by_value
      - .actual_access:  read_only
        .address_space:  global
        .offset:         16
        .size:           8
        .value_kind:     global_buffer
      - .actual_access:  read_only
        .address_space:  global
        .offset:         24
        .size:           8
        .value_kind:     global_buffer
      - .actual_access:  read_only
        .address_space:  global
        .offset:         32
        .size:           8
        .value_kind:     global_buffer
      - .offset:         40
        .size:           4
        .value_kind:     by_value
      - .offset:         44
        .size:           4
        .value_kind:     by_value
      - .actual_access:  write_only
        .address_space:  global
        .offset:         48
        .size:           8
        .value_kind:     global_buffer
      - .actual_access:  write_only
        .address_space:  global
        .offset:         56
        .size:           8
        .value_kind:     global_buffer
      - .actual_access:  write_only
        .address_space:  global
        .offset:         64
        .size:           8
        .value_kind:     global_buffer
    .group_segment_fixed_size: 0
    .kernarg_segment_align: 8
    .kernarg_segment_size: 72
    .language:       OpenCL C
    .language_version:
      - 2
      - 0
    .max_flat_workgroup_size: 256
    .name:           _ZN9rocsparseL32bsr2csr_block_per_row_2_7_kernelILj256ELj2EliiEEv20rocsparse_direction_T3_S2_21rocsparse_index_base_PKT1_PKT2_PKS2_S2_S3_PS4_PS7_PS2_
    .private_segment_fixed_size: 0
    .sgpr_count:     17
    .sgpr_spill_count: 0
    .symbol:         _ZN9rocsparseL32bsr2csr_block_per_row_2_7_kernelILj256ELj2EliiEEv20rocsparse_direction_T3_S2_21rocsparse_index_base_PKT1_PKT2_PKS2_S2_S3_PS4_PS7_PS2_.kd
    .uniform_work_group_size: 1
    .uses_dynamic_stack: false
    .vgpr_count:     16
    .vgpr_spill_count: 0
    .wavefront_size: 32
  - .args:
      - .offset:         0
        .size:           4
        .value_kind:     by_value
      - .offset:         4
        .size:           4
        .value_kind:     by_value
      - .offset:         8
        .size:           4
        .value_kind:     by_value
      - .offset:         12
        .size:           4
        .value_kind:     by_value
      - .actual_access:  read_only
        .address_space:  global
        .offset:         16
        .size:           8
        .value_kind:     global_buffer
      - .actual_access:  read_only
        .address_space:  global
        .offset:         24
        .size:           8
        .value_kind:     global_buffer
      - .actual_access:  read_only
        .address_space:  global
        .offset:         32
        .size:           8
        .value_kind:     global_buffer
      - .offset:         40
        .size:           4
        .value_kind:     by_value
      - .offset:         44
        .size:           4
        .value_kind:     by_value
      - .actual_access:  write_only
        .address_space:  global
        .offset:         48
        .size:           8
        .value_kind:     global_buffer
      - .actual_access:  write_only
        .address_space:  global
        .offset:         56
        .size:           8
        .value_kind:     global_buffer
      - .actual_access:  write_only
        .address_space:  global
        .offset:         64
        .size:           8
        .value_kind:     global_buffer
    .group_segment_fixed_size: 0
    .kernarg_segment_align: 8
    .kernarg_segment_size: 72
    .language:       OpenCL C
    .language_version:
      - 2
      - 0
    .max_flat_workgroup_size: 256
    .name:           _ZN9rocsparseL32bsr2csr_block_per_row_2_7_kernelILj256ELj3EliiEEv20rocsparse_direction_T3_S2_21rocsparse_index_base_PKT1_PKT2_PKS2_S2_S3_PS4_PS7_PS2_
    .private_segment_fixed_size: 0
    .sgpr_count:     17
    .sgpr_spill_count: 0
    .symbol:         _ZN9rocsparseL32bsr2csr_block_per_row_2_7_kernelILj256ELj3EliiEEv20rocsparse_direction_T3_S2_21rocsparse_index_base_PKT1_PKT2_PKS2_S2_S3_PS4_PS7_PS2_.kd
    .uniform_work_group_size: 1
    .uses_dynamic_stack: false
    .vgpr_count:     18
    .vgpr_spill_count: 0
    .wavefront_size: 32
  - .args:
      - .offset:         0
        .size:           4
        .value_kind:     by_value
      - .offset:         4
        .size:           4
        .value_kind:     by_value
      - .offset:         8
        .size:           4
        .value_kind:     by_value
      - .offset:         12
        .size:           4
        .value_kind:     by_value
      - .actual_access:  read_only
        .address_space:  global
        .offset:         16
        .size:           8
        .value_kind:     global_buffer
      - .actual_access:  read_only
        .address_space:  global
        .offset:         24
        .size:           8
        .value_kind:     global_buffer
      - .actual_access:  read_only
        .address_space:  global
        .offset:         32
        .size:           8
        .value_kind:     global_buffer
      - .offset:         40
        .size:           4
        .value_kind:     by_value
      - .offset:         44
        .size:           4
        .value_kind:     by_value
      - .actual_access:  write_only
        .address_space:  global
        .offset:         48
        .size:           8
        .value_kind:     global_buffer
      - .actual_access:  write_only
        .address_space:  global
        .offset:         56
        .size:           8
        .value_kind:     global_buffer
      - .actual_access:  write_only
        .address_space:  global
        .offset:         64
        .size:           8
        .value_kind:     global_buffer
    .group_segment_fixed_size: 0
    .kernarg_segment_align: 8
    .kernarg_segment_size: 72
    .language:       OpenCL C
    .language_version:
      - 2
      - 0
    .max_flat_workgroup_size: 256
    .name:           _ZN9rocsparseL32bsr2csr_block_per_row_2_7_kernelILj256ELj4EliiEEv20rocsparse_direction_T3_S2_21rocsparse_index_base_PKT1_PKT2_PKS2_S2_S3_PS4_PS7_PS2_
    .private_segment_fixed_size: 0
    .sgpr_count:     17
    .sgpr_spill_count: 0
    .symbol:         _ZN9rocsparseL32bsr2csr_block_per_row_2_7_kernelILj256ELj4EliiEEv20rocsparse_direction_T3_S2_21rocsparse_index_base_PKT1_PKT2_PKS2_S2_S3_PS4_PS7_PS2_.kd
    .uniform_work_group_size: 1
    .uses_dynamic_stack: false
    .vgpr_count:     22
    .vgpr_spill_count: 0
    .wavefront_size: 32
  - .args:
      - .offset:         0
        .size:           4
        .value_kind:     by_value
      - .offset:         4
        .size:           4
        .value_kind:     by_value
      - .offset:         8
        .size:           4
        .value_kind:     by_value
      - .offset:         12
        .size:           4
        .value_kind:     by_value
      - .actual_access:  read_only
        .address_space:  global
        .offset:         16
        .size:           8
        .value_kind:     global_buffer
      - .actual_access:  read_only
        .address_space:  global
        .offset:         24
        .size:           8
        .value_kind:     global_buffer
      - .actual_access:  read_only
        .address_space:  global
        .offset:         32
        .size:           8
        .value_kind:     global_buffer
      - .offset:         40
        .size:           4
        .value_kind:     by_value
      - .offset:         44
        .size:           4
        .value_kind:     by_value
      - .actual_access:  write_only
        .address_space:  global
        .offset:         48
        .size:           8
        .value_kind:     global_buffer
      - .actual_access:  write_only
        .address_space:  global
        .offset:         56
        .size:           8
        .value_kind:     global_buffer
      - .actual_access:  write_only
        .address_space:  global
        .offset:         64
        .size:           8
        .value_kind:     global_buffer
    .group_segment_fixed_size: 0
    .kernarg_segment_align: 8
    .kernarg_segment_size: 72
    .language:       OpenCL C
    .language_version:
      - 2
      - 0
    .max_flat_workgroup_size: 256
    .name:           _ZN9rocsparseL32bsr2csr_block_per_row_2_7_kernelILj256ELj5EliiEEv20rocsparse_direction_T3_S2_21rocsparse_index_base_PKT1_PKT2_PKS2_S2_S3_PS4_PS7_PS2_
    .private_segment_fixed_size: 0
    .sgpr_count:     17
    .sgpr_spill_count: 0
    .symbol:         _ZN9rocsparseL32bsr2csr_block_per_row_2_7_kernelILj256ELj5EliiEEv20rocsparse_direction_T3_S2_21rocsparse_index_base_PKT1_PKT2_PKS2_S2_S3_PS4_PS7_PS2_.kd
    .uniform_work_group_size: 1
    .uses_dynamic_stack: false
    .vgpr_count:     24
    .vgpr_spill_count: 0
    .wavefront_size: 32
  - .args:
      - .offset:         0
        .size:           4
        .value_kind:     by_value
      - .offset:         4
        .size:           4
        .value_kind:     by_value
      - .offset:         8
        .size:           4
        .value_kind:     by_value
      - .offset:         12
        .size:           4
        .value_kind:     by_value
      - .actual_access:  read_only
        .address_space:  global
        .offset:         16
        .size:           8
        .value_kind:     global_buffer
      - .actual_access:  read_only
        .address_space:  global
        .offset:         24
        .size:           8
        .value_kind:     global_buffer
      - .actual_access:  read_only
        .address_space:  global
        .offset:         32
        .size:           8
        .value_kind:     global_buffer
      - .offset:         40
        .size:           4
        .value_kind:     by_value
      - .offset:         44
        .size:           4
        .value_kind:     by_value
      - .actual_access:  write_only
        .address_space:  global
        .offset:         48
        .size:           8
        .value_kind:     global_buffer
      - .actual_access:  write_only
        .address_space:  global
        .offset:         56
        .size:           8
        .value_kind:     global_buffer
      - .actual_access:  write_only
        .address_space:  global
        .offset:         64
        .size:           8
        .value_kind:     global_buffer
    .group_segment_fixed_size: 0
    .kernarg_segment_align: 8
    .kernarg_segment_size: 72
    .language:       OpenCL C
    .language_version:
      - 2
      - 0
    .max_flat_workgroup_size: 256
    .name:           _ZN9rocsparseL32bsr2csr_block_per_row_2_7_kernelILj256ELj6EliiEEv20rocsparse_direction_T3_S2_21rocsparse_index_base_PKT1_PKT2_PKS2_S2_S3_PS4_PS7_PS2_
    .private_segment_fixed_size: 0
    .sgpr_count:     17
    .sgpr_spill_count: 0
    .symbol:         _ZN9rocsparseL32bsr2csr_block_per_row_2_7_kernelILj256ELj6EliiEEv20rocsparse_direction_T3_S2_21rocsparse_index_base_PKT1_PKT2_PKS2_S2_S3_PS4_PS7_PS2_.kd
    .uniform_work_group_size: 1
    .uses_dynamic_stack: false
    .vgpr_count:     28
    .vgpr_spill_count: 0
    .wavefront_size: 32
  - .args:
      - .offset:         0
        .size:           4
        .value_kind:     by_value
      - .offset:         4
        .size:           4
        .value_kind:     by_value
      - .offset:         8
        .size:           4
        .value_kind:     by_value
      - .offset:         12
        .size:           4
        .value_kind:     by_value
      - .actual_access:  read_only
        .address_space:  global
        .offset:         16
        .size:           8
        .value_kind:     global_buffer
      - .actual_access:  read_only
        .address_space:  global
        .offset:         24
        .size:           8
        .value_kind:     global_buffer
      - .actual_access:  read_only
        .address_space:  global
        .offset:         32
        .size:           8
        .value_kind:     global_buffer
      - .offset:         40
        .size:           4
        .value_kind:     by_value
      - .offset:         44
        .size:           4
        .value_kind:     by_value
      - .actual_access:  write_only
        .address_space:  global
        .offset:         48
        .size:           8
        .value_kind:     global_buffer
      - .actual_access:  write_only
        .address_space:  global
        .offset:         56
        .size:           8
        .value_kind:     global_buffer
      - .actual_access:  write_only
        .address_space:  global
        .offset:         64
        .size:           8
        .value_kind:     global_buffer
    .group_segment_fixed_size: 0
    .kernarg_segment_align: 8
    .kernarg_segment_size: 72
    .language:       OpenCL C
    .language_version:
      - 2
      - 0
    .max_flat_workgroup_size: 256
    .name:           _ZN9rocsparseL32bsr2csr_block_per_row_2_7_kernelILj256ELj7EliiEEv20rocsparse_direction_T3_S2_21rocsparse_index_base_PKT1_PKT2_PKS2_S2_S3_PS4_PS7_PS2_
    .private_segment_fixed_size: 0
    .sgpr_count:     17
    .sgpr_spill_count: 0
    .symbol:         _ZN9rocsparseL32bsr2csr_block_per_row_2_7_kernelILj256ELj7EliiEEv20rocsparse_direction_T3_S2_21rocsparse_index_base_PKT1_PKT2_PKS2_S2_S3_PS4_PS7_PS2_.kd
    .uniform_work_group_size: 1
    .uses_dynamic_stack: false
    .vgpr_count:     30
    .vgpr_spill_count: 0
    .wavefront_size: 32
  - .args:
      - .offset:         0
        .size:           4
        .value_kind:     by_value
      - .offset:         4
        .size:           4
        .value_kind:     by_value
      - .offset:         8
        .size:           4
        .value_kind:     by_value
      - .offset:         12
        .size:           4
        .value_kind:     by_value
      - .actual_access:  read_only
        .address_space:  global
        .offset:         16
        .size:           8
        .value_kind:     global_buffer
      - .actual_access:  read_only
        .address_space:  global
        .offset:         24
        .size:           8
        .value_kind:     global_buffer
      - .actual_access:  read_only
        .address_space:  global
        .offset:         32
        .size:           8
        .value_kind:     global_buffer
      - .offset:         40
        .size:           4
        .value_kind:     by_value
      - .offset:         44
        .size:           4
        .value_kind:     by_value
      - .actual_access:  write_only
        .address_space:  global
        .offset:         48
        .size:           8
        .value_kind:     global_buffer
      - .actual_access:  write_only
        .address_space:  global
        .offset:         56
        .size:           8
        .value_kind:     global_buffer
      - .actual_access:  write_only
        .address_space:  global
        .offset:         64
        .size:           8
        .value_kind:     global_buffer
    .group_segment_fixed_size: 0
    .kernarg_segment_align: 8
    .kernarg_segment_size: 72
    .language:       OpenCL C
    .language_version:
      - 2
      - 0
    .max_flat_workgroup_size: 1024
    .name:           _ZN9rocsparseL33bsr2csr_block_per_row_8_32_kernelILj1024ELj8EliiEEv20rocsparse_direction_T3_S2_21rocsparse_index_base_PKT1_PKT2_PKS2_S2_S3_PS4_PS7_PS2_
    .private_segment_fixed_size: 0
    .sgpr_count:     17
    .sgpr_spill_count: 0
    .symbol:         _ZN9rocsparseL33bsr2csr_block_per_row_8_32_kernelILj1024ELj8EliiEEv20rocsparse_direction_T3_S2_21rocsparse_index_base_PKT1_PKT2_PKS2_S2_S3_PS4_PS7_PS2_.kd
    .uniform_work_group_size: 1
    .uses_dynamic_stack: false
    .vgpr_count:     7
    .vgpr_spill_count: 0
    .wavefront_size: 32
  - .args:
      - .offset:         0
        .size:           4
        .value_kind:     by_value
      - .offset:         4
        .size:           4
        .value_kind:     by_value
      - .offset:         8
        .size:           4
        .value_kind:     by_value
      - .offset:         12
        .size:           4
        .value_kind:     by_value
      - .actual_access:  read_only
        .address_space:  global
        .offset:         16
        .size:           8
        .value_kind:     global_buffer
      - .actual_access:  read_only
        .address_space:  global
        .offset:         24
        .size:           8
        .value_kind:     global_buffer
      - .actual_access:  read_only
        .address_space:  global
        .offset:         32
        .size:           8
        .value_kind:     global_buffer
      - .offset:         40
        .size:           4
        .value_kind:     by_value
      - .offset:         44
        .size:           4
        .value_kind:     by_value
      - .actual_access:  write_only
        .address_space:  global
        .offset:         48
        .size:           8
        .value_kind:     global_buffer
      - .actual_access:  write_only
        .address_space:  global
        .offset:         56
        .size:           8
        .value_kind:     global_buffer
      - .actual_access:  write_only
        .address_space:  global
        .offset:         64
        .size:           8
        .value_kind:     global_buffer
    .group_segment_fixed_size: 0
    .kernarg_segment_align: 8
    .kernarg_segment_size: 72
    .language:       OpenCL C
    .language_version:
      - 2
      - 0
    .max_flat_workgroup_size: 1024
    .name:           _ZN9rocsparseL33bsr2csr_block_per_row_8_32_kernelILj1024ELj16EliiEEv20rocsparse_direction_T3_S2_21rocsparse_index_base_PKT1_PKT2_PKS2_S2_S3_PS4_PS7_PS2_
    .private_segment_fixed_size: 0
    .sgpr_count:     17
    .sgpr_spill_count: 0
    .symbol:         _ZN9rocsparseL33bsr2csr_block_per_row_8_32_kernelILj1024ELj16EliiEEv20rocsparse_direction_T3_S2_21rocsparse_index_base_PKT1_PKT2_PKS2_S2_S3_PS4_PS7_PS2_.kd
    .uniform_work_group_size: 1
    .uses_dynamic_stack: false
    .vgpr_count:     7
    .vgpr_spill_count: 0
    .wavefront_size: 32
  - .args:
      - .offset:         0
        .size:           4
        .value_kind:     by_value
      - .offset:         4
        .size:           4
        .value_kind:     by_value
      - .offset:         8
        .size:           4
        .value_kind:     by_value
      - .offset:         12
        .size:           4
        .value_kind:     by_value
      - .actual_access:  read_only
        .address_space:  global
        .offset:         16
        .size:           8
        .value_kind:     global_buffer
      - .actual_access:  read_only
        .address_space:  global
        .offset:         24
        .size:           8
        .value_kind:     global_buffer
      - .actual_access:  read_only
        .address_space:  global
        .offset:         32
        .size:           8
        .value_kind:     global_buffer
      - .offset:         40
        .size:           4
        .value_kind:     by_value
      - .offset:         44
        .size:           4
        .value_kind:     by_value
      - .actual_access:  write_only
        .address_space:  global
        .offset:         48
        .size:           8
        .value_kind:     global_buffer
      - .actual_access:  write_only
        .address_space:  global
        .offset:         56
        .size:           8
        .value_kind:     global_buffer
      - .actual_access:  write_only
        .address_space:  global
        .offset:         64
        .size:           8
        .value_kind:     global_buffer
    .group_segment_fixed_size: 0
    .kernarg_segment_align: 8
    .kernarg_segment_size: 72
    .language:       OpenCL C
    .language_version:
      - 2
      - 0
    .max_flat_workgroup_size: 1024
    .name:           _ZN9rocsparseL33bsr2csr_block_per_row_8_32_kernelILj1024ELj32EliiEEv20rocsparse_direction_T3_S2_21rocsparse_index_base_PKT1_PKT2_PKS2_S2_S3_PS4_PS7_PS2_
    .private_segment_fixed_size: 0
    .sgpr_count:     20
    .sgpr_spill_count: 0
    .symbol:         _ZN9rocsparseL33bsr2csr_block_per_row_8_32_kernelILj1024ELj32EliiEEv20rocsparse_direction_T3_S2_21rocsparse_index_base_PKT1_PKT2_PKS2_S2_S3_PS4_PS7_PS2_.kd
    .uniform_work_group_size: 1
    .uses_dynamic_stack: false
    .vgpr_count:     6
    .vgpr_spill_count: 0
    .wavefront_size: 32
  - .args:
      - .offset:         0
        .size:           4
        .value_kind:     by_value
      - .offset:         4
        .size:           4
        .value_kind:     by_value
      - .offset:         8
        .size:           4
        .value_kind:     by_value
      - .offset:         12
        .size:           4
        .value_kind:     by_value
      - .actual_access:  read_only
        .address_space:  global
        .offset:         16
        .size:           8
        .value_kind:     global_buffer
      - .actual_access:  read_only
        .address_space:  global
        .offset:         24
        .size:           8
        .value_kind:     global_buffer
      - .actual_access:  read_only
        .address_space:  global
        .offset:         32
        .size:           8
        .value_kind:     global_buffer
      - .offset:         40
        .size:           4
        .value_kind:     by_value
      - .offset:         44
        .size:           4
        .value_kind:     by_value
      - .actual_access:  write_only
        .address_space:  global
        .offset:         48
        .size:           8
        .value_kind:     global_buffer
      - .actual_access:  write_only
        .address_space:  global
        .offset:         56
        .size:           8
        .value_kind:     global_buffer
      - .actual_access:  write_only
        .address_space:  global
        .offset:         64
        .size:           8
        .value_kind:     global_buffer
    .group_segment_fixed_size: 0
    .kernarg_segment_align: 8
    .kernarg_segment_size: 72
    .language:       OpenCL C
    .language_version:
      - 2
      - 0
    .max_flat_workgroup_size: 1024
    .name:           _ZN9rocsparseL35bsr2csr_block_per_row_33_256_kernelILj1024ELj64ELj32EliiEEv20rocsparse_direction_T4_S2_21rocsparse_index_base_PKT2_PKT3_PKS2_S2_S3_PS4_PS7_PS2_
    .private_segment_fixed_size: 0
    .sgpr_count:     26
    .sgpr_spill_count: 0
    .symbol:         _ZN9rocsparseL35bsr2csr_block_per_row_33_256_kernelILj1024ELj64ELj32EliiEEv20rocsparse_direction_T4_S2_21rocsparse_index_base_PKT2_PKT3_PKS2_S2_S3_PS4_PS7_PS2_.kd
    .uniform_work_group_size: 1
    .uses_dynamic_stack: false
    .vgpr_count:     16
    .vgpr_spill_count: 0
    .wavefront_size: 32
  - .args:
      - .offset:         0
        .size:           4
        .value_kind:     by_value
      - .offset:         4
        .size:           4
        .value_kind:     by_value
      - .offset:         8
        .size:           4
        .value_kind:     by_value
      - .offset:         12
        .size:           4
        .value_kind:     by_value
      - .actual_access:  read_only
        .address_space:  global
        .offset:         16
        .size:           8
        .value_kind:     global_buffer
      - .actual_access:  read_only
        .address_space:  global
        .offset:         24
        .size:           8
        .value_kind:     global_buffer
      - .actual_access:  read_only
        .address_space:  global
        .offset:         32
        .size:           8
        .value_kind:     global_buffer
      - .offset:         40
        .size:           4
        .value_kind:     by_value
      - .offset:         44
        .size:           4
        .value_kind:     by_value
      - .actual_access:  write_only
        .address_space:  global
        .offset:         48
        .size:           8
        .value_kind:     global_buffer
      - .actual_access:  write_only
        .address_space:  global
        .offset:         56
        .size:           8
        .value_kind:     global_buffer
      - .actual_access:  write_only
        .address_space:  global
        .offset:         64
        .size:           8
        .value_kind:     global_buffer
    .group_segment_fixed_size: 0
    .kernarg_segment_align: 8
    .kernarg_segment_size: 72
    .language:       OpenCL C
    .language_version:
      - 2
      - 0
    .max_flat_workgroup_size: 1024
    .name:           _ZN9rocsparseL35bsr2csr_block_per_row_33_256_kernelILj1024ELj128ELj32EliiEEv20rocsparse_direction_T4_S2_21rocsparse_index_base_PKT2_PKT3_PKS2_S2_S3_PS4_PS7_PS2_
    .private_segment_fixed_size: 0
    .sgpr_count:     38
    .sgpr_spill_count: 0
    .symbol:         _ZN9rocsparseL35bsr2csr_block_per_row_33_256_kernelILj1024ELj128ELj32EliiEEv20rocsparse_direction_T4_S2_21rocsparse_index_base_PKT2_PKT3_PKS2_S2_S3_PS4_PS7_PS2_.kd
    .uniform_work_group_size: 1
    .uses_dynamic_stack: false
    .vgpr_count:     27
    .vgpr_spill_count: 0
    .wavefront_size: 32
  - .args:
      - .offset:         0
        .size:           4
        .value_kind:     by_value
      - .offset:         4
        .size:           4
        .value_kind:     by_value
      - .offset:         8
        .size:           4
        .value_kind:     by_value
      - .offset:         12
        .size:           4
        .value_kind:     by_value
      - .actual_access:  read_only
        .address_space:  global
        .offset:         16
        .size:           8
        .value_kind:     global_buffer
      - .actual_access:  read_only
        .address_space:  global
        .offset:         24
        .size:           8
        .value_kind:     global_buffer
      - .actual_access:  read_only
        .address_space:  global
        .offset:         32
        .size:           8
        .value_kind:     global_buffer
      - .offset:         40
        .size:           4
        .value_kind:     by_value
      - .offset:         44
        .size:           4
        .value_kind:     by_value
      - .actual_access:  write_only
        .address_space:  global
        .offset:         48
        .size:           8
        .value_kind:     global_buffer
      - .actual_access:  write_only
        .address_space:  global
        .offset:         56
        .size:           8
        .value_kind:     global_buffer
      - .actual_access:  write_only
        .address_space:  global
        .offset:         64
        .size:           8
        .value_kind:     global_buffer
    .group_segment_fixed_size: 0
    .kernarg_segment_align: 8
    .kernarg_segment_size: 72
    .language:       OpenCL C
    .language_version:
      - 2
      - 0
    .max_flat_workgroup_size: 1024
    .name:           _ZN9rocsparseL35bsr2csr_block_per_row_33_256_kernelILj1024ELj256ELj32EliiEEv20rocsparse_direction_T4_S2_21rocsparse_index_base_PKT2_PKT3_PKS2_S2_S3_PS4_PS7_PS2_
    .private_segment_fixed_size: 0
    .sgpr_count:     89
    .sgpr_spill_count: 0
    .symbol:         _ZN9rocsparseL35bsr2csr_block_per_row_33_256_kernelILj1024ELj256ELj32EliiEEv20rocsparse_direction_T4_S2_21rocsparse_index_base_PKT2_PKT3_PKS2_S2_S3_PS4_PS7_PS2_.kd
    .uniform_work_group_size: 1
    .uses_dynamic_stack: false
    .vgpr_count:     45
    .vgpr_spill_count: 0
    .wavefront_size: 32
  - .args:
      - .offset:         0
        .size:           4
        .value_kind:     by_value
      - .offset:         4
        .size:           4
        .value_kind:     by_value
      - .offset:         8
        .size:           4
        .value_kind:     by_value
      - .actual_access:  read_only
        .address_space:  global
        .offset:         16
        .size:           8
        .value_kind:     global_buffer
      - .actual_access:  read_only
        .address_space:  global
        .offset:         24
        .size:           8
        .value_kind:     global_buffer
      - .actual_access:  read_only
        .address_space:  global
        .offset:         32
        .size:           8
        .value_kind:     global_buffer
      - .offset:         40
        .size:           4
        .value_kind:     by_value
      - .actual_access:  write_only
        .address_space:  global
        .offset:         48
        .size:           8
        .value_kind:     global_buffer
      - .actual_access:  write_only
        .address_space:  global
        .offset:         56
        .size:           8
        .value_kind:     global_buffer
      - .actual_access:  write_only
        .address_space:  global
        .offset:         64
        .size:           8
        .value_kind:     global_buffer
      - .offset:         72
        .size:           4
        .value_kind:     hidden_block_count_x
      - .offset:         76
        .size:           4
        .value_kind:     hidden_block_count_y
      - .offset:         80
        .size:           4
        .value_kind:     hidden_block_count_z
      - .offset:         84
        .size:           2
        .value_kind:     hidden_group_size_x
      - .offset:         86
        .size:           2
        .value_kind:     hidden_group_size_y
      - .offset:         88
        .size:           2
        .value_kind:     hidden_group_size_z
      - .offset:         90
        .size:           2
        .value_kind:     hidden_remainder_x
      - .offset:         92
        .size:           2
        .value_kind:     hidden_remainder_y
      - .offset:         94
        .size:           2
        .value_kind:     hidden_remainder_z
      - .offset:         112
        .size:           8
        .value_kind:     hidden_global_offset_x
      - .offset:         120
        .size:           8
        .value_kind:     hidden_global_offset_y
      - .offset:         128
        .size:           8
        .value_kind:     hidden_global_offset_z
      - .offset:         136
        .size:           2
        .value_kind:     hidden_grid_dims
    .group_segment_fixed_size: 0
    .kernarg_segment_align: 8
    .kernarg_segment_size: 328
    .language:       OpenCL C
    .language_version:
      - 2
      - 0
    .max_flat_workgroup_size: 1024
    .name:           _ZN9rocsparseL35bsr2csr_block_dim_equals_one_kernelILj1024ElliEEvT2_S1_21rocsparse_index_base_PKT0_PKT1_PKS1_S2_PS3_PS6_PS1_
    .private_segment_fixed_size: 0
    .sgpr_count:     26
    .sgpr_spill_count: 0
    .symbol:         _ZN9rocsparseL35bsr2csr_block_dim_equals_one_kernelILj1024ElliEEvT2_S1_21rocsparse_index_base_PKT0_PKT1_PKS1_S2_PS3_PS6_PS1_.kd
    .uniform_work_group_size: 1
    .uses_dynamic_stack: false
    .vgpr_count:     13
    .vgpr_spill_count: 0
    .wavefront_size: 32
  - .args:
      - .offset:         0
        .size:           4
        .value_kind:     by_value
      - .offset:         4
        .size:           4
        .value_kind:     by_value
      - .offset:         8
        .size:           4
        .value_kind:     by_value
      - .offset:         12
        .size:           4
        .value_kind:     by_value
      - .actual_access:  read_only
        .address_space:  global
        .offset:         16
        .size:           8
        .value_kind:     global_buffer
      - .actual_access:  read_only
        .address_space:  global
        .offset:         24
        .size:           8
        .value_kind:     global_buffer
      - .actual_access:  read_only
        .address_space:  global
        .offset:         32
        .size:           8
        .value_kind:     global_buffer
      - .offset:         40
        .size:           4
        .value_kind:     by_value
      - .offset:         44
        .size:           4
        .value_kind:     by_value
      - .actual_access:  write_only
        .address_space:  global
        .offset:         48
        .size:           8
        .value_kind:     global_buffer
      - .actual_access:  write_only
        .address_space:  global
        .offset:         56
        .size:           8
        .value_kind:     global_buffer
      - .actual_access:  write_only
        .address_space:  global
        .offset:         64
        .size:           8
        .value_kind:     global_buffer
    .group_segment_fixed_size: 0
    .kernarg_segment_align: 8
    .kernarg_segment_size: 72
    .language:       OpenCL C
    .language_version:
      - 2
      - 0
    .max_flat_workgroup_size: 256
    .name:           _ZN9rocsparseL32bsr2csr_block_per_row_2_7_kernelILj256ELj2ElliEEv20rocsparse_direction_T3_S2_21rocsparse_index_base_PKT1_PKT2_PKS2_S2_S3_PS4_PS7_PS2_
    .private_segment_fixed_size: 0
    .sgpr_count:     20
    .sgpr_spill_count: 0
    .symbol:         _ZN9rocsparseL32bsr2csr_block_per_row_2_7_kernelILj256ELj2ElliEEv20rocsparse_direction_T3_S2_21rocsparse_index_base_PKT1_PKT2_PKS2_S2_S3_PS4_PS7_PS2_.kd
    .uniform_work_group_size: 1
    .uses_dynamic_stack: false
    .vgpr_count:     25
    .vgpr_spill_count: 0
    .wavefront_size: 32
  - .args:
      - .offset:         0
        .size:           4
        .value_kind:     by_value
      - .offset:         4
        .size:           4
        .value_kind:     by_value
      - .offset:         8
        .size:           4
        .value_kind:     by_value
      - .offset:         12
        .size:           4
        .value_kind:     by_value
      - .actual_access:  read_only
        .address_space:  global
        .offset:         16
        .size:           8
        .value_kind:     global_buffer
      - .actual_access:  read_only
        .address_space:  global
        .offset:         24
        .size:           8
        .value_kind:     global_buffer
      - .actual_access:  read_only
        .address_space:  global
        .offset:         32
        .size:           8
        .value_kind:     global_buffer
      - .offset:         40
        .size:           4
        .value_kind:     by_value
      - .offset:         44
        .size:           4
        .value_kind:     by_value
      - .actual_access:  write_only
        .address_space:  global
        .offset:         48
        .size:           8
        .value_kind:     global_buffer
      - .actual_access:  write_only
        .address_space:  global
        .offset:         56
        .size:           8
        .value_kind:     global_buffer
      - .actual_access:  write_only
        .address_space:  global
        .offset:         64
        .size:           8
        .value_kind:     global_buffer
    .group_segment_fixed_size: 0
    .kernarg_segment_align: 8
    .kernarg_segment_size: 72
    .language:       OpenCL C
    .language_version:
      - 2
      - 0
    .max_flat_workgroup_size: 256
    .name:           _ZN9rocsparseL32bsr2csr_block_per_row_2_7_kernelILj256ELj3ElliEEv20rocsparse_direction_T3_S2_21rocsparse_index_base_PKT1_PKT2_PKS2_S2_S3_PS4_PS7_PS2_
    .private_segment_fixed_size: 0
    .sgpr_count:     22
    .sgpr_spill_count: 0
    .symbol:         _ZN9rocsparseL32bsr2csr_block_per_row_2_7_kernelILj256ELj3ElliEEv20rocsparse_direction_T3_S2_21rocsparse_index_base_PKT1_PKT2_PKS2_S2_S3_PS4_PS7_PS2_.kd
    .uniform_work_group_size: 1
    .uses_dynamic_stack: false
    .vgpr_count:     27
    .vgpr_spill_count: 0
    .wavefront_size: 32
  - .args:
      - .offset:         0
        .size:           4
        .value_kind:     by_value
      - .offset:         4
        .size:           4
        .value_kind:     by_value
      - .offset:         8
        .size:           4
        .value_kind:     by_value
      - .offset:         12
        .size:           4
        .value_kind:     by_value
      - .actual_access:  read_only
        .address_space:  global
        .offset:         16
        .size:           8
        .value_kind:     global_buffer
      - .actual_access:  read_only
        .address_space:  global
        .offset:         24
        .size:           8
        .value_kind:     global_buffer
      - .actual_access:  read_only
        .address_space:  global
        .offset:         32
        .size:           8
        .value_kind:     global_buffer
      - .offset:         40
        .size:           4
        .value_kind:     by_value
      - .offset:         44
        .size:           4
        .value_kind:     by_value
      - .actual_access:  write_only
        .address_space:  global
        .offset:         48
        .size:           8
        .value_kind:     global_buffer
      - .actual_access:  write_only
        .address_space:  global
        .offset:         56
        .size:           8
        .value_kind:     global_buffer
      - .actual_access:  write_only
        .address_space:  global
        .offset:         64
        .size:           8
        .value_kind:     global_buffer
    .group_segment_fixed_size: 0
    .kernarg_segment_align: 8
    .kernarg_segment_size: 72
    .language:       OpenCL C
    .language_version:
      - 2
      - 0
    .max_flat_workgroup_size: 256
    .name:           _ZN9rocsparseL32bsr2csr_block_per_row_2_7_kernelILj256ELj4ElliEEv20rocsparse_direction_T3_S2_21rocsparse_index_base_PKT1_PKT2_PKS2_S2_S3_PS4_PS7_PS2_
    .private_segment_fixed_size: 0
    .sgpr_count:     20
    .sgpr_spill_count: 0
    .symbol:         _ZN9rocsparseL32bsr2csr_block_per_row_2_7_kernelILj256ELj4ElliEEv20rocsparse_direction_T3_S2_21rocsparse_index_base_PKT1_PKT2_PKS2_S2_S3_PS4_PS7_PS2_.kd
    .uniform_work_group_size: 1
    .uses_dynamic_stack: false
    .vgpr_count:     35
    .vgpr_spill_count: 0
    .wavefront_size: 32
  - .args:
      - .offset:         0
        .size:           4
        .value_kind:     by_value
      - .offset:         4
        .size:           4
        .value_kind:     by_value
      - .offset:         8
        .size:           4
        .value_kind:     by_value
      - .offset:         12
        .size:           4
        .value_kind:     by_value
      - .actual_access:  read_only
        .address_space:  global
        .offset:         16
        .size:           8
        .value_kind:     global_buffer
      - .actual_access:  read_only
        .address_space:  global
        .offset:         24
        .size:           8
        .value_kind:     global_buffer
      - .actual_access:  read_only
        .address_space:  global
        .offset:         32
        .size:           8
        .value_kind:     global_buffer
      - .offset:         40
        .size:           4
        .value_kind:     by_value
      - .offset:         44
        .size:           4
        .value_kind:     by_value
      - .actual_access:  write_only
        .address_space:  global
        .offset:         48
        .size:           8
        .value_kind:     global_buffer
      - .actual_access:  write_only
        .address_space:  global
        .offset:         56
        .size:           8
        .value_kind:     global_buffer
      - .actual_access:  write_only
        .address_space:  global
        .offset:         64
        .size:           8
        .value_kind:     global_buffer
    .group_segment_fixed_size: 0
    .kernarg_segment_align: 8
    .kernarg_segment_size: 72
    .language:       OpenCL C
    .language_version:
      - 2
      - 0
    .max_flat_workgroup_size: 256
    .name:           _ZN9rocsparseL32bsr2csr_block_per_row_2_7_kernelILj256ELj5ElliEEv20rocsparse_direction_T3_S2_21rocsparse_index_base_PKT1_PKT2_PKS2_S2_S3_PS4_PS7_PS2_
    .private_segment_fixed_size: 0
    .sgpr_count:     22
    .sgpr_spill_count: 0
    .symbol:         _ZN9rocsparseL32bsr2csr_block_per_row_2_7_kernelILj256ELj5ElliEEv20rocsparse_direction_T3_S2_21rocsparse_index_base_PKT1_PKT2_PKS2_S2_S3_PS4_PS7_PS2_.kd
    .uniform_work_group_size: 1
    .uses_dynamic_stack: false
    .vgpr_count:     35
    .vgpr_spill_count: 0
    .wavefront_size: 32
  - .args:
      - .offset:         0
        .size:           4
        .value_kind:     by_value
      - .offset:         4
        .size:           4
        .value_kind:     by_value
      - .offset:         8
        .size:           4
        .value_kind:     by_value
      - .offset:         12
        .size:           4
        .value_kind:     by_value
      - .actual_access:  read_only
        .address_space:  global
        .offset:         16
        .size:           8
        .value_kind:     global_buffer
      - .actual_access:  read_only
        .address_space:  global
        .offset:         24
        .size:           8
        .value_kind:     global_buffer
      - .actual_access:  read_only
        .address_space:  global
        .offset:         32
        .size:           8
        .value_kind:     global_buffer
      - .offset:         40
        .size:           4
        .value_kind:     by_value
      - .offset:         44
        .size:           4
        .value_kind:     by_value
      - .actual_access:  write_only
        .address_space:  global
        .offset:         48
        .size:           8
        .value_kind:     global_buffer
      - .actual_access:  write_only
        .address_space:  global
        .offset:         56
        .size:           8
        .value_kind:     global_buffer
      - .actual_access:  write_only
        .address_space:  global
        .offset:         64
        .size:           8
        .value_kind:     global_buffer
    .group_segment_fixed_size: 0
    .kernarg_segment_align: 8
    .kernarg_segment_size: 72
    .language:       OpenCL C
    .language_version:
      - 2
      - 0
    .max_flat_workgroup_size: 256
    .name:           _ZN9rocsparseL32bsr2csr_block_per_row_2_7_kernelILj256ELj6ElliEEv20rocsparse_direction_T3_S2_21rocsparse_index_base_PKT1_PKT2_PKS2_S2_S3_PS4_PS7_PS2_
    .private_segment_fixed_size: 0
    .sgpr_count:     22
    .sgpr_spill_count: 0
    .symbol:         _ZN9rocsparseL32bsr2csr_block_per_row_2_7_kernelILj256ELj6ElliEEv20rocsparse_direction_T3_S2_21rocsparse_index_base_PKT1_PKT2_PKS2_S2_S3_PS4_PS7_PS2_.kd
    .uniform_work_group_size: 1
    .uses_dynamic_stack: false
    .vgpr_count:     41
    .vgpr_spill_count: 0
    .wavefront_size: 32
  - .args:
      - .offset:         0
        .size:           4
        .value_kind:     by_value
      - .offset:         4
        .size:           4
        .value_kind:     by_value
      - .offset:         8
        .size:           4
        .value_kind:     by_value
      - .offset:         12
        .size:           4
        .value_kind:     by_value
      - .actual_access:  read_only
        .address_space:  global
        .offset:         16
        .size:           8
        .value_kind:     global_buffer
      - .actual_access:  read_only
        .address_space:  global
        .offset:         24
        .size:           8
        .value_kind:     global_buffer
      - .actual_access:  read_only
        .address_space:  global
        .offset:         32
        .size:           8
        .value_kind:     global_buffer
      - .offset:         40
        .size:           4
        .value_kind:     by_value
      - .offset:         44
        .size:           4
        .value_kind:     by_value
      - .actual_access:  write_only
        .address_space:  global
        .offset:         48
        .size:           8
        .value_kind:     global_buffer
      - .actual_access:  write_only
        .address_space:  global
        .offset:         56
        .size:           8
        .value_kind:     global_buffer
      - .actual_access:  write_only
        .address_space:  global
        .offset:         64
        .size:           8
        .value_kind:     global_buffer
    .group_segment_fixed_size: 0
    .kernarg_segment_align: 8
    .kernarg_segment_size: 72
    .language:       OpenCL C
    .language_version:
      - 2
      - 0
    .max_flat_workgroup_size: 256
    .name:           _ZN9rocsparseL32bsr2csr_block_per_row_2_7_kernelILj256ELj7ElliEEv20rocsparse_direction_T3_S2_21rocsparse_index_base_PKT1_PKT2_PKS2_S2_S3_PS4_PS7_PS2_
    .private_segment_fixed_size: 0
    .sgpr_count:     22
    .sgpr_spill_count: 0
    .symbol:         _ZN9rocsparseL32bsr2csr_block_per_row_2_7_kernelILj256ELj7ElliEEv20rocsparse_direction_T3_S2_21rocsparse_index_base_PKT1_PKT2_PKS2_S2_S3_PS4_PS7_PS2_.kd
    .uniform_work_group_size: 1
    .uses_dynamic_stack: false
    .vgpr_count:     45
    .vgpr_spill_count: 0
    .wavefront_size: 32
  - .args:
      - .offset:         0
        .size:           4
        .value_kind:     by_value
      - .offset:         4
        .size:           4
        .value_kind:     by_value
      - .offset:         8
        .size:           4
        .value_kind:     by_value
      - .offset:         12
        .size:           4
        .value_kind:     by_value
      - .actual_access:  read_only
        .address_space:  global
        .offset:         16
        .size:           8
        .value_kind:     global_buffer
      - .actual_access:  read_only
        .address_space:  global
        .offset:         24
        .size:           8
        .value_kind:     global_buffer
      - .actual_access:  read_only
        .address_space:  global
        .offset:         32
        .size:           8
        .value_kind:     global_buffer
      - .offset:         40
        .size:           4
        .value_kind:     by_value
      - .offset:         44
        .size:           4
        .value_kind:     by_value
      - .actual_access:  write_only
        .address_space:  global
        .offset:         48
        .size:           8
        .value_kind:     global_buffer
      - .actual_access:  write_only
        .address_space:  global
        .offset:         56
        .size:           8
        .value_kind:     global_buffer
      - .actual_access:  write_only
        .address_space:  global
        .offset:         64
        .size:           8
        .value_kind:     global_buffer
    .group_segment_fixed_size: 0
    .kernarg_segment_align: 8
    .kernarg_segment_size: 72
    .language:       OpenCL C
    .language_version:
      - 2
      - 0
    .max_flat_workgroup_size: 1024
    .name:           _ZN9rocsparseL33bsr2csr_block_per_row_8_32_kernelILj1024ELj8ElliEEv20rocsparse_direction_T3_S2_21rocsparse_index_base_PKT1_PKT2_PKS2_S2_S3_PS4_PS7_PS2_
    .private_segment_fixed_size: 0
    .sgpr_count:     28
    .sgpr_spill_count: 0
    .symbol:         _ZN9rocsparseL33bsr2csr_block_per_row_8_32_kernelILj1024ELj8ElliEEv20rocsparse_direction_T3_S2_21rocsparse_index_base_PKT1_PKT2_PKS2_S2_S3_PS4_PS7_PS2_.kd
    .uniform_work_group_size: 1
    .uses_dynamic_stack: false
    .vgpr_count:     18
    .vgpr_spill_count: 0
    .wavefront_size: 32
  - .args:
      - .offset:         0
        .size:           4
        .value_kind:     by_value
      - .offset:         4
        .size:           4
        .value_kind:     by_value
      - .offset:         8
        .size:           4
        .value_kind:     by_value
      - .offset:         12
        .size:           4
        .value_kind:     by_value
      - .actual_access:  read_only
        .address_space:  global
        .offset:         16
        .size:           8
        .value_kind:     global_buffer
      - .actual_access:  read_only
        .address_space:  global
        .offset:         24
        .size:           8
        .value_kind:     global_buffer
      - .actual_access:  read_only
        .address_space:  global
        .offset:         32
        .size:           8
        .value_kind:     global_buffer
      - .offset:         40
        .size:           4
        .value_kind:     by_value
      - .offset:         44
        .size:           4
        .value_kind:     by_value
      - .actual_access:  write_only
        .address_space:  global
        .offset:         48
        .size:           8
        .value_kind:     global_buffer
      - .actual_access:  write_only
        .address_space:  global
        .offset:         56
        .size:           8
        .value_kind:     global_buffer
      - .actual_access:  write_only
        .address_space:  global
        .offset:         64
        .size:           8
        .value_kind:     global_buffer
    .group_segment_fixed_size: 0
    .kernarg_segment_align: 8
    .kernarg_segment_size: 72
    .language:       OpenCL C
    .language_version:
      - 2
      - 0
    .max_flat_workgroup_size: 1024
    .name:           _ZN9rocsparseL33bsr2csr_block_per_row_8_32_kernelILj1024ELj16ElliEEv20rocsparse_direction_T3_S2_21rocsparse_index_base_PKT1_PKT2_PKS2_S2_S3_PS4_PS7_PS2_
    .private_segment_fixed_size: 0
    .sgpr_count:     28
    .sgpr_spill_count: 0
    .symbol:         _ZN9rocsparseL33bsr2csr_block_per_row_8_32_kernelILj1024ELj16ElliEEv20rocsparse_direction_T3_S2_21rocsparse_index_base_PKT1_PKT2_PKS2_S2_S3_PS4_PS7_PS2_.kd
    .uniform_work_group_size: 1
    .uses_dynamic_stack: false
    .vgpr_count:     18
    .vgpr_spill_count: 0
    .wavefront_size: 32
  - .args:
      - .offset:         0
        .size:           4
        .value_kind:     by_value
      - .offset:         4
        .size:           4
        .value_kind:     by_value
      - .offset:         8
        .size:           4
        .value_kind:     by_value
      - .offset:         12
        .size:           4
        .value_kind:     by_value
      - .actual_access:  read_only
        .address_space:  global
        .offset:         16
        .size:           8
        .value_kind:     global_buffer
      - .actual_access:  read_only
        .address_space:  global
        .offset:         24
        .size:           8
        .value_kind:     global_buffer
      - .actual_access:  read_only
        .address_space:  global
        .offset:         32
        .size:           8
        .value_kind:     global_buffer
      - .offset:         40
        .size:           4
        .value_kind:     by_value
      - .offset:         44
        .size:           4
        .value_kind:     by_value
      - .actual_access:  write_only
        .address_space:  global
        .offset:         48
        .size:           8
        .value_kind:     global_buffer
      - .actual_access:  write_only
        .address_space:  global
        .offset:         56
        .size:           8
        .value_kind:     global_buffer
      - .actual_access:  write_only
        .address_space:  global
        .offset:         64
        .size:           8
        .value_kind:     global_buffer
    .group_segment_fixed_size: 0
    .kernarg_segment_align: 8
    .kernarg_segment_size: 72
    .language:       OpenCL C
    .language_version:
      - 2
      - 0
    .max_flat_workgroup_size: 1024
    .name:           _ZN9rocsparseL33bsr2csr_block_per_row_8_32_kernelILj1024ELj32ElliEEv20rocsparse_direction_T3_S2_21rocsparse_index_base_PKT1_PKT2_PKS2_S2_S3_PS4_PS7_PS2_
    .private_segment_fixed_size: 0
    .sgpr_count:     30
    .sgpr_spill_count: 0
    .symbol:         _ZN9rocsparseL33bsr2csr_block_per_row_8_32_kernelILj1024ELj32ElliEEv20rocsparse_direction_T3_S2_21rocsparse_index_base_PKT1_PKT2_PKS2_S2_S3_PS4_PS7_PS2_.kd
    .uniform_work_group_size: 1
    .uses_dynamic_stack: false
    .vgpr_count:     14
    .vgpr_spill_count: 0
    .wavefront_size: 32
  - .args:
      - .offset:         0
        .size:           4
        .value_kind:     by_value
      - .offset:         4
        .size:           4
        .value_kind:     by_value
      - .offset:         8
        .size:           4
        .value_kind:     by_value
      - .offset:         12
        .size:           4
        .value_kind:     by_value
      - .actual_access:  read_only
        .address_space:  global
        .offset:         16
        .size:           8
        .value_kind:     global_buffer
      - .actual_access:  read_only
        .address_space:  global
        .offset:         24
        .size:           8
        .value_kind:     global_buffer
      - .actual_access:  read_only
        .address_space:  global
        .offset:         32
        .size:           8
        .value_kind:     global_buffer
      - .offset:         40
        .size:           4
        .value_kind:     by_value
      - .offset:         44
        .size:           4
        .value_kind:     by_value
      - .actual_access:  write_only
        .address_space:  global
        .offset:         48
        .size:           8
        .value_kind:     global_buffer
      - .actual_access:  write_only
        .address_space:  global
        .offset:         56
        .size:           8
        .value_kind:     global_buffer
      - .actual_access:  write_only
        .address_space:  global
        .offset:         64
        .size:           8
        .value_kind:     global_buffer
    .group_segment_fixed_size: 0
    .kernarg_segment_align: 8
    .kernarg_segment_size: 72
    .language:       OpenCL C
    .language_version:
      - 2
      - 0
    .max_flat_workgroup_size: 1024
    .name:           _ZN9rocsparseL35bsr2csr_block_per_row_33_256_kernelILj1024ELj64ELj32ElliEEv20rocsparse_direction_T4_S2_21rocsparse_index_base_PKT2_PKT3_PKS2_S2_S3_PS4_PS7_PS2_
    .private_segment_fixed_size: 0
    .sgpr_count:     36
    .sgpr_spill_count: 0
    .symbol:         _ZN9rocsparseL35bsr2csr_block_per_row_33_256_kernelILj1024ELj64ELj32ElliEEv20rocsparse_direction_T4_S2_21rocsparse_index_base_PKT2_PKT3_PKS2_S2_S3_PS4_PS7_PS2_.kd
    .uniform_work_group_size: 1
    .uses_dynamic_stack: false
    .vgpr_count:     32
    .vgpr_spill_count: 0
    .wavefront_size: 32
  - .args:
      - .offset:         0
        .size:           4
        .value_kind:     by_value
      - .offset:         4
        .size:           4
        .value_kind:     by_value
      - .offset:         8
        .size:           4
        .value_kind:     by_value
      - .offset:         12
        .size:           4
        .value_kind:     by_value
      - .actual_access:  read_only
        .address_space:  global
        .offset:         16
        .size:           8
        .value_kind:     global_buffer
      - .actual_access:  read_only
        .address_space:  global
        .offset:         24
        .size:           8
        .value_kind:     global_buffer
      - .actual_access:  read_only
        .address_space:  global
        .offset:         32
        .size:           8
        .value_kind:     global_buffer
      - .offset:         40
        .size:           4
        .value_kind:     by_value
      - .offset:         44
        .size:           4
        .value_kind:     by_value
      - .actual_access:  write_only
        .address_space:  global
        .offset:         48
        .size:           8
        .value_kind:     global_buffer
      - .actual_access:  write_only
        .address_space:  global
        .offset:         56
        .size:           8
        .value_kind:     global_buffer
      - .actual_access:  write_only
        .address_space:  global
        .offset:         64
        .size:           8
        .value_kind:     global_buffer
    .group_segment_fixed_size: 0
    .kernarg_segment_align: 8
    .kernarg_segment_size: 72
    .language:       OpenCL C
    .language_version:
      - 2
      - 0
    .max_flat_workgroup_size: 1024
    .name:           _ZN9rocsparseL35bsr2csr_block_per_row_33_256_kernelILj1024ELj128ELj32ElliEEv20rocsparse_direction_T4_S2_21rocsparse_index_base_PKT2_PKT3_PKS2_S2_S3_PS4_PS7_PS2_
    .private_segment_fixed_size: 0
    .sgpr_count:     49
    .sgpr_spill_count: 0
    .symbol:         _ZN9rocsparseL35bsr2csr_block_per_row_33_256_kernelILj1024ELj128ELj32ElliEEv20rocsparse_direction_T4_S2_21rocsparse_index_base_PKT2_PKT3_PKS2_S2_S3_PS4_PS7_PS2_.kd
    .uniform_work_group_size: 1
    .uses_dynamic_stack: false
    .vgpr_count:     58
    .vgpr_spill_count: 0
    .wavefront_size: 32
  - .args:
      - .offset:         0
        .size:           4
        .value_kind:     by_value
      - .offset:         4
        .size:           4
        .value_kind:     by_value
      - .offset:         8
        .size:           4
        .value_kind:     by_value
      - .offset:         12
        .size:           4
        .value_kind:     by_value
      - .actual_access:  read_only
        .address_space:  global
        .offset:         16
        .size:           8
        .value_kind:     global_buffer
      - .actual_access:  read_only
        .address_space:  global
        .offset:         24
        .size:           8
        .value_kind:     global_buffer
      - .actual_access:  read_only
        .address_space:  global
        .offset:         32
        .size:           8
        .value_kind:     global_buffer
      - .offset:         40
        .size:           4
        .value_kind:     by_value
      - .offset:         44
        .size:           4
        .value_kind:     by_value
      - .actual_access:  write_only
        .address_space:  global
        .offset:         48
        .size:           8
        .value_kind:     global_buffer
      - .actual_access:  write_only
        .address_space:  global
        .offset:         56
        .size:           8
        .value_kind:     global_buffer
      - .actual_access:  write_only
        .address_space:  global
        .offset:         64
        .size:           8
        .value_kind:     global_buffer
    .group_segment_fixed_size: 0
    .kernarg_segment_align: 8
    .kernarg_segment_size: 72
    .language:       OpenCL C
    .language_version:
      - 2
      - 0
    .max_flat_workgroup_size: 1024
    .name:           _ZN9rocsparseL35bsr2csr_block_per_row_33_256_kernelILj1024ELj256ELj32ElliEEv20rocsparse_direction_T4_S2_21rocsparse_index_base_PKT2_PKT3_PKS2_S2_S3_PS4_PS7_PS2_
    .private_segment_fixed_size: 0
    .sgpr_count:     95
    .sgpr_spill_count: 0
    .symbol:         _ZN9rocsparseL35bsr2csr_block_per_row_33_256_kernelILj1024ELj256ELj32ElliEEv20rocsparse_direction_T4_S2_21rocsparse_index_base_PKT2_PKT3_PKS2_S2_S3_PS4_PS7_PS2_.kd
    .uniform_work_group_size: 1
    .uses_dynamic_stack: false
    .vgpr_count:     96
    .vgpr_spill_count: 0
    .wavefront_size: 32
  - .args:
      - .offset:         0
        .size:           8
        .value_kind:     by_value
      - .offset:         8
        .size:           8
        .value_kind:     by_value
      - .offset:         16
        .size:           4
        .value_kind:     by_value
      - .actual_access:  read_only
        .address_space:  global
        .offset:         24
        .size:           8
        .value_kind:     global_buffer
      - .actual_access:  read_only
        .address_space:  global
        .offset:         32
        .size:           8
        .value_kind:     global_buffer
      - .actual_access:  read_only
        .address_space:  global
        .offset:         40
        .size:           8
        .value_kind:     global_buffer
      - .offset:         48
        .size:           4
        .value_kind:     by_value
      - .actual_access:  write_only
        .address_space:  global
        .offset:         56
        .size:           8
        .value_kind:     global_buffer
      - .actual_access:  write_only
        .address_space:  global
        .offset:         64
        .size:           8
        .value_kind:     global_buffer
      - .actual_access:  write_only
        .address_space:  global
        .offset:         72
        .size:           8
        .value_kind:     global_buffer
      - .offset:         80
        .size:           4
        .value_kind:     hidden_block_count_x
      - .offset:         84
        .size:           4
        .value_kind:     hidden_block_count_y
      - .offset:         88
        .size:           4
        .value_kind:     hidden_block_count_z
      - .offset:         92
        .size:           2
        .value_kind:     hidden_group_size_x
      - .offset:         94
        .size:           2
        .value_kind:     hidden_group_size_y
      - .offset:         96
        .size:           2
        .value_kind:     hidden_group_size_z
      - .offset:         98
        .size:           2
        .value_kind:     hidden_remainder_x
      - .offset:         100
        .size:           2
        .value_kind:     hidden_remainder_y
      - .offset:         102
        .size:           2
        .value_kind:     hidden_remainder_z
      - .offset:         120
        .size:           8
        .value_kind:     hidden_global_offset_x
      - .offset:         128
        .size:           8
        .value_kind:     hidden_global_offset_y
      - .offset:         136
        .size:           8
        .value_kind:     hidden_global_offset_z
      - .offset:         144
        .size:           2
        .value_kind:     hidden_grid_dims
    .group_segment_fixed_size: 0
    .kernarg_segment_align: 8
    .kernarg_segment_size: 336
    .language:       OpenCL C
    .language_version:
      - 2
      - 0
    .max_flat_workgroup_size: 1024
    .name:           _ZN9rocsparseL35bsr2csr_block_dim_equals_one_kernelILj1024ElilEEvT2_S1_21rocsparse_index_base_PKT0_PKT1_PKS1_S2_PS3_PS6_PS1_
    .private_segment_fixed_size: 0
    .sgpr_count:     20
    .sgpr_spill_count: 0
    .symbol:         _ZN9rocsparseL35bsr2csr_block_dim_equals_one_kernelILj1024ElilEEvT2_S1_21rocsparse_index_base_PKT0_PKT1_PKS1_S2_PS3_PS6_PS1_.kd
    .uniform_work_group_size: 1
    .uses_dynamic_stack: false
    .vgpr_count:     12
    .vgpr_spill_count: 0
    .wavefront_size: 32
  - .args:
      - .offset:         0
        .size:           4
        .value_kind:     by_value
      - .offset:         8
        .size:           8
        .value_kind:     by_value
      - .offset:         16
        .size:           8
        .value_kind:     by_value
      - .offset:         24
        .size:           4
        .value_kind:     by_value
      - .actual_access:  read_only
        .address_space:  global
        .offset:         32
        .size:           8
        .value_kind:     global_buffer
      - .actual_access:  read_only
        .address_space:  global
        .offset:         40
        .size:           8
        .value_kind:     global_buffer
      - .actual_access:  read_only
        .address_space:  global
        .offset:         48
        .size:           8
        .value_kind:     global_buffer
      - .offset:         56
        .size:           8
        .value_kind:     by_value
      - .offset:         64
        .size:           4
        .value_kind:     by_value
      - .actual_access:  write_only
        .address_space:  global
        .offset:         72
        .size:           8
        .value_kind:     global_buffer
      - .actual_access:  write_only
        .address_space:  global
        .offset:         80
        .size:           8
        .value_kind:     global_buffer
      - .actual_access:  write_only
        .address_space:  global
        .offset:         88
        .size:           8
        .value_kind:     global_buffer
    .group_segment_fixed_size: 0
    .kernarg_segment_align: 8
    .kernarg_segment_size: 96
    .language:       OpenCL C
    .language_version:
      - 2
      - 0
    .max_flat_workgroup_size: 256
    .name:           _ZN9rocsparseL32bsr2csr_block_per_row_2_7_kernelILj256ELj2ElilEEv20rocsparse_direction_T3_S2_21rocsparse_index_base_PKT1_PKT2_PKS2_S2_S3_PS4_PS7_PS2_
    .private_segment_fixed_size: 0
    .sgpr_count:     18
    .sgpr_spill_count: 0
    .symbol:         _ZN9rocsparseL32bsr2csr_block_per_row_2_7_kernelILj256ELj2ElilEEv20rocsparse_direction_T3_S2_21rocsparse_index_base_PKT1_PKT2_PKS2_S2_S3_PS4_PS7_PS2_.kd
    .uniform_work_group_size: 1
    .uses_dynamic_stack: false
    .vgpr_count:     22
    .vgpr_spill_count: 0
    .wavefront_size: 32
  - .args:
      - .offset:         0
        .size:           4
        .value_kind:     by_value
      - .offset:         8
        .size:           8
        .value_kind:     by_value
      - .offset:         16
        .size:           8
        .value_kind:     by_value
      - .offset:         24
        .size:           4
        .value_kind:     by_value
      - .actual_access:  read_only
        .address_space:  global
        .offset:         32
        .size:           8
        .value_kind:     global_buffer
      - .actual_access:  read_only
        .address_space:  global
        .offset:         40
        .size:           8
        .value_kind:     global_buffer
      - .actual_access:  read_only
        .address_space:  global
        .offset:         48
        .size:           8
        .value_kind:     global_buffer
      - .offset:         56
        .size:           8
        .value_kind:     by_value
      - .offset:         64
        .size:           4
        .value_kind:     by_value
      - .actual_access:  write_only
        .address_space:  global
        .offset:         72
        .size:           8
        .value_kind:     global_buffer
      - .actual_access:  write_only
        .address_space:  global
        .offset:         80
        .size:           8
        .value_kind:     global_buffer
      - .actual_access:  write_only
        .address_space:  global
        .offset:         88
        .size:           8
        .value_kind:     global_buffer
    .group_segment_fixed_size: 0
    .kernarg_segment_align: 8
    .kernarg_segment_size: 96
    .language:       OpenCL C
    .language_version:
      - 2
      - 0
    .max_flat_workgroup_size: 256
    .name:           _ZN9rocsparseL32bsr2csr_block_per_row_2_7_kernelILj256ELj3ElilEEv20rocsparse_direction_T3_S2_21rocsparse_index_base_PKT1_PKT2_PKS2_S2_S3_PS4_PS7_PS2_
    .private_segment_fixed_size: 0
    .sgpr_count:     18
    .sgpr_spill_count: 0
    .symbol:         _ZN9rocsparseL32bsr2csr_block_per_row_2_7_kernelILj256ELj3ElilEEv20rocsparse_direction_T3_S2_21rocsparse_index_base_PKT1_PKT2_PKS2_S2_S3_PS4_PS7_PS2_.kd
    .uniform_work_group_size: 1
    .uses_dynamic_stack: false
    .vgpr_count:     26
    .vgpr_spill_count: 0
    .wavefront_size: 32
  - .args:
      - .offset:         0
        .size:           4
        .value_kind:     by_value
      - .offset:         8
        .size:           8
        .value_kind:     by_value
      - .offset:         16
        .size:           8
        .value_kind:     by_value
      - .offset:         24
        .size:           4
        .value_kind:     by_value
      - .actual_access:  read_only
        .address_space:  global
        .offset:         32
        .size:           8
        .value_kind:     global_buffer
      - .actual_access:  read_only
        .address_space:  global
        .offset:         40
        .size:           8
        .value_kind:     global_buffer
      - .actual_access:  read_only
        .address_space:  global
        .offset:         48
        .size:           8
        .value_kind:     global_buffer
      - .offset:         56
        .size:           8
        .value_kind:     by_value
      - .offset:         64
        .size:           4
        .value_kind:     by_value
      - .actual_access:  write_only
        .address_space:  global
        .offset:         72
        .size:           8
        .value_kind:     global_buffer
      - .actual_access:  write_only
        .address_space:  global
        .offset:         80
        .size:           8
        .value_kind:     global_buffer
      - .actual_access:  write_only
        .address_space:  global
        .offset:         88
        .size:           8
        .value_kind:     global_buffer
    .group_segment_fixed_size: 0
    .kernarg_segment_align: 8
    .kernarg_segment_size: 96
    .language:       OpenCL C
    .language_version:
      - 2
      - 0
    .max_flat_workgroup_size: 256
    .name:           _ZN9rocsparseL32bsr2csr_block_per_row_2_7_kernelILj256ELj4ElilEEv20rocsparse_direction_T3_S2_21rocsparse_index_base_PKT1_PKT2_PKS2_S2_S3_PS4_PS7_PS2_
    .private_segment_fixed_size: 0
    .sgpr_count:     18
    .sgpr_spill_count: 0
    .symbol:         _ZN9rocsparseL32bsr2csr_block_per_row_2_7_kernelILj256ELj4ElilEEv20rocsparse_direction_T3_S2_21rocsparse_index_base_PKT1_PKT2_PKS2_S2_S3_PS4_PS7_PS2_.kd
    .uniform_work_group_size: 1
    .uses_dynamic_stack: false
    .vgpr_count:     32
    .vgpr_spill_count: 0
    .wavefront_size: 32
  - .args:
      - .offset:         0
        .size:           4
        .value_kind:     by_value
      - .offset:         8
        .size:           8
        .value_kind:     by_value
      - .offset:         16
        .size:           8
        .value_kind:     by_value
      - .offset:         24
        .size:           4
        .value_kind:     by_value
      - .actual_access:  read_only
        .address_space:  global
        .offset:         32
        .size:           8
        .value_kind:     global_buffer
      - .actual_access:  read_only
        .address_space:  global
        .offset:         40
        .size:           8
        .value_kind:     global_buffer
      - .actual_access:  read_only
        .address_space:  global
        .offset:         48
        .size:           8
        .value_kind:     global_buffer
      - .offset:         56
        .size:           8
        .value_kind:     by_value
      - .offset:         64
        .size:           4
        .value_kind:     by_value
      - .actual_access:  write_only
        .address_space:  global
        .offset:         72
        .size:           8
        .value_kind:     global_buffer
      - .actual_access:  write_only
        .address_space:  global
        .offset:         80
        .size:           8
        .value_kind:     global_buffer
      - .actual_access:  write_only
        .address_space:  global
        .offset:         88
        .size:           8
        .value_kind:     global_buffer
    .group_segment_fixed_size: 0
    .kernarg_segment_align: 8
    .kernarg_segment_size: 96
    .language:       OpenCL C
    .language_version:
      - 2
      - 0
    .max_flat_workgroup_size: 256
    .name:           _ZN9rocsparseL32bsr2csr_block_per_row_2_7_kernelILj256ELj5ElilEEv20rocsparse_direction_T3_S2_21rocsparse_index_base_PKT1_PKT2_PKS2_S2_S3_PS4_PS7_PS2_
    .private_segment_fixed_size: 0
    .sgpr_count:     18
    .sgpr_spill_count: 0
    .symbol:         _ZN9rocsparseL32bsr2csr_block_per_row_2_7_kernelILj256ELj5ElilEEv20rocsparse_direction_T3_S2_21rocsparse_index_base_PKT1_PKT2_PKS2_S2_S3_PS4_PS7_PS2_.kd
    .uniform_work_group_size: 1
    .uses_dynamic_stack: false
    .vgpr_count:     34
    .vgpr_spill_count: 0
    .wavefront_size: 32
  - .args:
      - .offset:         0
        .size:           4
        .value_kind:     by_value
      - .offset:         8
        .size:           8
        .value_kind:     by_value
      - .offset:         16
        .size:           8
        .value_kind:     by_value
      - .offset:         24
        .size:           4
        .value_kind:     by_value
      - .actual_access:  read_only
        .address_space:  global
        .offset:         32
        .size:           8
        .value_kind:     global_buffer
      - .actual_access:  read_only
        .address_space:  global
        .offset:         40
        .size:           8
        .value_kind:     global_buffer
      - .actual_access:  read_only
        .address_space:  global
        .offset:         48
        .size:           8
        .value_kind:     global_buffer
      - .offset:         56
        .size:           8
        .value_kind:     by_value
      - .offset:         64
        .size:           4
        .value_kind:     by_value
      - .actual_access:  write_only
        .address_space:  global
        .offset:         72
        .size:           8
        .value_kind:     global_buffer
      - .actual_access:  write_only
        .address_space:  global
        .offset:         80
        .size:           8
        .value_kind:     global_buffer
      - .actual_access:  write_only
        .address_space:  global
        .offset:         88
        .size:           8
        .value_kind:     global_buffer
    .group_segment_fixed_size: 0
    .kernarg_segment_align: 8
    .kernarg_segment_size: 96
    .language:       OpenCL C
    .language_version:
      - 2
      - 0
    .max_flat_workgroup_size: 256
    .name:           _ZN9rocsparseL32bsr2csr_block_per_row_2_7_kernelILj256ELj6ElilEEv20rocsparse_direction_T3_S2_21rocsparse_index_base_PKT1_PKT2_PKS2_S2_S3_PS4_PS7_PS2_
    .private_segment_fixed_size: 0
    .sgpr_count:     18
    .sgpr_spill_count: 0
    .symbol:         _ZN9rocsparseL32bsr2csr_block_per_row_2_7_kernelILj256ELj6ElilEEv20rocsparse_direction_T3_S2_21rocsparse_index_base_PKT1_PKT2_PKS2_S2_S3_PS4_PS7_PS2_.kd
    .uniform_work_group_size: 1
    .uses_dynamic_stack: false
    .vgpr_count:     38
    .vgpr_spill_count: 0
    .wavefront_size: 32
  - .args:
      - .offset:         0
        .size:           4
        .value_kind:     by_value
      - .offset:         8
        .size:           8
        .value_kind:     by_value
      - .offset:         16
        .size:           8
        .value_kind:     by_value
      - .offset:         24
        .size:           4
        .value_kind:     by_value
      - .actual_access:  read_only
        .address_space:  global
        .offset:         32
        .size:           8
        .value_kind:     global_buffer
      - .actual_access:  read_only
        .address_space:  global
        .offset:         40
        .size:           8
        .value_kind:     global_buffer
      - .actual_access:  read_only
        .address_space:  global
        .offset:         48
        .size:           8
        .value_kind:     global_buffer
      - .offset:         56
        .size:           8
        .value_kind:     by_value
      - .offset:         64
        .size:           4
        .value_kind:     by_value
      - .actual_access:  write_only
        .address_space:  global
        .offset:         72
        .size:           8
        .value_kind:     global_buffer
      - .actual_access:  write_only
        .address_space:  global
        .offset:         80
        .size:           8
        .value_kind:     global_buffer
      - .actual_access:  write_only
        .address_space:  global
        .offset:         88
        .size:           8
        .value_kind:     global_buffer
    .group_segment_fixed_size: 0
    .kernarg_segment_align: 8
    .kernarg_segment_size: 96
    .language:       OpenCL C
    .language_version:
      - 2
      - 0
    .max_flat_workgroup_size: 256
    .name:           _ZN9rocsparseL32bsr2csr_block_per_row_2_7_kernelILj256ELj7ElilEEv20rocsparse_direction_T3_S2_21rocsparse_index_base_PKT1_PKT2_PKS2_S2_S3_PS4_PS7_PS2_
    .private_segment_fixed_size: 0
    .sgpr_count:     18
    .sgpr_spill_count: 0
    .symbol:         _ZN9rocsparseL32bsr2csr_block_per_row_2_7_kernelILj256ELj7ElilEEv20rocsparse_direction_T3_S2_21rocsparse_index_base_PKT1_PKT2_PKS2_S2_S3_PS4_PS7_PS2_.kd
    .uniform_work_group_size: 1
    .uses_dynamic_stack: false
    .vgpr_count:     42
    .vgpr_spill_count: 0
    .wavefront_size: 32
  - .args:
      - .offset:         0
        .size:           4
        .value_kind:     by_value
      - .offset:         8
        .size:           8
        .value_kind:     by_value
      - .offset:         16
        .size:           8
        .value_kind:     by_value
      - .offset:         24
        .size:           4
        .value_kind:     by_value
      - .actual_access:  read_only
        .address_space:  global
        .offset:         32
        .size:           8
        .value_kind:     global_buffer
      - .actual_access:  read_only
        .address_space:  global
        .offset:         40
        .size:           8
        .value_kind:     global_buffer
      - .actual_access:  read_only
        .address_space:  global
        .offset:         48
        .size:           8
        .value_kind:     global_buffer
      - .offset:         56
        .size:           8
        .value_kind:     by_value
      - .offset:         64
        .size:           4
        .value_kind:     by_value
      - .actual_access:  write_only
        .address_space:  global
        .offset:         72
        .size:           8
        .value_kind:     global_buffer
      - .actual_access:  write_only
        .address_space:  global
        .offset:         80
        .size:           8
        .value_kind:     global_buffer
      - .actual_access:  write_only
        .address_space:  global
        .offset:         88
        .size:           8
        .value_kind:     global_buffer
    .group_segment_fixed_size: 0
    .kernarg_segment_align: 8
    .kernarg_segment_size: 96
    .language:       OpenCL C
    .language_version:
      - 2
      - 0
    .max_flat_workgroup_size: 1024
    .name:           _ZN9rocsparseL33bsr2csr_block_per_row_8_32_kernelILj1024ELj8ElilEEv20rocsparse_direction_T3_S2_21rocsparse_index_base_PKT1_PKT2_PKS2_S2_S3_PS4_PS7_PS2_
    .private_segment_fixed_size: 0
    .sgpr_count:     22
    .sgpr_spill_count: 0
    .symbol:         _ZN9rocsparseL33bsr2csr_block_per_row_8_32_kernelILj1024ELj8ElilEEv20rocsparse_direction_T3_S2_21rocsparse_index_base_PKT1_PKT2_PKS2_S2_S3_PS4_PS7_PS2_.kd
    .uniform_work_group_size: 1
    .uses_dynamic_stack: false
    .vgpr_count:     16
    .vgpr_spill_count: 0
    .wavefront_size: 32
  - .args:
      - .offset:         0
        .size:           4
        .value_kind:     by_value
      - .offset:         8
        .size:           8
        .value_kind:     by_value
      - .offset:         16
        .size:           8
        .value_kind:     by_value
      - .offset:         24
        .size:           4
        .value_kind:     by_value
      - .actual_access:  read_only
        .address_space:  global
        .offset:         32
        .size:           8
        .value_kind:     global_buffer
      - .actual_access:  read_only
        .address_space:  global
        .offset:         40
        .size:           8
        .value_kind:     global_buffer
      - .actual_access:  read_only
        .address_space:  global
        .offset:         48
        .size:           8
        .value_kind:     global_buffer
      - .offset:         56
        .size:           8
        .value_kind:     by_value
      - .offset:         64
        .size:           4
        .value_kind:     by_value
      - .actual_access:  write_only
        .address_space:  global
        .offset:         72
        .size:           8
        .value_kind:     global_buffer
      - .actual_access:  write_only
        .address_space:  global
        .offset:         80
        .size:           8
        .value_kind:     global_buffer
      - .actual_access:  write_only
        .address_space:  global
        .offset:         88
        .size:           8
        .value_kind:     global_buffer
    .group_segment_fixed_size: 0
    .kernarg_segment_align: 8
    .kernarg_segment_size: 96
    .language:       OpenCL C
    .language_version:
      - 2
      - 0
    .max_flat_workgroup_size: 1024
    .name:           _ZN9rocsparseL33bsr2csr_block_per_row_8_32_kernelILj1024ELj16ElilEEv20rocsparse_direction_T3_S2_21rocsparse_index_base_PKT1_PKT2_PKS2_S2_S3_PS4_PS7_PS2_
    .private_segment_fixed_size: 0
    .sgpr_count:     22
    .sgpr_spill_count: 0
    .symbol:         _ZN9rocsparseL33bsr2csr_block_per_row_8_32_kernelILj1024ELj16ElilEEv20rocsparse_direction_T3_S2_21rocsparse_index_base_PKT1_PKT2_PKS2_S2_S3_PS4_PS7_PS2_.kd
    .uniform_work_group_size: 1
    .uses_dynamic_stack: false
    .vgpr_count:     16
    .vgpr_spill_count: 0
    .wavefront_size: 32
  - .args:
      - .offset:         0
        .size:           4
        .value_kind:     by_value
      - .offset:         8
        .size:           8
        .value_kind:     by_value
      - .offset:         16
        .size:           8
        .value_kind:     by_value
      - .offset:         24
        .size:           4
        .value_kind:     by_value
      - .actual_access:  read_only
        .address_space:  global
        .offset:         32
        .size:           8
        .value_kind:     global_buffer
      - .actual_access:  read_only
        .address_space:  global
        .offset:         40
        .size:           8
        .value_kind:     global_buffer
      - .actual_access:  read_only
        .address_space:  global
        .offset:         48
        .size:           8
        .value_kind:     global_buffer
      - .offset:         56
        .size:           8
        .value_kind:     by_value
      - .offset:         64
        .size:           4
        .value_kind:     by_value
      - .actual_access:  write_only
        .address_space:  global
        .offset:         72
        .size:           8
        .value_kind:     global_buffer
      - .actual_access:  write_only
        .address_space:  global
        .offset:         80
        .size:           8
        .value_kind:     global_buffer
      - .actual_access:  write_only
        .address_space:  global
        .offset:         88
        .size:           8
        .value_kind:     global_buffer
    .group_segment_fixed_size: 0
    .kernarg_segment_align: 8
    .kernarg_segment_size: 96
    .language:       OpenCL C
    .language_version:
      - 2
      - 0
    .max_flat_workgroup_size: 1024
    .name:           _ZN9rocsparseL33bsr2csr_block_per_row_8_32_kernelILj1024ELj32ElilEEv20rocsparse_direction_T3_S2_21rocsparse_index_base_PKT1_PKT2_PKS2_S2_S3_PS4_PS7_PS2_
    .private_segment_fixed_size: 0
    .sgpr_count:     24
    .sgpr_spill_count: 0
    .symbol:         _ZN9rocsparseL33bsr2csr_block_per_row_8_32_kernelILj1024ELj32ElilEEv20rocsparse_direction_T3_S2_21rocsparse_index_base_PKT1_PKT2_PKS2_S2_S3_PS4_PS7_PS2_.kd
    .uniform_work_group_size: 1
    .uses_dynamic_stack: false
    .vgpr_count:     14
    .vgpr_spill_count: 0
    .wavefront_size: 32
  - .args:
      - .offset:         0
        .size:           4
        .value_kind:     by_value
      - .offset:         8
        .size:           8
        .value_kind:     by_value
      - .offset:         16
        .size:           8
        .value_kind:     by_value
      - .offset:         24
        .size:           4
        .value_kind:     by_value
      - .actual_access:  read_only
        .address_space:  global
        .offset:         32
        .size:           8
        .value_kind:     global_buffer
      - .actual_access:  read_only
        .address_space:  global
        .offset:         40
        .size:           8
        .value_kind:     global_buffer
      - .actual_access:  read_only
        .address_space:  global
        .offset:         48
        .size:           8
        .value_kind:     global_buffer
      - .offset:         56
        .size:           8
        .value_kind:     by_value
      - .offset:         64
        .size:           4
        .value_kind:     by_value
      - .actual_access:  write_only
        .address_space:  global
        .offset:         72
        .size:           8
        .value_kind:     global_buffer
      - .actual_access:  write_only
        .address_space:  global
        .offset:         80
        .size:           8
        .value_kind:     global_buffer
      - .actual_access:  write_only
        .address_space:  global
        .offset:         88
        .size:           8
        .value_kind:     global_buffer
    .group_segment_fixed_size: 0
    .kernarg_segment_align: 8
    .kernarg_segment_size: 96
    .language:       OpenCL C
    .language_version:
      - 2
      - 0
    .max_flat_workgroup_size: 1024
    .name:           _ZN9rocsparseL35bsr2csr_block_per_row_33_256_kernelILj1024ELj64ELj32ElilEEv20rocsparse_direction_T4_S2_21rocsparse_index_base_PKT2_PKT3_PKS2_S2_S3_PS4_PS7_PS2_
    .private_segment_fixed_size: 0
    .sgpr_count:     30
    .sgpr_spill_count: 0
    .symbol:         _ZN9rocsparseL35bsr2csr_block_per_row_33_256_kernelILj1024ELj64ELj32ElilEEv20rocsparse_direction_T4_S2_21rocsparse_index_base_PKT2_PKT3_PKS2_S2_S3_PS4_PS7_PS2_.kd
    .uniform_work_group_size: 1
    .uses_dynamic_stack: false
    .vgpr_count:     34
    .vgpr_spill_count: 0
    .wavefront_size: 32
  - .args:
      - .offset:         0
        .size:           4
        .value_kind:     by_value
      - .offset:         8
        .size:           8
        .value_kind:     by_value
      - .offset:         16
        .size:           8
        .value_kind:     by_value
      - .offset:         24
        .size:           4
        .value_kind:     by_value
      - .actual_access:  read_only
        .address_space:  global
        .offset:         32
        .size:           8
        .value_kind:     global_buffer
      - .actual_access:  read_only
        .address_space:  global
        .offset:         40
        .size:           8
        .value_kind:     global_buffer
      - .actual_access:  read_only
        .address_space:  global
        .offset:         48
        .size:           8
        .value_kind:     global_buffer
      - .offset:         56
        .size:           8
        .value_kind:     by_value
      - .offset:         64
        .size:           4
        .value_kind:     by_value
      - .actual_access:  write_only
        .address_space:  global
        .offset:         72
        .size:           8
        .value_kind:     global_buffer
      - .actual_access:  write_only
        .address_space:  global
        .offset:         80
        .size:           8
        .value_kind:     global_buffer
      - .actual_access:  write_only
        .address_space:  global
        .offset:         88
        .size:           8
        .value_kind:     global_buffer
    .group_segment_fixed_size: 0
    .kernarg_segment_align: 8
    .kernarg_segment_size: 96
    .language:       OpenCL C
    .language_version:
      - 2
      - 0
    .max_flat_workgroup_size: 1024
    .name:           _ZN9rocsparseL35bsr2csr_block_per_row_33_256_kernelILj1024ELj128ELj32ElilEEv20rocsparse_direction_T4_S2_21rocsparse_index_base_PKT2_PKT3_PKS2_S2_S3_PS4_PS7_PS2_
    .private_segment_fixed_size: 0
    .sgpr_count:     47
    .sgpr_spill_count: 0
    .symbol:         _ZN9rocsparseL35bsr2csr_block_per_row_33_256_kernelILj1024ELj128ELj32ElilEEv20rocsparse_direction_T4_S2_21rocsparse_index_base_PKT2_PKT3_PKS2_S2_S3_PS4_PS7_PS2_.kd
    .uniform_work_group_size: 1
    .uses_dynamic_stack: false
    .vgpr_count:     60
    .vgpr_spill_count: 0
    .wavefront_size: 32
  - .args:
      - .offset:         0
        .size:           4
        .value_kind:     by_value
      - .offset:         8
        .size:           8
        .value_kind:     by_value
      - .offset:         16
        .size:           8
        .value_kind:     by_value
      - .offset:         24
        .size:           4
        .value_kind:     by_value
      - .actual_access:  read_only
        .address_space:  global
        .offset:         32
        .size:           8
        .value_kind:     global_buffer
      - .actual_access:  read_only
        .address_space:  global
        .offset:         40
        .size:           8
        .value_kind:     global_buffer
      - .actual_access:  read_only
        .address_space:  global
        .offset:         48
        .size:           8
        .value_kind:     global_buffer
      - .offset:         56
        .size:           8
        .value_kind:     by_value
      - .offset:         64
        .size:           4
        .value_kind:     by_value
      - .actual_access:  write_only
        .address_space:  global
        .offset:         72
        .size:           8
        .value_kind:     global_buffer
      - .actual_access:  write_only
        .address_space:  global
        .offset:         80
        .size:           8
        .value_kind:     global_buffer
      - .actual_access:  write_only
        .address_space:  global
        .offset:         88
        .size:           8
        .value_kind:     global_buffer
    .group_segment_fixed_size: 0
    .kernarg_segment_align: 8
    .kernarg_segment_size: 96
    .language:       OpenCL C
    .language_version:
      - 2
      - 0
    .max_flat_workgroup_size: 1024
    .name:           _ZN9rocsparseL35bsr2csr_block_per_row_33_256_kernelILj1024ELj256ELj32ElilEEv20rocsparse_direction_T4_S2_21rocsparse_index_base_PKT2_PKT3_PKS2_S2_S3_PS4_PS7_PS2_
    .private_segment_fixed_size: 0
    .sgpr_count:     97
    .sgpr_spill_count: 0
    .symbol:         _ZN9rocsparseL35bsr2csr_block_per_row_33_256_kernelILj1024ELj256ELj32ElilEEv20rocsparse_direction_T4_S2_21rocsparse_index_base_PKT2_PKT3_PKS2_S2_S3_PS4_PS7_PS2_.kd
    .uniform_work_group_size: 1
    .uses_dynamic_stack: false
    .vgpr_count:     108
    .vgpr_spill_count: 0
    .wavefront_size: 32
  - .args:
      - .offset:         0
        .size:           8
        .value_kind:     by_value
      - .offset:         8
        .size:           8
        .value_kind:     by_value
      - .offset:         16
        .size:           4
        .value_kind:     by_value
      - .actual_access:  read_only
        .address_space:  global
        .offset:         24
        .size:           8
        .value_kind:     global_buffer
      - .actual_access:  read_only
        .address_space:  global
        .offset:         32
        .size:           8
        .value_kind:     global_buffer
      - .actual_access:  read_only
        .address_space:  global
        .offset:         40
        .size:           8
        .value_kind:     global_buffer
      - .offset:         48
        .size:           4
        .value_kind:     by_value
      - .actual_access:  write_only
        .address_space:  global
        .offset:         56
        .size:           8
        .value_kind:     global_buffer
      - .actual_access:  write_only
        .address_space:  global
        .offset:         64
        .size:           8
        .value_kind:     global_buffer
      - .actual_access:  write_only
        .address_space:  global
        .offset:         72
        .size:           8
        .value_kind:     global_buffer
      - .offset:         80
        .size:           4
        .value_kind:     hidden_block_count_x
      - .offset:         84
        .size:           4
        .value_kind:     hidden_block_count_y
      - .offset:         88
        .size:           4
        .value_kind:     hidden_block_count_z
      - .offset:         92
        .size:           2
        .value_kind:     hidden_group_size_x
      - .offset:         94
        .size:           2
        .value_kind:     hidden_group_size_y
      - .offset:         96
        .size:           2
        .value_kind:     hidden_group_size_z
      - .offset:         98
        .size:           2
        .value_kind:     hidden_remainder_x
      - .offset:         100
        .size:           2
        .value_kind:     hidden_remainder_y
      - .offset:         102
        .size:           2
        .value_kind:     hidden_remainder_z
      - .offset:         120
        .size:           8
        .value_kind:     hidden_global_offset_x
      - .offset:         128
        .size:           8
        .value_kind:     hidden_global_offset_y
      - .offset:         136
        .size:           8
        .value_kind:     hidden_global_offset_z
      - .offset:         144
        .size:           2
        .value_kind:     hidden_grid_dims
    .group_segment_fixed_size: 0
    .kernarg_segment_align: 8
    .kernarg_segment_size: 336
    .language:       OpenCL C
    .language_version:
      - 2
      - 0
    .max_flat_workgroup_size: 1024
    .name:           _ZN9rocsparseL35bsr2csr_block_dim_equals_one_kernelILj1024ElllEEvT2_S1_21rocsparse_index_base_PKT0_PKT1_PKS1_S2_PS3_PS6_PS1_
    .private_segment_fixed_size: 0
    .sgpr_count:     24
    .sgpr_spill_count: 0
    .symbol:         _ZN9rocsparseL35bsr2csr_block_dim_equals_one_kernelILj1024ElllEEvT2_S1_21rocsparse_index_base_PKT0_PKT1_PKS1_S2_PS3_PS6_PS1_.kd
    .uniform_work_group_size: 1
    .uses_dynamic_stack: false
    .vgpr_count:     12
    .vgpr_spill_count: 0
    .wavefront_size: 32
  - .args:
      - .offset:         0
        .size:           4
        .value_kind:     by_value
      - .offset:         8
        .size:           8
        .value_kind:     by_value
      - .offset:         16
        .size:           8
        .value_kind:     by_value
      - .offset:         24
        .size:           4
        .value_kind:     by_value
      - .actual_access:  read_only
        .address_space:  global
        .offset:         32
        .size:           8
        .value_kind:     global_buffer
      - .actual_access:  read_only
        .address_space:  global
        .offset:         40
        .size:           8
        .value_kind:     global_buffer
      - .actual_access:  read_only
        .address_space:  global
        .offset:         48
        .size:           8
        .value_kind:     global_buffer
      - .offset:         56
        .size:           8
        .value_kind:     by_value
      - .offset:         64
        .size:           4
        .value_kind:     by_value
      - .actual_access:  write_only
        .address_space:  global
        .offset:         72
        .size:           8
        .value_kind:     global_buffer
      - .actual_access:  write_only
        .address_space:  global
        .offset:         80
        .size:           8
        .value_kind:     global_buffer
      - .actual_access:  write_only
        .address_space:  global
        .offset:         88
        .size:           8
        .value_kind:     global_buffer
    .group_segment_fixed_size: 0
    .kernarg_segment_align: 8
    .kernarg_segment_size: 96
    .language:       OpenCL C
    .language_version:
      - 2
      - 0
    .max_flat_workgroup_size: 256
    .name:           _ZN9rocsparseL32bsr2csr_block_per_row_2_7_kernelILj256ELj2ElllEEv20rocsparse_direction_T3_S2_21rocsparse_index_base_PKT1_PKT2_PKS2_S2_S3_PS4_PS7_PS2_
    .private_segment_fixed_size: 0
    .sgpr_count:     20
    .sgpr_spill_count: 0
    .symbol:         _ZN9rocsparseL32bsr2csr_block_per_row_2_7_kernelILj256ELj2ElllEEv20rocsparse_direction_T3_S2_21rocsparse_index_base_PKT1_PKT2_PKS2_S2_S3_PS4_PS7_PS2_.kd
    .uniform_work_group_size: 1
    .uses_dynamic_stack: false
    .vgpr_count:     26
    .vgpr_spill_count: 0
    .wavefront_size: 32
  - .args:
      - .offset:         0
        .size:           4
        .value_kind:     by_value
      - .offset:         8
        .size:           8
        .value_kind:     by_value
      - .offset:         16
        .size:           8
        .value_kind:     by_value
      - .offset:         24
        .size:           4
        .value_kind:     by_value
      - .actual_access:  read_only
        .address_space:  global
        .offset:         32
        .size:           8
        .value_kind:     global_buffer
      - .actual_access:  read_only
        .address_space:  global
        .offset:         40
        .size:           8
        .value_kind:     global_buffer
      - .actual_access:  read_only
        .address_space:  global
        .offset:         48
        .size:           8
        .value_kind:     global_buffer
      - .offset:         56
        .size:           8
        .value_kind:     by_value
      - .offset:         64
        .size:           4
        .value_kind:     by_value
      - .actual_access:  write_only
        .address_space:  global
        .offset:         72
        .size:           8
        .value_kind:     global_buffer
      - .actual_access:  write_only
        .address_space:  global
        .offset:         80
        .size:           8
        .value_kind:     global_buffer
      - .actual_access:  write_only
        .address_space:  global
        .offset:         88
        .size:           8
        .value_kind:     global_buffer
    .group_segment_fixed_size: 0
    .kernarg_segment_align: 8
    .kernarg_segment_size: 96
    .language:       OpenCL C
    .language_version:
      - 2
      - 0
    .max_flat_workgroup_size: 256
    .name:           _ZN9rocsparseL32bsr2csr_block_per_row_2_7_kernelILj256ELj3ElllEEv20rocsparse_direction_T3_S2_21rocsparse_index_base_PKT1_PKT2_PKS2_S2_S3_PS4_PS7_PS2_
    .private_segment_fixed_size: 0
    .sgpr_count:     20
    .sgpr_spill_count: 0
    .symbol:         _ZN9rocsparseL32bsr2csr_block_per_row_2_7_kernelILj256ELj3ElllEEv20rocsparse_direction_T3_S2_21rocsparse_index_base_PKT1_PKT2_PKS2_S2_S3_PS4_PS7_PS2_.kd
    .uniform_work_group_size: 1
    .uses_dynamic_stack: false
    .vgpr_count:     28
    .vgpr_spill_count: 0
    .wavefront_size: 32
  - .args:
      - .offset:         0
        .size:           4
        .value_kind:     by_value
      - .offset:         8
        .size:           8
        .value_kind:     by_value
      - .offset:         16
        .size:           8
        .value_kind:     by_value
      - .offset:         24
        .size:           4
        .value_kind:     by_value
      - .actual_access:  read_only
        .address_space:  global
        .offset:         32
        .size:           8
        .value_kind:     global_buffer
      - .actual_access:  read_only
        .address_space:  global
        .offset:         40
        .size:           8
        .value_kind:     global_buffer
      - .actual_access:  read_only
        .address_space:  global
        .offset:         48
        .size:           8
        .value_kind:     global_buffer
      - .offset:         56
        .size:           8
        .value_kind:     by_value
      - .offset:         64
        .size:           4
        .value_kind:     by_value
      - .actual_access:  write_only
        .address_space:  global
        .offset:         72
        .size:           8
        .value_kind:     global_buffer
      - .actual_access:  write_only
        .address_space:  global
        .offset:         80
        .size:           8
        .value_kind:     global_buffer
      - .actual_access:  write_only
        .address_space:  global
        .offset:         88
        .size:           8
        .value_kind:     global_buffer
    .group_segment_fixed_size: 0
    .kernarg_segment_align: 8
    .kernarg_segment_size: 96
    .language:       OpenCL C
    .language_version:
      - 2
      - 0
    .max_flat_workgroup_size: 256
    .name:           _ZN9rocsparseL32bsr2csr_block_per_row_2_7_kernelILj256ELj4ElllEEv20rocsparse_direction_T3_S2_21rocsparse_index_base_PKT1_PKT2_PKS2_S2_S3_PS4_PS7_PS2_
    .private_segment_fixed_size: 0
    .sgpr_count:     20
    .sgpr_spill_count: 0
    .symbol:         _ZN9rocsparseL32bsr2csr_block_per_row_2_7_kernelILj256ELj4ElllEEv20rocsparse_direction_T3_S2_21rocsparse_index_base_PKT1_PKT2_PKS2_S2_S3_PS4_PS7_PS2_.kd
    .uniform_work_group_size: 1
    .uses_dynamic_stack: false
    .vgpr_count:     30
    .vgpr_spill_count: 0
    .wavefront_size: 32
  - .args:
      - .offset:         0
        .size:           4
        .value_kind:     by_value
      - .offset:         8
        .size:           8
        .value_kind:     by_value
      - .offset:         16
        .size:           8
        .value_kind:     by_value
      - .offset:         24
        .size:           4
        .value_kind:     by_value
      - .actual_access:  read_only
        .address_space:  global
        .offset:         32
        .size:           8
        .value_kind:     global_buffer
      - .actual_access:  read_only
        .address_space:  global
        .offset:         40
        .size:           8
        .value_kind:     global_buffer
      - .actual_access:  read_only
        .address_space:  global
        .offset:         48
        .size:           8
        .value_kind:     global_buffer
      - .offset:         56
        .size:           8
        .value_kind:     by_value
      - .offset:         64
        .size:           4
        .value_kind:     by_value
      - .actual_access:  write_only
        .address_space:  global
        .offset:         72
        .size:           8
        .value_kind:     global_buffer
      - .actual_access:  write_only
        .address_space:  global
        .offset:         80
        .size:           8
        .value_kind:     global_buffer
      - .actual_access:  write_only
        .address_space:  global
        .offset:         88
        .size:           8
        .value_kind:     global_buffer
    .group_segment_fixed_size: 0
    .kernarg_segment_align: 8
    .kernarg_segment_size: 96
    .language:       OpenCL C
    .language_version:
      - 2
      - 0
    .max_flat_workgroup_size: 256
    .name:           _ZN9rocsparseL32bsr2csr_block_per_row_2_7_kernelILj256ELj5ElllEEv20rocsparse_direction_T3_S2_21rocsparse_index_base_PKT1_PKT2_PKS2_S2_S3_PS4_PS7_PS2_
    .private_segment_fixed_size: 0
    .sgpr_count:     20
    .sgpr_spill_count: 0
    .symbol:         _ZN9rocsparseL32bsr2csr_block_per_row_2_7_kernelILj256ELj5ElllEEv20rocsparse_direction_T3_S2_21rocsparse_index_base_PKT1_PKT2_PKS2_S2_S3_PS4_PS7_PS2_.kd
    .uniform_work_group_size: 1
    .uses_dynamic_stack: false
    .vgpr_count:     36
    .vgpr_spill_count: 0
    .wavefront_size: 32
  - .args:
      - .offset:         0
        .size:           4
        .value_kind:     by_value
      - .offset:         8
        .size:           8
        .value_kind:     by_value
      - .offset:         16
        .size:           8
        .value_kind:     by_value
      - .offset:         24
        .size:           4
        .value_kind:     by_value
      - .actual_access:  read_only
        .address_space:  global
        .offset:         32
        .size:           8
        .value_kind:     global_buffer
      - .actual_access:  read_only
        .address_space:  global
        .offset:         40
        .size:           8
        .value_kind:     global_buffer
      - .actual_access:  read_only
        .address_space:  global
        .offset:         48
        .size:           8
        .value_kind:     global_buffer
      - .offset:         56
        .size:           8
        .value_kind:     by_value
      - .offset:         64
        .size:           4
        .value_kind:     by_value
      - .actual_access:  write_only
        .address_space:  global
        .offset:         72
        .size:           8
        .value_kind:     global_buffer
      - .actual_access:  write_only
        .address_space:  global
        .offset:         80
        .size:           8
        .value_kind:     global_buffer
      - .actual_access:  write_only
        .address_space:  global
        .offset:         88
        .size:           8
        .value_kind:     global_buffer
    .group_segment_fixed_size: 0
    .kernarg_segment_align: 8
    .kernarg_segment_size: 96
    .language:       OpenCL C
    .language_version:
      - 2
      - 0
    .max_flat_workgroup_size: 256
    .name:           _ZN9rocsparseL32bsr2csr_block_per_row_2_7_kernelILj256ELj6ElllEEv20rocsparse_direction_T3_S2_21rocsparse_index_base_PKT1_PKT2_PKS2_S2_S3_PS4_PS7_PS2_
    .private_segment_fixed_size: 0
    .sgpr_count:     20
    .sgpr_spill_count: 0
    .symbol:         _ZN9rocsparseL32bsr2csr_block_per_row_2_7_kernelILj256ELj6ElllEEv20rocsparse_direction_T3_S2_21rocsparse_index_base_PKT1_PKT2_PKS2_S2_S3_PS4_PS7_PS2_.kd
    .uniform_work_group_size: 1
    .uses_dynamic_stack: false
    .vgpr_count:     38
    .vgpr_spill_count: 0
    .wavefront_size: 32
  - .args:
      - .offset:         0
        .size:           4
        .value_kind:     by_value
      - .offset:         8
        .size:           8
        .value_kind:     by_value
      - .offset:         16
        .size:           8
        .value_kind:     by_value
      - .offset:         24
        .size:           4
        .value_kind:     by_value
      - .actual_access:  read_only
        .address_space:  global
        .offset:         32
        .size:           8
        .value_kind:     global_buffer
      - .actual_access:  read_only
        .address_space:  global
        .offset:         40
        .size:           8
        .value_kind:     global_buffer
      - .actual_access:  read_only
        .address_space:  global
        .offset:         48
        .size:           8
        .value_kind:     global_buffer
      - .offset:         56
        .size:           8
        .value_kind:     by_value
      - .offset:         64
        .size:           4
        .value_kind:     by_value
      - .actual_access:  write_only
        .address_space:  global
        .offset:         72
        .size:           8
        .value_kind:     global_buffer
      - .actual_access:  write_only
        .address_space:  global
        .offset:         80
        .size:           8
        .value_kind:     global_buffer
      - .actual_access:  write_only
        .address_space:  global
        .offset:         88
        .size:           8
        .value_kind:     global_buffer
    .group_segment_fixed_size: 0
    .kernarg_segment_align: 8
    .kernarg_segment_size: 96
    .language:       OpenCL C
    .language_version:
      - 2
      - 0
    .max_flat_workgroup_size: 256
    .name:           _ZN9rocsparseL32bsr2csr_block_per_row_2_7_kernelILj256ELj7ElllEEv20rocsparse_direction_T3_S2_21rocsparse_index_base_PKT1_PKT2_PKS2_S2_S3_PS4_PS7_PS2_
    .private_segment_fixed_size: 0
    .sgpr_count:     20
    .sgpr_spill_count: 0
    .symbol:         _ZN9rocsparseL32bsr2csr_block_per_row_2_7_kernelILj256ELj7ElllEEv20rocsparse_direction_T3_S2_21rocsparse_index_base_PKT1_PKT2_PKS2_S2_S3_PS4_PS7_PS2_.kd
    .uniform_work_group_size: 1
    .uses_dynamic_stack: false
    .vgpr_count:     42
    .vgpr_spill_count: 0
    .wavefront_size: 32
  - .args:
      - .offset:         0
        .size:           4
        .value_kind:     by_value
      - .offset:         8
        .size:           8
        .value_kind:     by_value
      - .offset:         16
        .size:           8
        .value_kind:     by_value
      - .offset:         24
        .size:           4
        .value_kind:     by_value
      - .actual_access:  read_only
        .address_space:  global
        .offset:         32
        .size:           8
        .value_kind:     global_buffer
      - .actual_access:  read_only
        .address_space:  global
        .offset:         40
        .size:           8
        .value_kind:     global_buffer
      - .actual_access:  read_only
        .address_space:  global
        .offset:         48
        .size:           8
        .value_kind:     global_buffer
      - .offset:         56
        .size:           8
        .value_kind:     by_value
      - .offset:         64
        .size:           4
        .value_kind:     by_value
      - .actual_access:  write_only
        .address_space:  global
        .offset:         72
        .size:           8
        .value_kind:     global_buffer
      - .actual_access:  write_only
        .address_space:  global
        .offset:         80
        .size:           8
        .value_kind:     global_buffer
      - .actual_access:  write_only
        .address_space:  global
        .offset:         88
        .size:           8
        .value_kind:     global_buffer
    .group_segment_fixed_size: 0
    .kernarg_segment_align: 8
    .kernarg_segment_size: 96
    .language:       OpenCL C
    .language_version:
      - 2
      - 0
    .max_flat_workgroup_size: 1024
    .name:           _ZN9rocsparseL33bsr2csr_block_per_row_8_32_kernelILj1024ELj8ElllEEv20rocsparse_direction_T3_S2_21rocsparse_index_base_PKT1_PKT2_PKS2_S2_S3_PS4_PS7_PS2_
    .private_segment_fixed_size: 0
    .sgpr_count:     28
    .sgpr_spill_count: 0
    .symbol:         _ZN9rocsparseL33bsr2csr_block_per_row_8_32_kernelILj1024ELj8ElllEEv20rocsparse_direction_T3_S2_21rocsparse_index_base_PKT1_PKT2_PKS2_S2_S3_PS4_PS7_PS2_.kd
    .uniform_work_group_size: 1
    .uses_dynamic_stack: false
    .vgpr_count:     18
    .vgpr_spill_count: 0
    .wavefront_size: 32
  - .args:
      - .offset:         0
        .size:           4
        .value_kind:     by_value
      - .offset:         8
        .size:           8
        .value_kind:     by_value
      - .offset:         16
        .size:           8
        .value_kind:     by_value
      - .offset:         24
        .size:           4
        .value_kind:     by_value
      - .actual_access:  read_only
        .address_space:  global
        .offset:         32
        .size:           8
        .value_kind:     global_buffer
      - .actual_access:  read_only
        .address_space:  global
        .offset:         40
        .size:           8
        .value_kind:     global_buffer
      - .actual_access:  read_only
        .address_space:  global
        .offset:         48
        .size:           8
        .value_kind:     global_buffer
      - .offset:         56
        .size:           8
        .value_kind:     by_value
      - .offset:         64
        .size:           4
        .value_kind:     by_value
      - .actual_access:  write_only
        .address_space:  global
        .offset:         72
        .size:           8
        .value_kind:     global_buffer
      - .actual_access:  write_only
        .address_space:  global
        .offset:         80
        .size:           8
        .value_kind:     global_buffer
      - .actual_access:  write_only
        .address_space:  global
        .offset:         88
        .size:           8
        .value_kind:     global_buffer
    .group_segment_fixed_size: 0
    .kernarg_segment_align: 8
    .kernarg_segment_size: 96
    .language:       OpenCL C
    .language_version:
      - 2
      - 0
    .max_flat_workgroup_size: 1024
    .name:           _ZN9rocsparseL33bsr2csr_block_per_row_8_32_kernelILj1024ELj16ElllEEv20rocsparse_direction_T3_S2_21rocsparse_index_base_PKT1_PKT2_PKS2_S2_S3_PS4_PS7_PS2_
    .private_segment_fixed_size: 0
    .sgpr_count:     28
    .sgpr_spill_count: 0
    .symbol:         _ZN9rocsparseL33bsr2csr_block_per_row_8_32_kernelILj1024ELj16ElllEEv20rocsparse_direction_T3_S2_21rocsparse_index_base_PKT1_PKT2_PKS2_S2_S3_PS4_PS7_PS2_.kd
    .uniform_work_group_size: 1
    .uses_dynamic_stack: false
    .vgpr_count:     18
    .vgpr_spill_count: 0
    .wavefront_size: 32
  - .args:
      - .offset:         0
        .size:           4
        .value_kind:     by_value
      - .offset:         8
        .size:           8
        .value_kind:     by_value
      - .offset:         16
        .size:           8
        .value_kind:     by_value
      - .offset:         24
        .size:           4
        .value_kind:     by_value
      - .actual_access:  read_only
        .address_space:  global
        .offset:         32
        .size:           8
        .value_kind:     global_buffer
      - .actual_access:  read_only
        .address_space:  global
        .offset:         40
        .size:           8
        .value_kind:     global_buffer
      - .actual_access:  read_only
        .address_space:  global
        .offset:         48
        .size:           8
        .value_kind:     global_buffer
      - .offset:         56
        .size:           8
        .value_kind:     by_value
      - .offset:         64
        .size:           4
        .value_kind:     by_value
      - .actual_access:  write_only
        .address_space:  global
        .offset:         72
        .size:           8
        .value_kind:     global_buffer
      - .actual_access:  write_only
        .address_space:  global
        .offset:         80
        .size:           8
        .value_kind:     global_buffer
      - .actual_access:  write_only
        .address_space:  global
        .offset:         88
        .size:           8
        .value_kind:     global_buffer
    .group_segment_fixed_size: 0
    .kernarg_segment_align: 8
    .kernarg_segment_size: 96
    .language:       OpenCL C
    .language_version:
      - 2
      - 0
    .max_flat_workgroup_size: 1024
    .name:           _ZN9rocsparseL33bsr2csr_block_per_row_8_32_kernelILj1024ELj32ElllEEv20rocsparse_direction_T3_S2_21rocsparse_index_base_PKT1_PKT2_PKS2_S2_S3_PS4_PS7_PS2_
    .private_segment_fixed_size: 0
    .sgpr_count:     32
    .sgpr_spill_count: 0
    .symbol:         _ZN9rocsparseL33bsr2csr_block_per_row_8_32_kernelILj1024ELj32ElllEEv20rocsparse_direction_T3_S2_21rocsparse_index_base_PKT1_PKT2_PKS2_S2_S3_PS4_PS7_PS2_.kd
    .uniform_work_group_size: 1
    .uses_dynamic_stack: false
    .vgpr_count:     14
    .vgpr_spill_count: 0
    .wavefront_size: 32
  - .args:
      - .offset:         0
        .size:           4
        .value_kind:     by_value
      - .offset:         8
        .size:           8
        .value_kind:     by_value
      - .offset:         16
        .size:           8
        .value_kind:     by_value
      - .offset:         24
        .size:           4
        .value_kind:     by_value
      - .actual_access:  read_only
        .address_space:  global
        .offset:         32
        .size:           8
        .value_kind:     global_buffer
      - .actual_access:  read_only
        .address_space:  global
        .offset:         40
        .size:           8
        .value_kind:     global_buffer
      - .actual_access:  read_only
        .address_space:  global
        .offset:         48
        .size:           8
        .value_kind:     global_buffer
      - .offset:         56
        .size:           8
        .value_kind:     by_value
      - .offset:         64
        .size:           4
        .value_kind:     by_value
      - .actual_access:  write_only
        .address_space:  global
        .offset:         72
        .size:           8
        .value_kind:     global_buffer
      - .actual_access:  write_only
        .address_space:  global
        .offset:         80
        .size:           8
        .value_kind:     global_buffer
      - .actual_access:  write_only
        .address_space:  global
        .offset:         88
        .size:           8
        .value_kind:     global_buffer
    .group_segment_fixed_size: 0
    .kernarg_segment_align: 8
    .kernarg_segment_size: 96
    .language:       OpenCL C
    .language_version:
      - 2
      - 0
    .max_flat_workgroup_size: 1024
    .name:           _ZN9rocsparseL35bsr2csr_block_per_row_33_256_kernelILj1024ELj64ELj32ElllEEv20rocsparse_direction_T4_S2_21rocsparse_index_base_PKT2_PKT3_PKS2_S2_S3_PS4_PS7_PS2_
    .private_segment_fixed_size: 0
    .sgpr_count:     32
    .sgpr_spill_count: 0
    .symbol:         _ZN9rocsparseL35bsr2csr_block_per_row_33_256_kernelILj1024ELj64ELj32ElllEEv20rocsparse_direction_T4_S2_21rocsparse_index_base_PKT2_PKT3_PKS2_S2_S3_PS4_PS7_PS2_.kd
    .uniform_work_group_size: 1
    .uses_dynamic_stack: false
    .vgpr_count:     36
    .vgpr_spill_count: 0
    .wavefront_size: 32
  - .args:
      - .offset:         0
        .size:           4
        .value_kind:     by_value
      - .offset:         8
        .size:           8
        .value_kind:     by_value
      - .offset:         16
        .size:           8
        .value_kind:     by_value
      - .offset:         24
        .size:           4
        .value_kind:     by_value
      - .actual_access:  read_only
        .address_space:  global
        .offset:         32
        .size:           8
        .value_kind:     global_buffer
      - .actual_access:  read_only
        .address_space:  global
        .offset:         40
        .size:           8
        .value_kind:     global_buffer
      - .actual_access:  read_only
        .address_space:  global
        .offset:         48
        .size:           8
        .value_kind:     global_buffer
      - .offset:         56
        .size:           8
        .value_kind:     by_value
      - .offset:         64
        .size:           4
        .value_kind:     by_value
      - .actual_access:  write_only
        .address_space:  global
        .offset:         72
        .size:           8
        .value_kind:     global_buffer
      - .actual_access:  write_only
        .address_space:  global
        .offset:         80
        .size:           8
        .value_kind:     global_buffer
      - .actual_access:  write_only
        .address_space:  global
        .offset:         88
        .size:           8
        .value_kind:     global_buffer
    .group_segment_fixed_size: 0
    .kernarg_segment_align: 8
    .kernarg_segment_size: 96
    .language:       OpenCL C
    .language_version:
      - 2
      - 0
    .max_flat_workgroup_size: 1024
    .name:           _ZN9rocsparseL35bsr2csr_block_per_row_33_256_kernelILj1024ELj128ELj32ElllEEv20rocsparse_direction_T4_S2_21rocsparse_index_base_PKT2_PKT3_PKS2_S2_S3_PS4_PS7_PS2_
    .private_segment_fixed_size: 0
    .sgpr_count:     46
    .sgpr_spill_count: 0
    .symbol:         _ZN9rocsparseL35bsr2csr_block_per_row_33_256_kernelILj1024ELj128ELj32ElllEEv20rocsparse_direction_T4_S2_21rocsparse_index_base_PKT2_PKT3_PKS2_S2_S3_PS4_PS7_PS2_.kd
    .uniform_work_group_size: 1
    .uses_dynamic_stack: false
    .vgpr_count:     68
    .vgpr_spill_count: 0
    .wavefront_size: 32
  - .args:
      - .offset:         0
        .size:           4
        .value_kind:     by_value
      - .offset:         8
        .size:           8
        .value_kind:     by_value
      - .offset:         16
        .size:           8
        .value_kind:     by_value
      - .offset:         24
        .size:           4
        .value_kind:     by_value
      - .actual_access:  read_only
        .address_space:  global
        .offset:         32
        .size:           8
        .value_kind:     global_buffer
      - .actual_access:  read_only
        .address_space:  global
        .offset:         40
        .size:           8
        .value_kind:     global_buffer
      - .actual_access:  read_only
        .address_space:  global
        .offset:         48
        .size:           8
        .value_kind:     global_buffer
      - .offset:         56
        .size:           8
        .value_kind:     by_value
      - .offset:         64
        .size:           4
        .value_kind:     by_value
      - .actual_access:  write_only
        .address_space:  global
        .offset:         72
        .size:           8
        .value_kind:     global_buffer
      - .actual_access:  write_only
        .address_space:  global
        .offset:         80
        .size:           8
        .value_kind:     global_buffer
      - .actual_access:  write_only
        .address_space:  global
        .offset:         88
        .size:           8
        .value_kind:     global_buffer
    .group_segment_fixed_size: 0
    .kernarg_segment_align: 8
    .kernarg_segment_size: 96
    .language:       OpenCL C
    .language_version:
      - 2
      - 0
    .max_flat_workgroup_size: 1024
    .name:           _ZN9rocsparseL35bsr2csr_block_per_row_33_256_kernelILj1024ELj256ELj32ElllEEv20rocsparse_direction_T4_S2_21rocsparse_index_base_PKT2_PKT3_PKS2_S2_S3_PS4_PS7_PS2_
    .private_segment_fixed_size: 0
    .sgpr_count:     102
    .sgpr_spill_count: 0
    .symbol:         _ZN9rocsparseL35bsr2csr_block_per_row_33_256_kernelILj1024ELj256ELj32ElllEEv20rocsparse_direction_T4_S2_21rocsparse_index_base_PKT2_PKT3_PKS2_S2_S3_PS4_PS7_PS2_.kd
    .uniform_work_group_size: 1
    .uses_dynamic_stack: false
    .vgpr_count:     96
    .vgpr_spill_count: 0
    .wavefront_size: 32
  - .args:
      - .offset:         0
        .size:           4
        .value_kind:     by_value
      - .offset:         4
        .size:           4
        .value_kind:     by_value
      - .offset:         8
        .size:           4
        .value_kind:     by_value
      - .actual_access:  read_only
        .address_space:  global
        .offset:         16
        .size:           8
        .value_kind:     global_buffer
      - .actual_access:  read_only
        .address_space:  global
        .offset:         24
        .size:           8
        .value_kind:     global_buffer
      - .actual_access:  read_only
        .address_space:  global
        .offset:         32
        .size:           8
        .value_kind:     global_buffer
      - .offset:         40
        .size:           4
        .value_kind:     by_value
      - .actual_access:  write_only
        .address_space:  global
        .offset:         48
        .size:           8
        .value_kind:     global_buffer
      - .actual_access:  write_only
        .address_space:  global
        .offset:         56
        .size:           8
        .value_kind:     global_buffer
      - .actual_access:  write_only
        .address_space:  global
        .offset:         64
        .size:           8
        .value_kind:     global_buffer
      - .offset:         72
        .size:           4
        .value_kind:     hidden_block_count_x
      - .offset:         76
        .size:           4
        .value_kind:     hidden_block_count_y
      - .offset:         80
        .size:           4
        .value_kind:     hidden_block_count_z
      - .offset:         84
        .size:           2
        .value_kind:     hidden_group_size_x
      - .offset:         86
        .size:           2
        .value_kind:     hidden_group_size_y
      - .offset:         88
        .size:           2
        .value_kind:     hidden_group_size_z
      - .offset:         90
        .size:           2
        .value_kind:     hidden_remainder_x
      - .offset:         92
        .size:           2
        .value_kind:     hidden_remainder_y
      - .offset:         94
        .size:           2
        .value_kind:     hidden_remainder_z
      - .offset:         112
        .size:           8
        .value_kind:     hidden_global_offset_x
      - .offset:         120
        .size:           8
        .value_kind:     hidden_global_offset_y
      - .offset:         128
        .size:           8
        .value_kind:     hidden_global_offset_z
      - .offset:         136
        .size:           2
        .value_kind:     hidden_grid_dims
    .group_segment_fixed_size: 0
    .kernarg_segment_align: 8
    .kernarg_segment_size: 328
    .language:       OpenCL C
    .language_version:
      - 2
      - 0
    .max_flat_workgroup_size: 1024
    .name:           _ZN9rocsparseL35bsr2csr_block_dim_equals_one_kernelILj1024EfiiEEvT2_S1_21rocsparse_index_base_PKT0_PKT1_PKS1_S2_PS3_PS6_PS1_
    .private_segment_fixed_size: 0
    .sgpr_count:     23
    .sgpr_spill_count: 0
    .symbol:         _ZN9rocsparseL35bsr2csr_block_dim_equals_one_kernelILj1024EfiiEEvT2_S1_21rocsparse_index_base_PKT0_PKT1_PKS1_S2_PS3_PS6_PS1_.kd
    .uniform_work_group_size: 1
    .uses_dynamic_stack: false
    .vgpr_count:     4
    .vgpr_spill_count: 0
    .wavefront_size: 32
  - .args:
      - .offset:         0
        .size:           4
        .value_kind:     by_value
      - .offset:         4
        .size:           4
        .value_kind:     by_value
      - .offset:         8
        .size:           4
        .value_kind:     by_value
      - .offset:         12
        .size:           4
        .value_kind:     by_value
      - .actual_access:  read_only
        .address_space:  global
        .offset:         16
        .size:           8
        .value_kind:     global_buffer
      - .actual_access:  read_only
        .address_space:  global
        .offset:         24
        .size:           8
        .value_kind:     global_buffer
      - .actual_access:  read_only
        .address_space:  global
        .offset:         32
        .size:           8
        .value_kind:     global_buffer
      - .offset:         40
        .size:           4
        .value_kind:     by_value
      - .offset:         44
        .size:           4
        .value_kind:     by_value
      - .actual_access:  write_only
        .address_space:  global
        .offset:         48
        .size:           8
        .value_kind:     global_buffer
      - .actual_access:  write_only
        .address_space:  global
        .offset:         56
        .size:           8
        .value_kind:     global_buffer
      - .actual_access:  write_only
        .address_space:  global
        .offset:         64
        .size:           8
        .value_kind:     global_buffer
    .group_segment_fixed_size: 0
    .kernarg_segment_align: 8
    .kernarg_segment_size: 72
    .language:       OpenCL C
    .language_version:
      - 2
      - 0
    .max_flat_workgroup_size: 256
    .name:           _ZN9rocsparseL32bsr2csr_block_per_row_2_7_kernelILj256ELj2EfiiEEv20rocsparse_direction_T3_S2_21rocsparse_index_base_PKT1_PKT2_PKS2_S2_S3_PS4_PS7_PS2_
    .private_segment_fixed_size: 0
    .sgpr_count:     23
    .sgpr_spill_count: 0
    .symbol:         _ZN9rocsparseL32bsr2csr_block_per_row_2_7_kernelILj256ELj2EfiiEEv20rocsparse_direction_T3_S2_21rocsparse_index_base_PKT1_PKT2_PKS2_S2_S3_PS4_PS7_PS2_.kd
    .uniform_work_group_size: 1
    .uses_dynamic_stack: false
    .vgpr_count:     32
    .vgpr_spill_count: 0
    .wavefront_size: 32
  - .args:
      - .offset:         0
        .size:           4
        .value_kind:     by_value
      - .offset:         4
        .size:           4
        .value_kind:     by_value
      - .offset:         8
        .size:           4
        .value_kind:     by_value
      - .offset:         12
        .size:           4
        .value_kind:     by_value
      - .actual_access:  read_only
        .address_space:  global
        .offset:         16
        .size:           8
        .value_kind:     global_buffer
      - .actual_access:  read_only
        .address_space:  global
        .offset:         24
        .size:           8
        .value_kind:     global_buffer
      - .actual_access:  read_only
        .address_space:  global
        .offset:         32
        .size:           8
        .value_kind:     global_buffer
      - .offset:         40
        .size:           4
        .value_kind:     by_value
      - .offset:         44
        .size:           4
        .value_kind:     by_value
      - .actual_access:  write_only
        .address_space:  global
        .offset:         48
        .size:           8
        .value_kind:     global_buffer
      - .actual_access:  write_only
        .address_space:  global
        .offset:         56
        .size:           8
        .value_kind:     global_buffer
      - .actual_access:  write_only
        .address_space:  global
        .offset:         64
        .size:           8
        .value_kind:     global_buffer
    .group_segment_fixed_size: 0
    .kernarg_segment_align: 8
    .kernarg_segment_size: 72
    .language:       OpenCL C
    .language_version:
      - 2
      - 0
    .max_flat_workgroup_size: 256
    .name:           _ZN9rocsparseL32bsr2csr_block_per_row_2_7_kernelILj256ELj3EfiiEEv20rocsparse_direction_T3_S2_21rocsparse_index_base_PKT1_PKT2_PKS2_S2_S3_PS4_PS7_PS2_
    .private_segment_fixed_size: 0
    .sgpr_count:     17
    .sgpr_spill_count: 0
    .symbol:         _ZN9rocsparseL32bsr2csr_block_per_row_2_7_kernelILj256ELj3EfiiEEv20rocsparse_direction_T3_S2_21rocsparse_index_base_PKT1_PKT2_PKS2_S2_S3_PS4_PS7_PS2_.kd
    .uniform_work_group_size: 1
    .uses_dynamic_stack: false
    .vgpr_count:     18
    .vgpr_spill_count: 0
    .wavefront_size: 32
  - .args:
      - .offset:         0
        .size:           4
        .value_kind:     by_value
      - .offset:         4
        .size:           4
        .value_kind:     by_value
      - .offset:         8
        .size:           4
        .value_kind:     by_value
      - .offset:         12
        .size:           4
        .value_kind:     by_value
      - .actual_access:  read_only
        .address_space:  global
        .offset:         16
        .size:           8
        .value_kind:     global_buffer
      - .actual_access:  read_only
        .address_space:  global
        .offset:         24
        .size:           8
        .value_kind:     global_buffer
      - .actual_access:  read_only
        .address_space:  global
        .offset:         32
        .size:           8
        .value_kind:     global_buffer
      - .offset:         40
        .size:           4
        .value_kind:     by_value
      - .offset:         44
        .size:           4
        .value_kind:     by_value
      - .actual_access:  write_only
        .address_space:  global
        .offset:         48
        .size:           8
        .value_kind:     global_buffer
      - .actual_access:  write_only
        .address_space:  global
        .offset:         56
        .size:           8
        .value_kind:     global_buffer
      - .actual_access:  write_only
        .address_space:  global
        .offset:         64
        .size:           8
        .value_kind:     global_buffer
    .group_segment_fixed_size: 0
    .kernarg_segment_align: 8
    .kernarg_segment_size: 72
    .language:       OpenCL C
    .language_version:
      - 2
      - 0
    .max_flat_workgroup_size: 256
    .name:           _ZN9rocsparseL32bsr2csr_block_per_row_2_7_kernelILj256ELj4EfiiEEv20rocsparse_direction_T3_S2_21rocsparse_index_base_PKT1_PKT2_PKS2_S2_S3_PS4_PS7_PS2_
    .private_segment_fixed_size: 0
    .sgpr_count:     23
    .sgpr_spill_count: 0
    .symbol:         _ZN9rocsparseL32bsr2csr_block_per_row_2_7_kernelILj256ELj4EfiiEEv20rocsparse_direction_T3_S2_21rocsparse_index_base_PKT1_PKT2_PKS2_S2_S3_PS4_PS7_PS2_.kd
    .uniform_work_group_size: 1
    .uses_dynamic_stack: false
    .vgpr_count:     38
    .vgpr_spill_count: 0
    .wavefront_size: 32
  - .args:
      - .offset:         0
        .size:           4
        .value_kind:     by_value
      - .offset:         4
        .size:           4
        .value_kind:     by_value
      - .offset:         8
        .size:           4
        .value_kind:     by_value
      - .offset:         12
        .size:           4
        .value_kind:     by_value
      - .actual_access:  read_only
        .address_space:  global
        .offset:         16
        .size:           8
        .value_kind:     global_buffer
      - .actual_access:  read_only
        .address_space:  global
        .offset:         24
        .size:           8
        .value_kind:     global_buffer
      - .actual_access:  read_only
        .address_space:  global
        .offset:         32
        .size:           8
        .value_kind:     global_buffer
      - .offset:         40
        .size:           4
        .value_kind:     by_value
      - .offset:         44
        .size:           4
        .value_kind:     by_value
      - .actual_access:  write_only
        .address_space:  global
        .offset:         48
        .size:           8
        .value_kind:     global_buffer
      - .actual_access:  write_only
        .address_space:  global
        .offset:         56
        .size:           8
        .value_kind:     global_buffer
      - .actual_access:  write_only
        .address_space:  global
        .offset:         64
        .size:           8
        .value_kind:     global_buffer
    .group_segment_fixed_size: 0
    .kernarg_segment_align: 8
    .kernarg_segment_size: 72
    .language:       OpenCL C
    .language_version:
      - 2
      - 0
    .max_flat_workgroup_size: 256
    .name:           _ZN9rocsparseL32bsr2csr_block_per_row_2_7_kernelILj256ELj5EfiiEEv20rocsparse_direction_T3_S2_21rocsparse_index_base_PKT1_PKT2_PKS2_S2_S3_PS4_PS7_PS2_
    .private_segment_fixed_size: 0
    .sgpr_count:     17
    .sgpr_spill_count: 0
    .symbol:         _ZN9rocsparseL32bsr2csr_block_per_row_2_7_kernelILj256ELj5EfiiEEv20rocsparse_direction_T3_S2_21rocsparse_index_base_PKT1_PKT2_PKS2_S2_S3_PS4_PS7_PS2_.kd
    .uniform_work_group_size: 1
    .uses_dynamic_stack: false
    .vgpr_count:     19
    .vgpr_spill_count: 0
    .wavefront_size: 32
  - .args:
      - .offset:         0
        .size:           4
        .value_kind:     by_value
      - .offset:         4
        .size:           4
        .value_kind:     by_value
      - .offset:         8
        .size:           4
        .value_kind:     by_value
      - .offset:         12
        .size:           4
        .value_kind:     by_value
      - .actual_access:  read_only
        .address_space:  global
        .offset:         16
        .size:           8
        .value_kind:     global_buffer
      - .actual_access:  read_only
        .address_space:  global
        .offset:         24
        .size:           8
        .value_kind:     global_buffer
      - .actual_access:  read_only
        .address_space:  global
        .offset:         32
        .size:           8
        .value_kind:     global_buffer
      - .offset:         40
        .size:           4
        .value_kind:     by_value
      - .offset:         44
        .size:           4
        .value_kind:     by_value
      - .actual_access:  write_only
        .address_space:  global
        .offset:         48
        .size:           8
        .value_kind:     global_buffer
      - .actual_access:  write_only
        .address_space:  global
        .offset:         56
        .size:           8
        .value_kind:     global_buffer
      - .actual_access:  write_only
        .address_space:  global
        .offset:         64
        .size:           8
        .value_kind:     global_buffer
    .group_segment_fixed_size: 0
    .kernarg_segment_align: 8
    .kernarg_segment_size: 72
    .language:       OpenCL C
    .language_version:
      - 2
      - 0
    .max_flat_workgroup_size: 256
    .name:           _ZN9rocsparseL32bsr2csr_block_per_row_2_7_kernelILj256ELj6EfiiEEv20rocsparse_direction_T3_S2_21rocsparse_index_base_PKT1_PKT2_PKS2_S2_S3_PS4_PS7_PS2_
    .private_segment_fixed_size: 0
    .sgpr_count:     17
    .sgpr_spill_count: 0
    .symbol:         _ZN9rocsparseL32bsr2csr_block_per_row_2_7_kernelILj256ELj6EfiiEEv20rocsparse_direction_T3_S2_21rocsparse_index_base_PKT1_PKT2_PKS2_S2_S3_PS4_PS7_PS2_.kd
    .uniform_work_group_size: 1
    .uses_dynamic_stack: false
    .vgpr_count:     22
    .vgpr_spill_count: 0
    .wavefront_size: 32
  - .args:
      - .offset:         0
        .size:           4
        .value_kind:     by_value
      - .offset:         4
        .size:           4
        .value_kind:     by_value
      - .offset:         8
        .size:           4
        .value_kind:     by_value
      - .offset:         12
        .size:           4
        .value_kind:     by_value
      - .actual_access:  read_only
        .address_space:  global
        .offset:         16
        .size:           8
        .value_kind:     global_buffer
      - .actual_access:  read_only
        .address_space:  global
        .offset:         24
        .size:           8
        .value_kind:     global_buffer
      - .actual_access:  read_only
        .address_space:  global
        .offset:         32
        .size:           8
        .value_kind:     global_buffer
      - .offset:         40
        .size:           4
        .value_kind:     by_value
      - .offset:         44
        .size:           4
        .value_kind:     by_value
      - .actual_access:  write_only
        .address_space:  global
        .offset:         48
        .size:           8
        .value_kind:     global_buffer
      - .actual_access:  write_only
        .address_space:  global
        .offset:         56
        .size:           8
        .value_kind:     global_buffer
      - .actual_access:  write_only
        .address_space:  global
        .offset:         64
        .size:           8
        .value_kind:     global_buffer
    .group_segment_fixed_size: 0
    .kernarg_segment_align: 8
    .kernarg_segment_size: 72
    .language:       OpenCL C
    .language_version:
      - 2
      - 0
    .max_flat_workgroup_size: 256
    .name:           _ZN9rocsparseL32bsr2csr_block_per_row_2_7_kernelILj256ELj7EfiiEEv20rocsparse_direction_T3_S2_21rocsparse_index_base_PKT1_PKT2_PKS2_S2_S3_PS4_PS7_PS2_
    .private_segment_fixed_size: 0
    .sgpr_count:     17
    .sgpr_spill_count: 0
    .symbol:         _ZN9rocsparseL32bsr2csr_block_per_row_2_7_kernelILj256ELj7EfiiEEv20rocsparse_direction_T3_S2_21rocsparse_index_base_PKT1_PKT2_PKS2_S2_S3_PS4_PS7_PS2_.kd
    .uniform_work_group_size: 1
    .uses_dynamic_stack: false
    .vgpr_count:     26
    .vgpr_spill_count: 0
    .wavefront_size: 32
  - .args:
      - .offset:         0
        .size:           4
        .value_kind:     by_value
      - .offset:         4
        .size:           4
        .value_kind:     by_value
      - .offset:         8
        .size:           4
        .value_kind:     by_value
      - .offset:         12
        .size:           4
        .value_kind:     by_value
      - .actual_access:  read_only
        .address_space:  global
        .offset:         16
        .size:           8
        .value_kind:     global_buffer
      - .actual_access:  read_only
        .address_space:  global
        .offset:         24
        .size:           8
        .value_kind:     global_buffer
      - .actual_access:  read_only
        .address_space:  global
        .offset:         32
        .size:           8
        .value_kind:     global_buffer
      - .offset:         40
        .size:           4
        .value_kind:     by_value
      - .offset:         44
        .size:           4
        .value_kind:     by_value
      - .actual_access:  write_only
        .address_space:  global
        .offset:         48
        .size:           8
        .value_kind:     global_buffer
      - .actual_access:  write_only
        .address_space:  global
        .offset:         56
        .size:           8
        .value_kind:     global_buffer
      - .actual_access:  write_only
        .address_space:  global
        .offset:         64
        .size:           8
        .value_kind:     global_buffer
    .group_segment_fixed_size: 0
    .kernarg_segment_align: 8
    .kernarg_segment_size: 72
    .language:       OpenCL C
    .language_version:
      - 2
      - 0
    .max_flat_workgroup_size: 1024
    .name:           _ZN9rocsparseL33bsr2csr_block_per_row_8_32_kernelILj1024ELj8EfiiEEv20rocsparse_direction_T3_S2_21rocsparse_index_base_PKT1_PKT2_PKS2_S2_S3_PS4_PS7_PS2_
    .private_segment_fixed_size: 0
    .sgpr_count:     26
    .sgpr_spill_count: 0
    .symbol:         _ZN9rocsparseL33bsr2csr_block_per_row_8_32_kernelILj1024ELj8EfiiEEv20rocsparse_direction_T3_S2_21rocsparse_index_base_PKT1_PKT2_PKS2_S2_S3_PS4_PS7_PS2_.kd
    .uniform_work_group_size: 1
    .uses_dynamic_stack: false
    .vgpr_count:     22
    .vgpr_spill_count: 0
    .wavefront_size: 32
  - .args:
      - .offset:         0
        .size:           4
        .value_kind:     by_value
      - .offset:         4
        .size:           4
        .value_kind:     by_value
      - .offset:         8
        .size:           4
        .value_kind:     by_value
      - .offset:         12
        .size:           4
        .value_kind:     by_value
      - .actual_access:  read_only
        .address_space:  global
        .offset:         16
        .size:           8
        .value_kind:     global_buffer
      - .actual_access:  read_only
        .address_space:  global
        .offset:         24
        .size:           8
        .value_kind:     global_buffer
      - .actual_access:  read_only
        .address_space:  global
        .offset:         32
        .size:           8
        .value_kind:     global_buffer
      - .offset:         40
        .size:           4
        .value_kind:     by_value
      - .offset:         44
        .size:           4
        .value_kind:     by_value
      - .actual_access:  write_only
        .address_space:  global
        .offset:         48
        .size:           8
        .value_kind:     global_buffer
      - .actual_access:  write_only
        .address_space:  global
        .offset:         56
        .size:           8
        .value_kind:     global_buffer
      - .actual_access:  write_only
        .address_space:  global
        .offset:         64
        .size:           8
        .value_kind:     global_buffer
    .group_segment_fixed_size: 0
    .kernarg_segment_align: 8
    .kernarg_segment_size: 72
    .language:       OpenCL C
    .language_version:
      - 2
      - 0
    .max_flat_workgroup_size: 1024
    .name:           _ZN9rocsparseL33bsr2csr_block_per_row_8_32_kernelILj1024ELj16EfiiEEv20rocsparse_direction_T3_S2_21rocsparse_index_base_PKT1_PKT2_PKS2_S2_S3_PS4_PS7_PS2_
    .private_segment_fixed_size: 0
    .sgpr_count:     26
    .sgpr_spill_count: 0
    .symbol:         _ZN9rocsparseL33bsr2csr_block_per_row_8_32_kernelILj1024ELj16EfiiEEv20rocsparse_direction_T3_S2_21rocsparse_index_base_PKT1_PKT2_PKS2_S2_S3_PS4_PS7_PS2_.kd
    .uniform_work_group_size: 1
    .uses_dynamic_stack: false
    .vgpr_count:     22
    .vgpr_spill_count: 0
    .wavefront_size: 32
  - .args:
      - .offset:         0
        .size:           4
        .value_kind:     by_value
      - .offset:         4
        .size:           4
        .value_kind:     by_value
      - .offset:         8
        .size:           4
        .value_kind:     by_value
      - .offset:         12
        .size:           4
        .value_kind:     by_value
      - .actual_access:  read_only
        .address_space:  global
        .offset:         16
        .size:           8
        .value_kind:     global_buffer
      - .actual_access:  read_only
        .address_space:  global
        .offset:         24
        .size:           8
        .value_kind:     global_buffer
      - .actual_access:  read_only
        .address_space:  global
        .offset:         32
        .size:           8
        .value_kind:     global_buffer
      - .offset:         40
        .size:           4
        .value_kind:     by_value
      - .offset:         44
        .size:           4
        .value_kind:     by_value
      - .actual_access:  write_only
        .address_space:  global
        .offset:         48
        .size:           8
        .value_kind:     global_buffer
      - .actual_access:  write_only
        .address_space:  global
        .offset:         56
        .size:           8
        .value_kind:     global_buffer
      - .actual_access:  write_only
        .address_space:  global
        .offset:         64
        .size:           8
        .value_kind:     global_buffer
    .group_segment_fixed_size: 0
    .kernarg_segment_align: 8
    .kernarg_segment_size: 72
    .language:       OpenCL C
    .language_version:
      - 2
      - 0
    .max_flat_workgroup_size: 1024
    .name:           _ZN9rocsparseL33bsr2csr_block_per_row_8_32_kernelILj1024ELj32EfiiEEv20rocsparse_direction_T3_S2_21rocsparse_index_base_PKT1_PKT2_PKS2_S2_S3_PS4_PS7_PS2_
    .private_segment_fixed_size: 0
    .sgpr_count:     34
    .sgpr_spill_count: 0
    .symbol:         _ZN9rocsparseL33bsr2csr_block_per_row_8_32_kernelILj1024ELj32EfiiEEv20rocsparse_direction_T3_S2_21rocsparse_index_base_PKT1_PKT2_PKS2_S2_S3_PS4_PS7_PS2_.kd
    .uniform_work_group_size: 1
    .uses_dynamic_stack: false
    .vgpr_count:     20
    .vgpr_spill_count: 0
    .wavefront_size: 32
  - .args:
      - .offset:         0
        .size:           4
        .value_kind:     by_value
      - .offset:         4
        .size:           4
        .value_kind:     by_value
      - .offset:         8
        .size:           4
        .value_kind:     by_value
      - .offset:         12
        .size:           4
        .value_kind:     by_value
      - .actual_access:  read_only
        .address_space:  global
        .offset:         16
        .size:           8
        .value_kind:     global_buffer
      - .actual_access:  read_only
        .address_space:  global
        .offset:         24
        .size:           8
        .value_kind:     global_buffer
      - .actual_access:  read_only
        .address_space:  global
        .offset:         32
        .size:           8
        .value_kind:     global_buffer
      - .offset:         40
        .size:           4
        .value_kind:     by_value
      - .offset:         44
        .size:           4
        .value_kind:     by_value
      - .actual_access:  write_only
        .address_space:  global
        .offset:         48
        .size:           8
        .value_kind:     global_buffer
      - .actual_access:  write_only
        .address_space:  global
        .offset:         56
        .size:           8
        .value_kind:     global_buffer
      - .actual_access:  write_only
        .address_space:  global
        .offset:         64
        .size:           8
        .value_kind:     global_buffer
    .group_segment_fixed_size: 0
    .kernarg_segment_align: 8
    .kernarg_segment_size: 72
    .language:       OpenCL C
    .language_version:
      - 2
      - 0
    .max_flat_workgroup_size: 1024
    .name:           _ZN9rocsparseL35bsr2csr_block_per_row_33_256_kernelILj1024ELj64ELj32EfiiEEv20rocsparse_direction_T4_S2_21rocsparse_index_base_PKT2_PKT3_PKS2_S2_S3_PS4_PS7_PS2_
    .private_segment_fixed_size: 0
    .sgpr_count:     26
    .sgpr_spill_count: 0
    .symbol:         _ZN9rocsparseL35bsr2csr_block_per_row_33_256_kernelILj1024ELj64ELj32EfiiEEv20rocsparse_direction_T4_S2_21rocsparse_index_base_PKT2_PKT3_PKS2_S2_S3_PS4_PS7_PS2_.kd
    .uniform_work_group_size: 1
    .uses_dynamic_stack: false
    .vgpr_count:     15
    .vgpr_spill_count: 0
    .wavefront_size: 32
  - .args:
      - .offset:         0
        .size:           4
        .value_kind:     by_value
      - .offset:         4
        .size:           4
        .value_kind:     by_value
      - .offset:         8
        .size:           4
        .value_kind:     by_value
      - .offset:         12
        .size:           4
        .value_kind:     by_value
      - .actual_access:  read_only
        .address_space:  global
        .offset:         16
        .size:           8
        .value_kind:     global_buffer
      - .actual_access:  read_only
        .address_space:  global
        .offset:         24
        .size:           8
        .value_kind:     global_buffer
      - .actual_access:  read_only
        .address_space:  global
        .offset:         32
        .size:           8
        .value_kind:     global_buffer
      - .offset:         40
        .size:           4
        .value_kind:     by_value
      - .offset:         44
        .size:           4
        .value_kind:     by_value
      - .actual_access:  write_only
        .address_space:  global
        .offset:         48
        .size:           8
        .value_kind:     global_buffer
      - .actual_access:  write_only
        .address_space:  global
        .offset:         56
        .size:           8
        .value_kind:     global_buffer
      - .actual_access:  write_only
        .address_space:  global
        .offset:         64
        .size:           8
        .value_kind:     global_buffer
    .group_segment_fixed_size: 0
    .kernarg_segment_align: 8
    .kernarg_segment_size: 72
    .language:       OpenCL C
    .language_version:
      - 2
      - 0
    .max_flat_workgroup_size: 1024
    .name:           _ZN9rocsparseL35bsr2csr_block_per_row_33_256_kernelILj1024ELj128ELj32EfiiEEv20rocsparse_direction_T4_S2_21rocsparse_index_base_PKT2_PKT3_PKS2_S2_S3_PS4_PS7_PS2_
    .private_segment_fixed_size: 0
    .sgpr_count:     38
    .sgpr_spill_count: 0
    .symbol:         _ZN9rocsparseL35bsr2csr_block_per_row_33_256_kernelILj1024ELj128ELj32EfiiEEv20rocsparse_direction_T4_S2_21rocsparse_index_base_PKT2_PKT3_PKS2_S2_S3_PS4_PS7_PS2_.kd
    .uniform_work_group_size: 1
    .uses_dynamic_stack: false
    .vgpr_count:     26
    .vgpr_spill_count: 0
    .wavefront_size: 32
  - .args:
      - .offset:         0
        .size:           4
        .value_kind:     by_value
      - .offset:         4
        .size:           4
        .value_kind:     by_value
      - .offset:         8
        .size:           4
        .value_kind:     by_value
      - .offset:         12
        .size:           4
        .value_kind:     by_value
      - .actual_access:  read_only
        .address_space:  global
        .offset:         16
        .size:           8
        .value_kind:     global_buffer
      - .actual_access:  read_only
        .address_space:  global
        .offset:         24
        .size:           8
        .value_kind:     global_buffer
      - .actual_access:  read_only
        .address_space:  global
        .offset:         32
        .size:           8
        .value_kind:     global_buffer
      - .offset:         40
        .size:           4
        .value_kind:     by_value
      - .offset:         44
        .size:           4
        .value_kind:     by_value
      - .actual_access:  write_only
        .address_space:  global
        .offset:         48
        .size:           8
        .value_kind:     global_buffer
      - .actual_access:  write_only
        .address_space:  global
        .offset:         56
        .size:           8
        .value_kind:     global_buffer
      - .actual_access:  write_only
        .address_space:  global
        .offset:         64
        .size:           8
        .value_kind:     global_buffer
    .group_segment_fixed_size: 0
    .kernarg_segment_align: 8
    .kernarg_segment_size: 72
    .language:       OpenCL C
    .language_version:
      - 2
      - 0
    .max_flat_workgroup_size: 1024
    .name:           _ZN9rocsparseL35bsr2csr_block_per_row_33_256_kernelILj1024ELj256ELj32EfiiEEv20rocsparse_direction_T4_S2_21rocsparse_index_base_PKT2_PKT3_PKS2_S2_S3_PS4_PS7_PS2_
    .private_segment_fixed_size: 0
    .sgpr_count:     89
    .sgpr_spill_count: 0
    .symbol:         _ZN9rocsparseL35bsr2csr_block_per_row_33_256_kernelILj1024ELj256ELj32EfiiEEv20rocsparse_direction_T4_S2_21rocsparse_index_base_PKT2_PKT3_PKS2_S2_S3_PS4_PS7_PS2_.kd
    .uniform_work_group_size: 1
    .uses_dynamic_stack: false
    .vgpr_count:     44
    .vgpr_spill_count: 0
    .wavefront_size: 32
  - .args:
      - .offset:         0
        .size:           4
        .value_kind:     by_value
      - .offset:         4
        .size:           4
        .value_kind:     by_value
      - .offset:         8
        .size:           4
        .value_kind:     by_value
      - .actual_access:  read_only
        .address_space:  global
        .offset:         16
        .size:           8
        .value_kind:     global_buffer
      - .actual_access:  read_only
        .address_space:  global
        .offset:         24
        .size:           8
        .value_kind:     global_buffer
      - .actual_access:  read_only
        .address_space:  global
        .offset:         32
        .size:           8
        .value_kind:     global_buffer
      - .offset:         40
        .size:           4
        .value_kind:     by_value
      - .actual_access:  write_only
        .address_space:  global
        .offset:         48
        .size:           8
        .value_kind:     global_buffer
      - .actual_access:  write_only
        .address_space:  global
        .offset:         56
        .size:           8
        .value_kind:     global_buffer
      - .actual_access:  write_only
        .address_space:  global
        .offset:         64
        .size:           8
        .value_kind:     global_buffer
      - .offset:         72
        .size:           4
        .value_kind:     hidden_block_count_x
      - .offset:         76
        .size:           4
        .value_kind:     hidden_block_count_y
      - .offset:         80
        .size:           4
        .value_kind:     hidden_block_count_z
      - .offset:         84
        .size:           2
        .value_kind:     hidden_group_size_x
      - .offset:         86
        .size:           2
        .value_kind:     hidden_group_size_y
      - .offset:         88
        .size:           2
        .value_kind:     hidden_group_size_z
      - .offset:         90
        .size:           2
        .value_kind:     hidden_remainder_x
      - .offset:         92
        .size:           2
        .value_kind:     hidden_remainder_y
      - .offset:         94
        .size:           2
        .value_kind:     hidden_remainder_z
      - .offset:         112
        .size:           8
        .value_kind:     hidden_global_offset_x
      - .offset:         120
        .size:           8
        .value_kind:     hidden_global_offset_y
      - .offset:         128
        .size:           8
        .value_kind:     hidden_global_offset_z
      - .offset:         136
        .size:           2
        .value_kind:     hidden_grid_dims
    .group_segment_fixed_size: 0
    .kernarg_segment_align: 8
    .kernarg_segment_size: 328
    .language:       OpenCL C
    .language_version:
      - 2
      - 0
    .max_flat_workgroup_size: 1024
    .name:           _ZN9rocsparseL35bsr2csr_block_dim_equals_one_kernelILj1024EfliEEvT2_S1_21rocsparse_index_base_PKT0_PKT1_PKS1_S2_PS3_PS6_PS1_
    .private_segment_fixed_size: 0
    .sgpr_count:     26
    .sgpr_spill_count: 0
    .symbol:         _ZN9rocsparseL35bsr2csr_block_dim_equals_one_kernelILj1024EfliEEvT2_S1_21rocsparse_index_base_PKT0_PKT1_PKS1_S2_PS3_PS6_PS1_.kd
    .uniform_work_group_size: 1
    .uses_dynamic_stack: false
    .vgpr_count:     10
    .vgpr_spill_count: 0
    .wavefront_size: 32
  - .args:
      - .offset:         0
        .size:           4
        .value_kind:     by_value
      - .offset:         4
        .size:           4
        .value_kind:     by_value
      - .offset:         8
        .size:           4
        .value_kind:     by_value
      - .offset:         12
        .size:           4
        .value_kind:     by_value
      - .actual_access:  read_only
        .address_space:  global
        .offset:         16
        .size:           8
        .value_kind:     global_buffer
      - .actual_access:  read_only
        .address_space:  global
        .offset:         24
        .size:           8
        .value_kind:     global_buffer
      - .actual_access:  read_only
        .address_space:  global
        .offset:         32
        .size:           8
        .value_kind:     global_buffer
      - .offset:         40
        .size:           4
        .value_kind:     by_value
      - .offset:         44
        .size:           4
        .value_kind:     by_value
      - .actual_access:  write_only
        .address_space:  global
        .offset:         48
        .size:           8
        .value_kind:     global_buffer
      - .actual_access:  write_only
        .address_space:  global
        .offset:         56
        .size:           8
        .value_kind:     global_buffer
      - .actual_access:  write_only
        .address_space:  global
        .offset:         64
        .size:           8
        .value_kind:     global_buffer
    .group_segment_fixed_size: 0
    .kernarg_segment_align: 8
    .kernarg_segment_size: 72
    .language:       OpenCL C
    .language_version:
      - 2
      - 0
    .max_flat_workgroup_size: 256
    .name:           _ZN9rocsparseL32bsr2csr_block_per_row_2_7_kernelILj256ELj2EfliEEv20rocsparse_direction_T3_S2_21rocsparse_index_base_PKT1_PKT2_PKS2_S2_S3_PS4_PS7_PS2_
    .private_segment_fixed_size: 0
    .sgpr_count:     27
    .sgpr_spill_count: 0
    .symbol:         _ZN9rocsparseL32bsr2csr_block_per_row_2_7_kernelILj256ELj2EfliEEv20rocsparse_direction_T3_S2_21rocsparse_index_base_PKT1_PKT2_PKS2_S2_S3_PS4_PS7_PS2_.kd
    .uniform_work_group_size: 1
    .uses_dynamic_stack: false
    .vgpr_count:     50
    .vgpr_spill_count: 0
    .wavefront_size: 32
  - .args:
      - .offset:         0
        .size:           4
        .value_kind:     by_value
      - .offset:         4
        .size:           4
        .value_kind:     by_value
      - .offset:         8
        .size:           4
        .value_kind:     by_value
      - .offset:         12
        .size:           4
        .value_kind:     by_value
      - .actual_access:  read_only
        .address_space:  global
        .offset:         16
        .size:           8
        .value_kind:     global_buffer
      - .actual_access:  read_only
        .address_space:  global
        .offset:         24
        .size:           8
        .value_kind:     global_buffer
      - .actual_access:  read_only
        .address_space:  global
        .offset:         32
        .size:           8
        .value_kind:     global_buffer
      - .offset:         40
        .size:           4
        .value_kind:     by_value
      - .offset:         44
        .size:           4
        .value_kind:     by_value
      - .actual_access:  write_only
        .address_space:  global
        .offset:         48
        .size:           8
        .value_kind:     global_buffer
      - .actual_access:  write_only
        .address_space:  global
        .offset:         56
        .size:           8
        .value_kind:     global_buffer
      - .actual_access:  write_only
        .address_space:  global
        .offset:         64
        .size:           8
        .value_kind:     global_buffer
    .group_segment_fixed_size: 0
    .kernarg_segment_align: 8
    .kernarg_segment_size: 72
    .language:       OpenCL C
    .language_version:
      - 2
      - 0
    .max_flat_workgroup_size: 256
    .name:           _ZN9rocsparseL32bsr2csr_block_per_row_2_7_kernelILj256ELj3EfliEEv20rocsparse_direction_T3_S2_21rocsparse_index_base_PKT1_PKT2_PKS2_S2_S3_PS4_PS7_PS2_
    .private_segment_fixed_size: 0
    .sgpr_count:     27
    .sgpr_spill_count: 0
    .symbol:         _ZN9rocsparseL32bsr2csr_block_per_row_2_7_kernelILj256ELj3EfliEEv20rocsparse_direction_T3_S2_21rocsparse_index_base_PKT1_PKT2_PKS2_S2_S3_PS4_PS7_PS2_.kd
    .uniform_work_group_size: 1
    .uses_dynamic_stack: false
    .vgpr_count:     58
    .vgpr_spill_count: 0
    .wavefront_size: 32
  - .args:
      - .offset:         0
        .size:           4
        .value_kind:     by_value
      - .offset:         4
        .size:           4
        .value_kind:     by_value
      - .offset:         8
        .size:           4
        .value_kind:     by_value
      - .offset:         12
        .size:           4
        .value_kind:     by_value
      - .actual_access:  read_only
        .address_space:  global
        .offset:         16
        .size:           8
        .value_kind:     global_buffer
      - .actual_access:  read_only
        .address_space:  global
        .offset:         24
        .size:           8
        .value_kind:     global_buffer
      - .actual_access:  read_only
        .address_space:  global
        .offset:         32
        .size:           8
        .value_kind:     global_buffer
      - .offset:         40
        .size:           4
        .value_kind:     by_value
      - .offset:         44
        .size:           4
        .value_kind:     by_value
      - .actual_access:  write_only
        .address_space:  global
        .offset:         48
        .size:           8
        .value_kind:     global_buffer
      - .actual_access:  write_only
        .address_space:  global
        .offset:         56
        .size:           8
        .value_kind:     global_buffer
      - .actual_access:  write_only
        .address_space:  global
        .offset:         64
        .size:           8
        .value_kind:     global_buffer
    .group_segment_fixed_size: 0
    .kernarg_segment_align: 8
    .kernarg_segment_size: 72
    .language:       OpenCL C
    .language_version:
      - 2
      - 0
    .max_flat_workgroup_size: 256
    .name:           _ZN9rocsparseL32bsr2csr_block_per_row_2_7_kernelILj256ELj4EfliEEv20rocsparse_direction_T3_S2_21rocsparse_index_base_PKT1_PKT2_PKS2_S2_S3_PS4_PS7_PS2_
    .private_segment_fixed_size: 0
    .sgpr_count:     27
    .sgpr_spill_count: 0
    .symbol:         _ZN9rocsparseL32bsr2csr_block_per_row_2_7_kernelILj256ELj4EfliEEv20rocsparse_direction_T3_S2_21rocsparse_index_base_PKT1_PKT2_PKS2_S2_S3_PS4_PS7_PS2_.kd
    .uniform_work_group_size: 1
    .uses_dynamic_stack: false
    .vgpr_count:     69
    .vgpr_spill_count: 0
    .wavefront_size: 32
  - .args:
      - .offset:         0
        .size:           4
        .value_kind:     by_value
      - .offset:         4
        .size:           4
        .value_kind:     by_value
      - .offset:         8
        .size:           4
        .value_kind:     by_value
      - .offset:         12
        .size:           4
        .value_kind:     by_value
      - .actual_access:  read_only
        .address_space:  global
        .offset:         16
        .size:           8
        .value_kind:     global_buffer
      - .actual_access:  read_only
        .address_space:  global
        .offset:         24
        .size:           8
        .value_kind:     global_buffer
      - .actual_access:  read_only
        .address_space:  global
        .offset:         32
        .size:           8
        .value_kind:     global_buffer
      - .offset:         40
        .size:           4
        .value_kind:     by_value
      - .offset:         44
        .size:           4
        .value_kind:     by_value
      - .actual_access:  write_only
        .address_space:  global
        .offset:         48
        .size:           8
        .value_kind:     global_buffer
      - .actual_access:  write_only
        .address_space:  global
        .offset:         56
        .size:           8
        .value_kind:     global_buffer
      - .actual_access:  write_only
        .address_space:  global
        .offset:         64
        .size:           8
        .value_kind:     global_buffer
    .group_segment_fixed_size: 0
    .kernarg_segment_align: 8
    .kernarg_segment_size: 72
    .language:       OpenCL C
    .language_version:
      - 2
      - 0
    .max_flat_workgroup_size: 256
    .name:           _ZN9rocsparseL32bsr2csr_block_per_row_2_7_kernelILj256ELj5EfliEEv20rocsparse_direction_T3_S2_21rocsparse_index_base_PKT1_PKT2_PKS2_S2_S3_PS4_PS7_PS2_
    .private_segment_fixed_size: 0
    .sgpr_count:     29
    .sgpr_spill_count: 0
    .symbol:         _ZN9rocsparseL32bsr2csr_block_per_row_2_7_kernelILj256ELj5EfliEEv20rocsparse_direction_T3_S2_21rocsparse_index_base_PKT1_PKT2_PKS2_S2_S3_PS4_PS7_PS2_.kd
    .uniform_work_group_size: 1
    .uses_dynamic_stack: false
    .vgpr_count:     80
    .vgpr_spill_count: 0
    .wavefront_size: 32
  - .args:
      - .offset:         0
        .size:           4
        .value_kind:     by_value
      - .offset:         4
        .size:           4
        .value_kind:     by_value
      - .offset:         8
        .size:           4
        .value_kind:     by_value
      - .offset:         12
        .size:           4
        .value_kind:     by_value
      - .actual_access:  read_only
        .address_space:  global
        .offset:         16
        .size:           8
        .value_kind:     global_buffer
      - .actual_access:  read_only
        .address_space:  global
        .offset:         24
        .size:           8
        .value_kind:     global_buffer
      - .actual_access:  read_only
        .address_space:  global
        .offset:         32
        .size:           8
        .value_kind:     global_buffer
      - .offset:         40
        .size:           4
        .value_kind:     by_value
      - .offset:         44
        .size:           4
        .value_kind:     by_value
      - .actual_access:  write_only
        .address_space:  global
        .offset:         48
        .size:           8
        .value_kind:     global_buffer
      - .actual_access:  write_only
        .address_space:  global
        .offset:         56
        .size:           8
        .value_kind:     global_buffer
      - .actual_access:  write_only
        .address_space:  global
        .offset:         64
        .size:           8
        .value_kind:     global_buffer
    .group_segment_fixed_size: 0
    .kernarg_segment_align: 8
    .kernarg_segment_size: 72
    .language:       OpenCL C
    .language_version:
      - 2
      - 0
    .max_flat_workgroup_size: 256
    .name:           _ZN9rocsparseL32bsr2csr_block_per_row_2_7_kernelILj256ELj6EfliEEv20rocsparse_direction_T3_S2_21rocsparse_index_base_PKT1_PKT2_PKS2_S2_S3_PS4_PS7_PS2_
    .private_segment_fixed_size: 0
    .sgpr_count:     29
    .sgpr_spill_count: 0
    .symbol:         _ZN9rocsparseL32bsr2csr_block_per_row_2_7_kernelILj256ELj6EfliEEv20rocsparse_direction_T3_S2_21rocsparse_index_base_PKT1_PKT2_PKS2_S2_S3_PS4_PS7_PS2_.kd
    .uniform_work_group_size: 1
    .uses_dynamic_stack: false
    .vgpr_count:     86
    .vgpr_spill_count: 0
    .wavefront_size: 32
  - .args:
      - .offset:         0
        .size:           4
        .value_kind:     by_value
      - .offset:         4
        .size:           4
        .value_kind:     by_value
      - .offset:         8
        .size:           4
        .value_kind:     by_value
      - .offset:         12
        .size:           4
        .value_kind:     by_value
      - .actual_access:  read_only
        .address_space:  global
        .offset:         16
        .size:           8
        .value_kind:     global_buffer
      - .actual_access:  read_only
        .address_space:  global
        .offset:         24
        .size:           8
        .value_kind:     global_buffer
      - .actual_access:  read_only
        .address_space:  global
        .offset:         32
        .size:           8
        .value_kind:     global_buffer
      - .offset:         40
        .size:           4
        .value_kind:     by_value
      - .offset:         44
        .size:           4
        .value_kind:     by_value
      - .actual_access:  write_only
        .address_space:  global
        .offset:         48
        .size:           8
        .value_kind:     global_buffer
      - .actual_access:  write_only
        .address_space:  global
        .offset:         56
        .size:           8
        .value_kind:     global_buffer
      - .actual_access:  write_only
        .address_space:  global
        .offset:         64
        .size:           8
        .value_kind:     global_buffer
    .group_segment_fixed_size: 0
    .kernarg_segment_align: 8
    .kernarg_segment_size: 72
    .language:       OpenCL C
    .language_version:
      - 2
      - 0
    .max_flat_workgroup_size: 256
    .name:           _ZN9rocsparseL32bsr2csr_block_per_row_2_7_kernelILj256ELj7EfliEEv20rocsparse_direction_T3_S2_21rocsparse_index_base_PKT1_PKT2_PKS2_S2_S3_PS4_PS7_PS2_
    .private_segment_fixed_size: 0
    .sgpr_count:     29
    .sgpr_spill_count: 0
    .symbol:         _ZN9rocsparseL32bsr2csr_block_per_row_2_7_kernelILj256ELj7EfliEEv20rocsparse_direction_T3_S2_21rocsparse_index_base_PKT1_PKT2_PKS2_S2_S3_PS4_PS7_PS2_.kd
    .uniform_work_group_size: 1
    .uses_dynamic_stack: false
    .vgpr_count:     88
    .vgpr_spill_count: 0
    .wavefront_size: 32
  - .args:
      - .offset:         0
        .size:           4
        .value_kind:     by_value
      - .offset:         4
        .size:           4
        .value_kind:     by_value
      - .offset:         8
        .size:           4
        .value_kind:     by_value
      - .offset:         12
        .size:           4
        .value_kind:     by_value
      - .actual_access:  read_only
        .address_space:  global
        .offset:         16
        .size:           8
        .value_kind:     global_buffer
      - .actual_access:  read_only
        .address_space:  global
        .offset:         24
        .size:           8
        .value_kind:     global_buffer
      - .actual_access:  read_only
        .address_space:  global
        .offset:         32
        .size:           8
        .value_kind:     global_buffer
      - .offset:         40
        .size:           4
        .value_kind:     by_value
      - .offset:         44
        .size:           4
        .value_kind:     by_value
      - .actual_access:  write_only
        .address_space:  global
        .offset:         48
        .size:           8
        .value_kind:     global_buffer
      - .actual_access:  write_only
        .address_space:  global
        .offset:         56
        .size:           8
        .value_kind:     global_buffer
      - .actual_access:  write_only
        .address_space:  global
        .offset:         64
        .size:           8
        .value_kind:     global_buffer
    .group_segment_fixed_size: 0
    .kernarg_segment_align: 8
    .kernarg_segment_size: 72
    .language:       OpenCL C
    .language_version:
      - 2
      - 0
    .max_flat_workgroup_size: 1024
    .name:           _ZN9rocsparseL33bsr2csr_block_per_row_8_32_kernelILj1024ELj8EfliEEv20rocsparse_direction_T3_S2_21rocsparse_index_base_PKT1_PKT2_PKS2_S2_S3_PS4_PS7_PS2_
    .private_segment_fixed_size: 0
    .sgpr_count:     36
    .sgpr_spill_count: 0
    .symbol:         _ZN9rocsparseL33bsr2csr_block_per_row_8_32_kernelILj1024ELj8EfliEEv20rocsparse_direction_T3_S2_21rocsparse_index_base_PKT1_PKT2_PKS2_S2_S3_PS4_PS7_PS2_.kd
    .uniform_work_group_size: 1
    .uses_dynamic_stack: false
    .vgpr_count:     37
    .vgpr_spill_count: 0
    .wavefront_size: 32
  - .args:
      - .offset:         0
        .size:           4
        .value_kind:     by_value
      - .offset:         4
        .size:           4
        .value_kind:     by_value
      - .offset:         8
        .size:           4
        .value_kind:     by_value
      - .offset:         12
        .size:           4
        .value_kind:     by_value
      - .actual_access:  read_only
        .address_space:  global
        .offset:         16
        .size:           8
        .value_kind:     global_buffer
      - .actual_access:  read_only
        .address_space:  global
        .offset:         24
        .size:           8
        .value_kind:     global_buffer
      - .actual_access:  read_only
        .address_space:  global
        .offset:         32
        .size:           8
        .value_kind:     global_buffer
      - .offset:         40
        .size:           4
        .value_kind:     by_value
      - .offset:         44
        .size:           4
        .value_kind:     by_value
      - .actual_access:  write_only
        .address_space:  global
        .offset:         48
        .size:           8
        .value_kind:     global_buffer
      - .actual_access:  write_only
        .address_space:  global
        .offset:         56
        .size:           8
        .value_kind:     global_buffer
      - .actual_access:  write_only
        .address_space:  global
        .offset:         64
        .size:           8
        .value_kind:     global_buffer
    .group_segment_fixed_size: 0
    .kernarg_segment_align: 8
    .kernarg_segment_size: 72
    .language:       OpenCL C
    .language_version:
      - 2
      - 0
    .max_flat_workgroup_size: 1024
    .name:           _ZN9rocsparseL33bsr2csr_block_per_row_8_32_kernelILj1024ELj16EfliEEv20rocsparse_direction_T3_S2_21rocsparse_index_base_PKT1_PKT2_PKS2_S2_S3_PS4_PS7_PS2_
    .private_segment_fixed_size: 0
    .sgpr_count:     36
    .sgpr_spill_count: 0
    .symbol:         _ZN9rocsparseL33bsr2csr_block_per_row_8_32_kernelILj1024ELj16EfliEEv20rocsparse_direction_T3_S2_21rocsparse_index_base_PKT1_PKT2_PKS2_S2_S3_PS4_PS7_PS2_.kd
    .uniform_work_group_size: 1
    .uses_dynamic_stack: false
    .vgpr_count:     37
    .vgpr_spill_count: 0
    .wavefront_size: 32
  - .args:
      - .offset:         0
        .size:           4
        .value_kind:     by_value
      - .offset:         4
        .size:           4
        .value_kind:     by_value
      - .offset:         8
        .size:           4
        .value_kind:     by_value
      - .offset:         12
        .size:           4
        .value_kind:     by_value
      - .actual_access:  read_only
        .address_space:  global
        .offset:         16
        .size:           8
        .value_kind:     global_buffer
      - .actual_access:  read_only
        .address_space:  global
        .offset:         24
        .size:           8
        .value_kind:     global_buffer
      - .actual_access:  read_only
        .address_space:  global
        .offset:         32
        .size:           8
        .value_kind:     global_buffer
      - .offset:         40
        .size:           4
        .value_kind:     by_value
      - .offset:         44
        .size:           4
        .value_kind:     by_value
      - .actual_access:  write_only
        .address_space:  global
        .offset:         48
        .size:           8
        .value_kind:     global_buffer
      - .actual_access:  write_only
        .address_space:  global
        .offset:         56
        .size:           8
        .value_kind:     global_buffer
      - .actual_access:  write_only
        .address_space:  global
        .offset:         64
        .size:           8
        .value_kind:     global_buffer
    .group_segment_fixed_size: 0
    .kernarg_segment_align: 8
    .kernarg_segment_size: 72
    .language:       OpenCL C
    .language_version:
      - 2
      - 0
    .max_flat_workgroup_size: 1024
    .name:           _ZN9rocsparseL33bsr2csr_block_per_row_8_32_kernelILj1024ELj32EfliEEv20rocsparse_direction_T3_S2_21rocsparse_index_base_PKT1_PKT2_PKS2_S2_S3_PS4_PS7_PS2_
    .private_segment_fixed_size: 0
    .sgpr_count:     30
    .sgpr_spill_count: 0
    .symbol:         _ZN9rocsparseL33bsr2csr_block_per_row_8_32_kernelILj1024ELj32EfliEEv20rocsparse_direction_T3_S2_21rocsparse_index_base_PKT1_PKT2_PKS2_S2_S3_PS4_PS7_PS2_.kd
    .uniform_work_group_size: 1
    .uses_dynamic_stack: false
    .vgpr_count:     12
    .vgpr_spill_count: 0
    .wavefront_size: 32
  - .args:
      - .offset:         0
        .size:           4
        .value_kind:     by_value
      - .offset:         4
        .size:           4
        .value_kind:     by_value
      - .offset:         8
        .size:           4
        .value_kind:     by_value
      - .offset:         12
        .size:           4
        .value_kind:     by_value
      - .actual_access:  read_only
        .address_space:  global
        .offset:         16
        .size:           8
        .value_kind:     global_buffer
      - .actual_access:  read_only
        .address_space:  global
        .offset:         24
        .size:           8
        .value_kind:     global_buffer
      - .actual_access:  read_only
        .address_space:  global
        .offset:         32
        .size:           8
        .value_kind:     global_buffer
      - .offset:         40
        .size:           4
        .value_kind:     by_value
      - .offset:         44
        .size:           4
        .value_kind:     by_value
      - .actual_access:  write_only
        .address_space:  global
        .offset:         48
        .size:           8
        .value_kind:     global_buffer
      - .actual_access:  write_only
        .address_space:  global
        .offset:         56
        .size:           8
        .value_kind:     global_buffer
      - .actual_access:  write_only
        .address_space:  global
        .offset:         64
        .size:           8
        .value_kind:     global_buffer
    .group_segment_fixed_size: 0
    .kernarg_segment_align: 8
    .kernarg_segment_size: 72
    .language:       OpenCL C
    .language_version:
      - 2
      - 0
    .max_flat_workgroup_size: 1024
    .name:           _ZN9rocsparseL35bsr2csr_block_per_row_33_256_kernelILj1024ELj64ELj32EfliEEv20rocsparse_direction_T4_S2_21rocsparse_index_base_PKT2_PKT3_PKS2_S2_S3_PS4_PS7_PS2_
    .private_segment_fixed_size: 0
    .sgpr_count:     34
    .sgpr_spill_count: 0
    .symbol:         _ZN9rocsparseL35bsr2csr_block_per_row_33_256_kernelILj1024ELj64ELj32EfliEEv20rocsparse_direction_T4_S2_21rocsparse_index_base_PKT2_PKT3_PKS2_S2_S3_PS4_PS7_PS2_.kd
    .uniform_work_group_size: 1
    .uses_dynamic_stack: false
    .vgpr_count:     32
    .vgpr_spill_count: 0
    .wavefront_size: 32
  - .args:
      - .offset:         0
        .size:           4
        .value_kind:     by_value
      - .offset:         4
        .size:           4
        .value_kind:     by_value
      - .offset:         8
        .size:           4
        .value_kind:     by_value
      - .offset:         12
        .size:           4
        .value_kind:     by_value
      - .actual_access:  read_only
        .address_space:  global
        .offset:         16
        .size:           8
        .value_kind:     global_buffer
      - .actual_access:  read_only
        .address_space:  global
        .offset:         24
        .size:           8
        .value_kind:     global_buffer
      - .actual_access:  read_only
        .address_space:  global
        .offset:         32
        .size:           8
        .value_kind:     global_buffer
      - .offset:         40
        .size:           4
        .value_kind:     by_value
      - .offset:         44
        .size:           4
        .value_kind:     by_value
      - .actual_access:  write_only
        .address_space:  global
        .offset:         48
        .size:           8
        .value_kind:     global_buffer
      - .actual_access:  write_only
        .address_space:  global
        .offset:         56
        .size:           8
        .value_kind:     global_buffer
      - .actual_access:  write_only
        .address_space:  global
        .offset:         64
        .size:           8
        .value_kind:     global_buffer
    .group_segment_fixed_size: 0
    .kernarg_segment_align: 8
    .kernarg_segment_size: 72
    .language:       OpenCL C
    .language_version:
      - 2
      - 0
    .max_flat_workgroup_size: 1024
    .name:           _ZN9rocsparseL35bsr2csr_block_per_row_33_256_kernelILj1024ELj128ELj32EfliEEv20rocsparse_direction_T4_S2_21rocsparse_index_base_PKT2_PKT3_PKS2_S2_S3_PS4_PS7_PS2_
    .private_segment_fixed_size: 0
    .sgpr_count:     49
    .sgpr_spill_count: 0
    .symbol:         _ZN9rocsparseL35bsr2csr_block_per_row_33_256_kernelILj1024ELj128ELj32EfliEEv20rocsparse_direction_T4_S2_21rocsparse_index_base_PKT2_PKT3_PKS2_S2_S3_PS4_PS7_PS2_.kd
    .uniform_work_group_size: 1
    .uses_dynamic_stack: false
    .vgpr_count:     58
    .vgpr_spill_count: 0
    .wavefront_size: 32
  - .args:
      - .offset:         0
        .size:           4
        .value_kind:     by_value
      - .offset:         4
        .size:           4
        .value_kind:     by_value
      - .offset:         8
        .size:           4
        .value_kind:     by_value
      - .offset:         12
        .size:           4
        .value_kind:     by_value
      - .actual_access:  read_only
        .address_space:  global
        .offset:         16
        .size:           8
        .value_kind:     global_buffer
      - .actual_access:  read_only
        .address_space:  global
        .offset:         24
        .size:           8
        .value_kind:     global_buffer
      - .actual_access:  read_only
        .address_space:  global
        .offset:         32
        .size:           8
        .value_kind:     global_buffer
      - .offset:         40
        .size:           4
        .value_kind:     by_value
      - .offset:         44
        .size:           4
        .value_kind:     by_value
      - .actual_access:  write_only
        .address_space:  global
        .offset:         48
        .size:           8
        .value_kind:     global_buffer
      - .actual_access:  write_only
        .address_space:  global
        .offset:         56
        .size:           8
        .value_kind:     global_buffer
      - .actual_access:  write_only
        .address_space:  global
        .offset:         64
        .size:           8
        .value_kind:     global_buffer
    .group_segment_fixed_size: 0
    .kernarg_segment_align: 8
    .kernarg_segment_size: 72
    .language:       OpenCL C
    .language_version:
      - 2
      - 0
    .max_flat_workgroup_size: 1024
    .name:           _ZN9rocsparseL35bsr2csr_block_per_row_33_256_kernelILj1024ELj256ELj32EfliEEv20rocsparse_direction_T4_S2_21rocsparse_index_base_PKT2_PKT3_PKS2_S2_S3_PS4_PS7_PS2_
    .private_segment_fixed_size: 0
    .sgpr_count:     95
    .sgpr_spill_count: 0
    .symbol:         _ZN9rocsparseL35bsr2csr_block_per_row_33_256_kernelILj1024ELj256ELj32EfliEEv20rocsparse_direction_T4_S2_21rocsparse_index_base_PKT2_PKT3_PKS2_S2_S3_PS4_PS7_PS2_.kd
    .uniform_work_group_size: 1
    .uses_dynamic_stack: false
    .vgpr_count:     94
    .vgpr_spill_count: 0
    .wavefront_size: 32
  - .args:
      - .offset:         0
        .size:           8
        .value_kind:     by_value
      - .offset:         8
        .size:           8
        .value_kind:     by_value
      - .offset:         16
        .size:           4
        .value_kind:     by_value
      - .actual_access:  read_only
        .address_space:  global
        .offset:         24
        .size:           8
        .value_kind:     global_buffer
      - .actual_access:  read_only
        .address_space:  global
        .offset:         32
        .size:           8
        .value_kind:     global_buffer
      - .actual_access:  read_only
        .address_space:  global
        .offset:         40
        .size:           8
        .value_kind:     global_buffer
      - .offset:         48
        .size:           4
        .value_kind:     by_value
      - .actual_access:  write_only
        .address_space:  global
        .offset:         56
        .size:           8
        .value_kind:     global_buffer
      - .actual_access:  write_only
        .address_space:  global
        .offset:         64
        .size:           8
        .value_kind:     global_buffer
      - .actual_access:  write_only
        .address_space:  global
        .offset:         72
        .size:           8
        .value_kind:     global_buffer
      - .offset:         80
        .size:           4
        .value_kind:     hidden_block_count_x
      - .offset:         84
        .size:           4
        .value_kind:     hidden_block_count_y
      - .offset:         88
        .size:           4
        .value_kind:     hidden_block_count_z
      - .offset:         92
        .size:           2
        .value_kind:     hidden_group_size_x
      - .offset:         94
        .size:           2
        .value_kind:     hidden_group_size_y
      - .offset:         96
        .size:           2
        .value_kind:     hidden_group_size_z
      - .offset:         98
        .size:           2
        .value_kind:     hidden_remainder_x
      - .offset:         100
        .size:           2
        .value_kind:     hidden_remainder_y
      - .offset:         102
        .size:           2
        .value_kind:     hidden_remainder_z
      - .offset:         120
        .size:           8
        .value_kind:     hidden_global_offset_x
      - .offset:         128
        .size:           8
        .value_kind:     hidden_global_offset_y
      - .offset:         136
        .size:           8
        .value_kind:     hidden_global_offset_z
      - .offset:         144
        .size:           2
        .value_kind:     hidden_grid_dims
    .group_segment_fixed_size: 0
    .kernarg_segment_align: 8
    .kernarg_segment_size: 336
    .language:       OpenCL C
    .language_version:
      - 2
      - 0
    .max_flat_workgroup_size: 1024
    .name:           _ZN9rocsparseL35bsr2csr_block_dim_equals_one_kernelILj1024EfilEEvT2_S1_21rocsparse_index_base_PKT0_PKT1_PKS1_S2_PS3_PS6_PS1_
    .private_segment_fixed_size: 0
    .sgpr_count:     21
    .sgpr_spill_count: 0
    .symbol:         _ZN9rocsparseL35bsr2csr_block_dim_equals_one_kernelILj1024EfilEEvT2_S1_21rocsparse_index_base_PKT0_PKT1_PKS1_S2_PS3_PS6_PS1_.kd
    .uniform_work_group_size: 1
    .uses_dynamic_stack: false
    .vgpr_count:     13
    .vgpr_spill_count: 0
    .wavefront_size: 32
  - .args:
      - .offset:         0
        .size:           4
        .value_kind:     by_value
      - .offset:         8
        .size:           8
        .value_kind:     by_value
      - .offset:         16
        .size:           8
        .value_kind:     by_value
      - .offset:         24
        .size:           4
        .value_kind:     by_value
      - .actual_access:  read_only
        .address_space:  global
        .offset:         32
        .size:           8
        .value_kind:     global_buffer
      - .actual_access:  read_only
        .address_space:  global
        .offset:         40
        .size:           8
        .value_kind:     global_buffer
      - .actual_access:  read_only
        .address_space:  global
        .offset:         48
        .size:           8
        .value_kind:     global_buffer
      - .offset:         56
        .size:           8
        .value_kind:     by_value
      - .offset:         64
        .size:           4
        .value_kind:     by_value
      - .actual_access:  write_only
        .address_space:  global
        .offset:         72
        .size:           8
        .value_kind:     global_buffer
      - .actual_access:  write_only
        .address_space:  global
        .offset:         80
        .size:           8
        .value_kind:     global_buffer
      - .actual_access:  write_only
        .address_space:  global
        .offset:         88
        .size:           8
        .value_kind:     global_buffer
    .group_segment_fixed_size: 0
    .kernarg_segment_align: 8
    .kernarg_segment_size: 96
    .language:       OpenCL C
    .language_version:
      - 2
      - 0
    .max_flat_workgroup_size: 256
    .name:           _ZN9rocsparseL32bsr2csr_block_per_row_2_7_kernelILj256ELj2EfilEEv20rocsparse_direction_T3_S2_21rocsparse_index_base_PKT1_PKT2_PKS2_S2_S3_PS4_PS7_PS2_
    .private_segment_fixed_size: 0
    .sgpr_count:     18
    .sgpr_spill_count: 0
    .symbol:         _ZN9rocsparseL32bsr2csr_block_per_row_2_7_kernelILj256ELj2EfilEEv20rocsparse_direction_T3_S2_21rocsparse_index_base_PKT1_PKT2_PKS2_S2_S3_PS4_PS7_PS2_.kd
    .uniform_work_group_size: 1
    .uses_dynamic_stack: false
    .vgpr_count:     20
    .vgpr_spill_count: 0
    .wavefront_size: 32
  - .args:
      - .offset:         0
        .size:           4
        .value_kind:     by_value
      - .offset:         8
        .size:           8
        .value_kind:     by_value
      - .offset:         16
        .size:           8
        .value_kind:     by_value
      - .offset:         24
        .size:           4
        .value_kind:     by_value
      - .actual_access:  read_only
        .address_space:  global
        .offset:         32
        .size:           8
        .value_kind:     global_buffer
      - .actual_access:  read_only
        .address_space:  global
        .offset:         40
        .size:           8
        .value_kind:     global_buffer
      - .actual_access:  read_only
        .address_space:  global
        .offset:         48
        .size:           8
        .value_kind:     global_buffer
      - .offset:         56
        .size:           8
        .value_kind:     by_value
      - .offset:         64
        .size:           4
        .value_kind:     by_value
      - .actual_access:  write_only
        .address_space:  global
        .offset:         72
        .size:           8
        .value_kind:     global_buffer
      - .actual_access:  write_only
        .address_space:  global
        .offset:         80
        .size:           8
        .value_kind:     global_buffer
      - .actual_access:  write_only
        .address_space:  global
        .offset:         88
        .size:           8
        .value_kind:     global_buffer
    .group_segment_fixed_size: 0
    .kernarg_segment_align: 8
    .kernarg_segment_size: 96
    .language:       OpenCL C
    .language_version:
      - 2
      - 0
    .max_flat_workgroup_size: 256
    .name:           _ZN9rocsparseL32bsr2csr_block_per_row_2_7_kernelILj256ELj3EfilEEv20rocsparse_direction_T3_S2_21rocsparse_index_base_PKT1_PKT2_PKS2_S2_S3_PS4_PS7_PS2_
    .private_segment_fixed_size: 0
    .sgpr_count:     18
    .sgpr_spill_count: 0
    .symbol:         _ZN9rocsparseL32bsr2csr_block_per_row_2_7_kernelILj256ELj3EfilEEv20rocsparse_direction_T3_S2_21rocsparse_index_base_PKT1_PKT2_PKS2_S2_S3_PS4_PS7_PS2_.kd
    .uniform_work_group_size: 1
    .uses_dynamic_stack: false
    .vgpr_count:     24
    .vgpr_spill_count: 0
    .wavefront_size: 32
  - .args:
      - .offset:         0
        .size:           4
        .value_kind:     by_value
      - .offset:         8
        .size:           8
        .value_kind:     by_value
      - .offset:         16
        .size:           8
        .value_kind:     by_value
      - .offset:         24
        .size:           4
        .value_kind:     by_value
      - .actual_access:  read_only
        .address_space:  global
        .offset:         32
        .size:           8
        .value_kind:     global_buffer
      - .actual_access:  read_only
        .address_space:  global
        .offset:         40
        .size:           8
        .value_kind:     global_buffer
      - .actual_access:  read_only
        .address_space:  global
        .offset:         48
        .size:           8
        .value_kind:     global_buffer
      - .offset:         56
        .size:           8
        .value_kind:     by_value
      - .offset:         64
        .size:           4
        .value_kind:     by_value
      - .actual_access:  write_only
        .address_space:  global
        .offset:         72
        .size:           8
        .value_kind:     global_buffer
      - .actual_access:  write_only
        .address_space:  global
        .offset:         80
        .size:           8
        .value_kind:     global_buffer
      - .actual_access:  write_only
        .address_space:  global
        .offset:         88
        .size:           8
        .value_kind:     global_buffer
    .group_segment_fixed_size: 0
    .kernarg_segment_align: 8
    .kernarg_segment_size: 96
    .language:       OpenCL C
    .language_version:
      - 2
      - 0
    .max_flat_workgroup_size: 256
    .name:           _ZN9rocsparseL32bsr2csr_block_per_row_2_7_kernelILj256ELj4EfilEEv20rocsparse_direction_T3_S2_21rocsparse_index_base_PKT1_PKT2_PKS2_S2_S3_PS4_PS7_PS2_
    .private_segment_fixed_size: 0
    .sgpr_count:     18
    .sgpr_spill_count: 0
    .symbol:         _ZN9rocsparseL32bsr2csr_block_per_row_2_7_kernelILj256ELj4EfilEEv20rocsparse_direction_T3_S2_21rocsparse_index_base_PKT1_PKT2_PKS2_S2_S3_PS4_PS7_PS2_.kd
    .uniform_work_group_size: 1
    .uses_dynamic_stack: false
    .vgpr_count:     30
    .vgpr_spill_count: 0
    .wavefront_size: 32
  - .args:
      - .offset:         0
        .size:           4
        .value_kind:     by_value
      - .offset:         8
        .size:           8
        .value_kind:     by_value
      - .offset:         16
        .size:           8
        .value_kind:     by_value
      - .offset:         24
        .size:           4
        .value_kind:     by_value
      - .actual_access:  read_only
        .address_space:  global
        .offset:         32
        .size:           8
        .value_kind:     global_buffer
      - .actual_access:  read_only
        .address_space:  global
        .offset:         40
        .size:           8
        .value_kind:     global_buffer
      - .actual_access:  read_only
        .address_space:  global
        .offset:         48
        .size:           8
        .value_kind:     global_buffer
      - .offset:         56
        .size:           8
        .value_kind:     by_value
      - .offset:         64
        .size:           4
        .value_kind:     by_value
      - .actual_access:  write_only
        .address_space:  global
        .offset:         72
        .size:           8
        .value_kind:     global_buffer
      - .actual_access:  write_only
        .address_space:  global
        .offset:         80
        .size:           8
        .value_kind:     global_buffer
      - .actual_access:  write_only
        .address_space:  global
        .offset:         88
        .size:           8
        .value_kind:     global_buffer
    .group_segment_fixed_size: 0
    .kernarg_segment_align: 8
    .kernarg_segment_size: 96
    .language:       OpenCL C
    .language_version:
      - 2
      - 0
    .max_flat_workgroup_size: 256
    .name:           _ZN9rocsparseL32bsr2csr_block_per_row_2_7_kernelILj256ELj5EfilEEv20rocsparse_direction_T3_S2_21rocsparse_index_base_PKT1_PKT2_PKS2_S2_S3_PS4_PS7_PS2_
    .private_segment_fixed_size: 0
    .sgpr_count:     18
    .sgpr_spill_count: 0
    .symbol:         _ZN9rocsparseL32bsr2csr_block_per_row_2_7_kernelILj256ELj5EfilEEv20rocsparse_direction_T3_S2_21rocsparse_index_base_PKT1_PKT2_PKS2_S2_S3_PS4_PS7_PS2_.kd
    .uniform_work_group_size: 1
    .uses_dynamic_stack: false
    .vgpr_count:     32
    .vgpr_spill_count: 0
    .wavefront_size: 32
  - .args:
      - .offset:         0
        .size:           4
        .value_kind:     by_value
      - .offset:         8
        .size:           8
        .value_kind:     by_value
      - .offset:         16
        .size:           8
        .value_kind:     by_value
      - .offset:         24
        .size:           4
        .value_kind:     by_value
      - .actual_access:  read_only
        .address_space:  global
        .offset:         32
        .size:           8
        .value_kind:     global_buffer
      - .actual_access:  read_only
        .address_space:  global
        .offset:         40
        .size:           8
        .value_kind:     global_buffer
      - .actual_access:  read_only
        .address_space:  global
        .offset:         48
        .size:           8
        .value_kind:     global_buffer
      - .offset:         56
        .size:           8
        .value_kind:     by_value
      - .offset:         64
        .size:           4
        .value_kind:     by_value
      - .actual_access:  write_only
        .address_space:  global
        .offset:         72
        .size:           8
        .value_kind:     global_buffer
      - .actual_access:  write_only
        .address_space:  global
        .offset:         80
        .size:           8
        .value_kind:     global_buffer
      - .actual_access:  write_only
        .address_space:  global
        .offset:         88
        .size:           8
        .value_kind:     global_buffer
    .group_segment_fixed_size: 0
    .kernarg_segment_align: 8
    .kernarg_segment_size: 96
    .language:       OpenCL C
    .language_version:
      - 2
      - 0
    .max_flat_workgroup_size: 256
    .name:           _ZN9rocsparseL32bsr2csr_block_per_row_2_7_kernelILj256ELj6EfilEEv20rocsparse_direction_T3_S2_21rocsparse_index_base_PKT1_PKT2_PKS2_S2_S3_PS4_PS7_PS2_
    .private_segment_fixed_size: 0
    .sgpr_count:     18
    .sgpr_spill_count: 0
    .symbol:         _ZN9rocsparseL32bsr2csr_block_per_row_2_7_kernelILj256ELj6EfilEEv20rocsparse_direction_T3_S2_21rocsparse_index_base_PKT1_PKT2_PKS2_S2_S3_PS4_PS7_PS2_.kd
    .uniform_work_group_size: 1
    .uses_dynamic_stack: false
    .vgpr_count:     36
    .vgpr_spill_count: 0
    .wavefront_size: 32
  - .args:
      - .offset:         0
        .size:           4
        .value_kind:     by_value
      - .offset:         8
        .size:           8
        .value_kind:     by_value
      - .offset:         16
        .size:           8
        .value_kind:     by_value
      - .offset:         24
        .size:           4
        .value_kind:     by_value
      - .actual_access:  read_only
        .address_space:  global
        .offset:         32
        .size:           8
        .value_kind:     global_buffer
      - .actual_access:  read_only
        .address_space:  global
        .offset:         40
        .size:           8
        .value_kind:     global_buffer
      - .actual_access:  read_only
        .address_space:  global
        .offset:         48
        .size:           8
        .value_kind:     global_buffer
      - .offset:         56
        .size:           8
        .value_kind:     by_value
      - .offset:         64
        .size:           4
        .value_kind:     by_value
      - .actual_access:  write_only
        .address_space:  global
        .offset:         72
        .size:           8
        .value_kind:     global_buffer
      - .actual_access:  write_only
        .address_space:  global
        .offset:         80
        .size:           8
        .value_kind:     global_buffer
      - .actual_access:  write_only
        .address_space:  global
        .offset:         88
        .size:           8
        .value_kind:     global_buffer
    .group_segment_fixed_size: 0
    .kernarg_segment_align: 8
    .kernarg_segment_size: 96
    .language:       OpenCL C
    .language_version:
      - 2
      - 0
    .max_flat_workgroup_size: 256
    .name:           _ZN9rocsparseL32bsr2csr_block_per_row_2_7_kernelILj256ELj7EfilEEv20rocsparse_direction_T3_S2_21rocsparse_index_base_PKT1_PKT2_PKS2_S2_S3_PS4_PS7_PS2_
    .private_segment_fixed_size: 0
    .sgpr_count:     18
    .sgpr_spill_count: 0
    .symbol:         _ZN9rocsparseL32bsr2csr_block_per_row_2_7_kernelILj256ELj7EfilEEv20rocsparse_direction_T3_S2_21rocsparse_index_base_PKT1_PKT2_PKS2_S2_S3_PS4_PS7_PS2_.kd
    .uniform_work_group_size: 1
    .uses_dynamic_stack: false
    .vgpr_count:     40
    .vgpr_spill_count: 0
    .wavefront_size: 32
  - .args:
      - .offset:         0
        .size:           4
        .value_kind:     by_value
      - .offset:         8
        .size:           8
        .value_kind:     by_value
      - .offset:         16
        .size:           8
        .value_kind:     by_value
      - .offset:         24
        .size:           4
        .value_kind:     by_value
      - .actual_access:  read_only
        .address_space:  global
        .offset:         32
        .size:           8
        .value_kind:     global_buffer
      - .actual_access:  read_only
        .address_space:  global
        .offset:         40
        .size:           8
        .value_kind:     global_buffer
      - .actual_access:  read_only
        .address_space:  global
        .offset:         48
        .size:           8
        .value_kind:     global_buffer
      - .offset:         56
        .size:           8
        .value_kind:     by_value
      - .offset:         64
        .size:           4
        .value_kind:     by_value
      - .actual_access:  write_only
        .address_space:  global
        .offset:         72
        .size:           8
        .value_kind:     global_buffer
      - .actual_access:  write_only
        .address_space:  global
        .offset:         80
        .size:           8
        .value_kind:     global_buffer
      - .actual_access:  write_only
        .address_space:  global
        .offset:         88
        .size:           8
        .value_kind:     global_buffer
    .group_segment_fixed_size: 0
    .kernarg_segment_align: 8
    .kernarg_segment_size: 96
    .language:       OpenCL C
    .language_version:
      - 2
      - 0
    .max_flat_workgroup_size: 1024
    .name:           _ZN9rocsparseL33bsr2csr_block_per_row_8_32_kernelILj1024ELj8EfilEEv20rocsparse_direction_T3_S2_21rocsparse_index_base_PKT1_PKT2_PKS2_S2_S3_PS4_PS7_PS2_
    .private_segment_fixed_size: 0
    .sgpr_count:     22
    .sgpr_spill_count: 0
    .symbol:         _ZN9rocsparseL33bsr2csr_block_per_row_8_32_kernelILj1024ELj8EfilEEv20rocsparse_direction_T3_S2_21rocsparse_index_base_PKT1_PKT2_PKS2_S2_S3_PS4_PS7_PS2_.kd
    .uniform_work_group_size: 1
    .uses_dynamic_stack: false
    .vgpr_count:     16
    .vgpr_spill_count: 0
    .wavefront_size: 32
  - .args:
      - .offset:         0
        .size:           4
        .value_kind:     by_value
      - .offset:         8
        .size:           8
        .value_kind:     by_value
      - .offset:         16
        .size:           8
        .value_kind:     by_value
      - .offset:         24
        .size:           4
        .value_kind:     by_value
      - .actual_access:  read_only
        .address_space:  global
        .offset:         32
        .size:           8
        .value_kind:     global_buffer
      - .actual_access:  read_only
        .address_space:  global
        .offset:         40
        .size:           8
        .value_kind:     global_buffer
      - .actual_access:  read_only
        .address_space:  global
        .offset:         48
        .size:           8
        .value_kind:     global_buffer
      - .offset:         56
        .size:           8
        .value_kind:     by_value
      - .offset:         64
        .size:           4
        .value_kind:     by_value
      - .actual_access:  write_only
        .address_space:  global
        .offset:         72
        .size:           8
        .value_kind:     global_buffer
      - .actual_access:  write_only
        .address_space:  global
        .offset:         80
        .size:           8
        .value_kind:     global_buffer
      - .actual_access:  write_only
        .address_space:  global
        .offset:         88
        .size:           8
        .value_kind:     global_buffer
    .group_segment_fixed_size: 0
    .kernarg_segment_align: 8
    .kernarg_segment_size: 96
    .language:       OpenCL C
    .language_version:
      - 2
      - 0
    .max_flat_workgroup_size: 1024
    .name:           _ZN9rocsparseL33bsr2csr_block_per_row_8_32_kernelILj1024ELj16EfilEEv20rocsparse_direction_T3_S2_21rocsparse_index_base_PKT1_PKT2_PKS2_S2_S3_PS4_PS7_PS2_
    .private_segment_fixed_size: 0
    .sgpr_count:     22
    .sgpr_spill_count: 0
    .symbol:         _ZN9rocsparseL33bsr2csr_block_per_row_8_32_kernelILj1024ELj16EfilEEv20rocsparse_direction_T3_S2_21rocsparse_index_base_PKT1_PKT2_PKS2_S2_S3_PS4_PS7_PS2_.kd
    .uniform_work_group_size: 1
    .uses_dynamic_stack: false
    .vgpr_count:     16
    .vgpr_spill_count: 0
    .wavefront_size: 32
  - .args:
      - .offset:         0
        .size:           4
        .value_kind:     by_value
      - .offset:         8
        .size:           8
        .value_kind:     by_value
      - .offset:         16
        .size:           8
        .value_kind:     by_value
      - .offset:         24
        .size:           4
        .value_kind:     by_value
      - .actual_access:  read_only
        .address_space:  global
        .offset:         32
        .size:           8
        .value_kind:     global_buffer
      - .actual_access:  read_only
        .address_space:  global
        .offset:         40
        .size:           8
        .value_kind:     global_buffer
      - .actual_access:  read_only
        .address_space:  global
        .offset:         48
        .size:           8
        .value_kind:     global_buffer
      - .offset:         56
        .size:           8
        .value_kind:     by_value
      - .offset:         64
        .size:           4
        .value_kind:     by_value
      - .actual_access:  write_only
        .address_space:  global
        .offset:         72
        .size:           8
        .value_kind:     global_buffer
      - .actual_access:  write_only
        .address_space:  global
        .offset:         80
        .size:           8
        .value_kind:     global_buffer
      - .actual_access:  write_only
        .address_space:  global
        .offset:         88
        .size:           8
        .value_kind:     global_buffer
    .group_segment_fixed_size: 0
    .kernarg_segment_align: 8
    .kernarg_segment_size: 96
    .language:       OpenCL C
    .language_version:
      - 2
      - 0
    .max_flat_workgroup_size: 1024
    .name:           _ZN9rocsparseL33bsr2csr_block_per_row_8_32_kernelILj1024ELj32EfilEEv20rocsparse_direction_T3_S2_21rocsparse_index_base_PKT1_PKT2_PKS2_S2_S3_PS4_PS7_PS2_
    .private_segment_fixed_size: 0
    .sgpr_count:     24
    .sgpr_spill_count: 0
    .symbol:         _ZN9rocsparseL33bsr2csr_block_per_row_8_32_kernelILj1024ELj32EfilEEv20rocsparse_direction_T3_S2_21rocsparse_index_base_PKT1_PKT2_PKS2_S2_S3_PS4_PS7_PS2_.kd
    .uniform_work_group_size: 1
    .uses_dynamic_stack: false
    .vgpr_count:     13
    .vgpr_spill_count: 0
    .wavefront_size: 32
  - .args:
      - .offset:         0
        .size:           4
        .value_kind:     by_value
      - .offset:         8
        .size:           8
        .value_kind:     by_value
      - .offset:         16
        .size:           8
        .value_kind:     by_value
      - .offset:         24
        .size:           4
        .value_kind:     by_value
      - .actual_access:  read_only
        .address_space:  global
        .offset:         32
        .size:           8
        .value_kind:     global_buffer
      - .actual_access:  read_only
        .address_space:  global
        .offset:         40
        .size:           8
        .value_kind:     global_buffer
      - .actual_access:  read_only
        .address_space:  global
        .offset:         48
        .size:           8
        .value_kind:     global_buffer
      - .offset:         56
        .size:           8
        .value_kind:     by_value
      - .offset:         64
        .size:           4
        .value_kind:     by_value
      - .actual_access:  write_only
        .address_space:  global
        .offset:         72
        .size:           8
        .value_kind:     global_buffer
      - .actual_access:  write_only
        .address_space:  global
        .offset:         80
        .size:           8
        .value_kind:     global_buffer
      - .actual_access:  write_only
        .address_space:  global
        .offset:         88
        .size:           8
        .value_kind:     global_buffer
    .group_segment_fixed_size: 0
    .kernarg_segment_align: 8
    .kernarg_segment_size: 96
    .language:       OpenCL C
    .language_version:
      - 2
      - 0
    .max_flat_workgroup_size: 1024
    .name:           _ZN9rocsparseL35bsr2csr_block_per_row_33_256_kernelILj1024ELj64ELj32EfilEEv20rocsparse_direction_T4_S2_21rocsparse_index_base_PKT2_PKT3_PKS2_S2_S3_PS4_PS7_PS2_
    .private_segment_fixed_size: 0
    .sgpr_count:     30
    .sgpr_spill_count: 0
    .symbol:         _ZN9rocsparseL35bsr2csr_block_per_row_33_256_kernelILj1024ELj64ELj32EfilEEv20rocsparse_direction_T4_S2_21rocsparse_index_base_PKT2_PKT3_PKS2_S2_S3_PS4_PS7_PS2_.kd
    .uniform_work_group_size: 1
    .uses_dynamic_stack: false
    .vgpr_count:     33
    .vgpr_spill_count: 0
    .wavefront_size: 32
  - .args:
      - .offset:         0
        .size:           4
        .value_kind:     by_value
      - .offset:         8
        .size:           8
        .value_kind:     by_value
      - .offset:         16
        .size:           8
        .value_kind:     by_value
      - .offset:         24
        .size:           4
        .value_kind:     by_value
      - .actual_access:  read_only
        .address_space:  global
        .offset:         32
        .size:           8
        .value_kind:     global_buffer
      - .actual_access:  read_only
        .address_space:  global
        .offset:         40
        .size:           8
        .value_kind:     global_buffer
      - .actual_access:  read_only
        .address_space:  global
        .offset:         48
        .size:           8
        .value_kind:     global_buffer
      - .offset:         56
        .size:           8
        .value_kind:     by_value
      - .offset:         64
        .size:           4
        .value_kind:     by_value
      - .actual_access:  write_only
        .address_space:  global
        .offset:         72
        .size:           8
        .value_kind:     global_buffer
      - .actual_access:  write_only
        .address_space:  global
        .offset:         80
        .size:           8
        .value_kind:     global_buffer
      - .actual_access:  write_only
        .address_space:  global
        .offset:         88
        .size:           8
        .value_kind:     global_buffer
    .group_segment_fixed_size: 0
    .kernarg_segment_align: 8
    .kernarg_segment_size: 96
    .language:       OpenCL C
    .language_version:
      - 2
      - 0
    .max_flat_workgroup_size: 1024
    .name:           _ZN9rocsparseL35bsr2csr_block_per_row_33_256_kernelILj1024ELj128ELj32EfilEEv20rocsparse_direction_T4_S2_21rocsparse_index_base_PKT2_PKT3_PKS2_S2_S3_PS4_PS7_PS2_
    .private_segment_fixed_size: 0
    .sgpr_count:     47
    .sgpr_spill_count: 0
    .symbol:         _ZN9rocsparseL35bsr2csr_block_per_row_33_256_kernelILj1024ELj128ELj32EfilEEv20rocsparse_direction_T4_S2_21rocsparse_index_base_PKT2_PKT3_PKS2_S2_S3_PS4_PS7_PS2_.kd
    .uniform_work_group_size: 1
    .uses_dynamic_stack: false
    .vgpr_count:     59
    .vgpr_spill_count: 0
    .wavefront_size: 32
  - .args:
      - .offset:         0
        .size:           4
        .value_kind:     by_value
      - .offset:         8
        .size:           8
        .value_kind:     by_value
      - .offset:         16
        .size:           8
        .value_kind:     by_value
      - .offset:         24
        .size:           4
        .value_kind:     by_value
      - .actual_access:  read_only
        .address_space:  global
        .offset:         32
        .size:           8
        .value_kind:     global_buffer
      - .actual_access:  read_only
        .address_space:  global
        .offset:         40
        .size:           8
        .value_kind:     global_buffer
      - .actual_access:  read_only
        .address_space:  global
        .offset:         48
        .size:           8
        .value_kind:     global_buffer
      - .offset:         56
        .size:           8
        .value_kind:     by_value
      - .offset:         64
        .size:           4
        .value_kind:     by_value
      - .actual_access:  write_only
        .address_space:  global
        .offset:         72
        .size:           8
        .value_kind:     global_buffer
      - .actual_access:  write_only
        .address_space:  global
        .offset:         80
        .size:           8
        .value_kind:     global_buffer
      - .actual_access:  write_only
        .address_space:  global
        .offset:         88
        .size:           8
        .value_kind:     global_buffer
    .group_segment_fixed_size: 0
    .kernarg_segment_align: 8
    .kernarg_segment_size: 96
    .language:       OpenCL C
    .language_version:
      - 2
      - 0
    .max_flat_workgroup_size: 1024
    .name:           _ZN9rocsparseL35bsr2csr_block_per_row_33_256_kernelILj1024ELj256ELj32EfilEEv20rocsparse_direction_T4_S2_21rocsparse_index_base_PKT2_PKT3_PKS2_S2_S3_PS4_PS7_PS2_
    .private_segment_fixed_size: 0
    .sgpr_count:     97
    .sgpr_spill_count: 0
    .symbol:         _ZN9rocsparseL35bsr2csr_block_per_row_33_256_kernelILj1024ELj256ELj32EfilEEv20rocsparse_direction_T4_S2_21rocsparse_index_base_PKT2_PKT3_PKS2_S2_S3_PS4_PS7_PS2_.kd
    .uniform_work_group_size: 1
    .uses_dynamic_stack: false
    .vgpr_count:     107
    .vgpr_spill_count: 0
    .wavefront_size: 32
  - .args:
      - .offset:         0
        .size:           8
        .value_kind:     by_value
      - .offset:         8
        .size:           8
        .value_kind:     by_value
      - .offset:         16
        .size:           4
        .value_kind:     by_value
      - .actual_access:  read_only
        .address_space:  global
        .offset:         24
        .size:           8
        .value_kind:     global_buffer
      - .actual_access:  read_only
        .address_space:  global
        .offset:         32
        .size:           8
        .value_kind:     global_buffer
      - .actual_access:  read_only
        .address_space:  global
        .offset:         40
        .size:           8
        .value_kind:     global_buffer
      - .offset:         48
        .size:           4
        .value_kind:     by_value
      - .actual_access:  write_only
        .address_space:  global
        .offset:         56
        .size:           8
        .value_kind:     global_buffer
      - .actual_access:  write_only
        .address_space:  global
        .offset:         64
        .size:           8
        .value_kind:     global_buffer
      - .actual_access:  write_only
        .address_space:  global
        .offset:         72
        .size:           8
        .value_kind:     global_buffer
      - .offset:         80
        .size:           4
        .value_kind:     hidden_block_count_x
      - .offset:         84
        .size:           4
        .value_kind:     hidden_block_count_y
      - .offset:         88
        .size:           4
        .value_kind:     hidden_block_count_z
      - .offset:         92
        .size:           2
        .value_kind:     hidden_group_size_x
      - .offset:         94
        .size:           2
        .value_kind:     hidden_group_size_y
      - .offset:         96
        .size:           2
        .value_kind:     hidden_group_size_z
      - .offset:         98
        .size:           2
        .value_kind:     hidden_remainder_x
      - .offset:         100
        .size:           2
        .value_kind:     hidden_remainder_y
      - .offset:         102
        .size:           2
        .value_kind:     hidden_remainder_z
      - .offset:         120
        .size:           8
        .value_kind:     hidden_global_offset_x
      - .offset:         128
        .size:           8
        .value_kind:     hidden_global_offset_y
      - .offset:         136
        .size:           8
        .value_kind:     hidden_global_offset_z
      - .offset:         144
        .size:           2
        .value_kind:     hidden_grid_dims
    .group_segment_fixed_size: 0
    .kernarg_segment_align: 8
    .kernarg_segment_size: 336
    .language:       OpenCL C
    .language_version:
      - 2
      - 0
    .max_flat_workgroup_size: 1024
    .name:           _ZN9rocsparseL35bsr2csr_block_dim_equals_one_kernelILj1024EfllEEvT2_S1_21rocsparse_index_base_PKT0_PKT1_PKS1_S2_PS3_PS6_PS1_
    .private_segment_fixed_size: 0
    .sgpr_count:     24
    .sgpr_spill_count: 0
    .symbol:         _ZN9rocsparseL35bsr2csr_block_dim_equals_one_kernelILj1024EfllEEvT2_S1_21rocsparse_index_base_PKT0_PKT1_PKS1_S2_PS3_PS6_PS1_.kd
    .uniform_work_group_size: 1
    .uses_dynamic_stack: false
    .vgpr_count:     13
    .vgpr_spill_count: 0
    .wavefront_size: 32
  - .args:
      - .offset:         0
        .size:           4
        .value_kind:     by_value
      - .offset:         8
        .size:           8
        .value_kind:     by_value
      - .offset:         16
        .size:           8
        .value_kind:     by_value
      - .offset:         24
        .size:           4
        .value_kind:     by_value
      - .actual_access:  read_only
        .address_space:  global
        .offset:         32
        .size:           8
        .value_kind:     global_buffer
      - .actual_access:  read_only
        .address_space:  global
        .offset:         40
        .size:           8
        .value_kind:     global_buffer
      - .actual_access:  read_only
        .address_space:  global
        .offset:         48
        .size:           8
        .value_kind:     global_buffer
      - .offset:         56
        .size:           8
        .value_kind:     by_value
      - .offset:         64
        .size:           4
        .value_kind:     by_value
      - .actual_access:  write_only
        .address_space:  global
        .offset:         72
        .size:           8
        .value_kind:     global_buffer
      - .actual_access:  write_only
        .address_space:  global
        .offset:         80
        .size:           8
        .value_kind:     global_buffer
      - .actual_access:  write_only
        .address_space:  global
        .offset:         88
        .size:           8
        .value_kind:     global_buffer
    .group_segment_fixed_size: 0
    .kernarg_segment_align: 8
    .kernarg_segment_size: 96
    .language:       OpenCL C
    .language_version:
      - 2
      - 0
    .max_flat_workgroup_size: 256
    .name:           _ZN9rocsparseL32bsr2csr_block_per_row_2_7_kernelILj256ELj2EfllEEv20rocsparse_direction_T3_S2_21rocsparse_index_base_PKT1_PKT2_PKS2_S2_S3_PS4_PS7_PS2_
    .private_segment_fixed_size: 0
    .sgpr_count:     21
    .sgpr_spill_count: 0
    .symbol:         _ZN9rocsparseL32bsr2csr_block_per_row_2_7_kernelILj256ELj2EfllEEv20rocsparse_direction_T3_S2_21rocsparse_index_base_PKT1_PKT2_PKS2_S2_S3_PS4_PS7_PS2_.kd
    .uniform_work_group_size: 1
    .uses_dynamic_stack: false
    .vgpr_count:     22
    .vgpr_spill_count: 0
    .wavefront_size: 32
  - .args:
      - .offset:         0
        .size:           4
        .value_kind:     by_value
      - .offset:         8
        .size:           8
        .value_kind:     by_value
      - .offset:         16
        .size:           8
        .value_kind:     by_value
      - .offset:         24
        .size:           4
        .value_kind:     by_value
      - .actual_access:  read_only
        .address_space:  global
        .offset:         32
        .size:           8
        .value_kind:     global_buffer
      - .actual_access:  read_only
        .address_space:  global
        .offset:         40
        .size:           8
        .value_kind:     global_buffer
      - .actual_access:  read_only
        .address_space:  global
        .offset:         48
        .size:           8
        .value_kind:     global_buffer
      - .offset:         56
        .size:           8
        .value_kind:     by_value
      - .offset:         64
        .size:           4
        .value_kind:     by_value
      - .actual_access:  write_only
        .address_space:  global
        .offset:         72
        .size:           8
        .value_kind:     global_buffer
      - .actual_access:  write_only
        .address_space:  global
        .offset:         80
        .size:           8
        .value_kind:     global_buffer
      - .actual_access:  write_only
        .address_space:  global
        .offset:         88
        .size:           8
        .value_kind:     global_buffer
    .group_segment_fixed_size: 0
    .kernarg_segment_align: 8
    .kernarg_segment_size: 96
    .language:       OpenCL C
    .language_version:
      - 2
      - 0
    .max_flat_workgroup_size: 256
    .name:           _ZN9rocsparseL32bsr2csr_block_per_row_2_7_kernelILj256ELj3EfllEEv20rocsparse_direction_T3_S2_21rocsparse_index_base_PKT1_PKT2_PKS2_S2_S3_PS4_PS7_PS2_
    .private_segment_fixed_size: 0
    .sgpr_count:     20
    .sgpr_spill_count: 0
    .symbol:         _ZN9rocsparseL32bsr2csr_block_per_row_2_7_kernelILj256ELj3EfllEEv20rocsparse_direction_T3_S2_21rocsparse_index_base_PKT1_PKT2_PKS2_S2_S3_PS4_PS7_PS2_.kd
    .uniform_work_group_size: 1
    .uses_dynamic_stack: false
    .vgpr_count:     28
    .vgpr_spill_count: 0
    .wavefront_size: 32
  - .args:
      - .offset:         0
        .size:           4
        .value_kind:     by_value
      - .offset:         8
        .size:           8
        .value_kind:     by_value
      - .offset:         16
        .size:           8
        .value_kind:     by_value
      - .offset:         24
        .size:           4
        .value_kind:     by_value
      - .actual_access:  read_only
        .address_space:  global
        .offset:         32
        .size:           8
        .value_kind:     global_buffer
      - .actual_access:  read_only
        .address_space:  global
        .offset:         40
        .size:           8
        .value_kind:     global_buffer
      - .actual_access:  read_only
        .address_space:  global
        .offset:         48
        .size:           8
        .value_kind:     global_buffer
      - .offset:         56
        .size:           8
        .value_kind:     by_value
      - .offset:         64
        .size:           4
        .value_kind:     by_value
      - .actual_access:  write_only
        .address_space:  global
        .offset:         72
        .size:           8
        .value_kind:     global_buffer
      - .actual_access:  write_only
        .address_space:  global
        .offset:         80
        .size:           8
        .value_kind:     global_buffer
      - .actual_access:  write_only
        .address_space:  global
        .offset:         88
        .size:           8
        .value_kind:     global_buffer
    .group_segment_fixed_size: 0
    .kernarg_segment_align: 8
    .kernarg_segment_size: 96
    .language:       OpenCL C
    .language_version:
      - 2
      - 0
    .max_flat_workgroup_size: 256
    .name:           _ZN9rocsparseL32bsr2csr_block_per_row_2_7_kernelILj256ELj4EfllEEv20rocsparse_direction_T3_S2_21rocsparse_index_base_PKT1_PKT2_PKS2_S2_S3_PS4_PS7_PS2_
    .private_segment_fixed_size: 0
    .sgpr_count:     20
    .sgpr_spill_count: 0
    .symbol:         _ZN9rocsparseL32bsr2csr_block_per_row_2_7_kernelILj256ELj4EfllEEv20rocsparse_direction_T3_S2_21rocsparse_index_base_PKT1_PKT2_PKS2_S2_S3_PS4_PS7_PS2_.kd
    .uniform_work_group_size: 1
    .uses_dynamic_stack: false
    .vgpr_count:     30
    .vgpr_spill_count: 0
    .wavefront_size: 32
  - .args:
      - .offset:         0
        .size:           4
        .value_kind:     by_value
      - .offset:         8
        .size:           8
        .value_kind:     by_value
      - .offset:         16
        .size:           8
        .value_kind:     by_value
      - .offset:         24
        .size:           4
        .value_kind:     by_value
      - .actual_access:  read_only
        .address_space:  global
        .offset:         32
        .size:           8
        .value_kind:     global_buffer
      - .actual_access:  read_only
        .address_space:  global
        .offset:         40
        .size:           8
        .value_kind:     global_buffer
      - .actual_access:  read_only
        .address_space:  global
        .offset:         48
        .size:           8
        .value_kind:     global_buffer
      - .offset:         56
        .size:           8
        .value_kind:     by_value
      - .offset:         64
        .size:           4
        .value_kind:     by_value
      - .actual_access:  write_only
        .address_space:  global
        .offset:         72
        .size:           8
        .value_kind:     global_buffer
      - .actual_access:  write_only
        .address_space:  global
        .offset:         80
        .size:           8
        .value_kind:     global_buffer
      - .actual_access:  write_only
        .address_space:  global
        .offset:         88
        .size:           8
        .value_kind:     global_buffer
    .group_segment_fixed_size: 0
    .kernarg_segment_align: 8
    .kernarg_segment_size: 96
    .language:       OpenCL C
    .language_version:
      - 2
      - 0
    .max_flat_workgroup_size: 256
    .name:           _ZN9rocsparseL32bsr2csr_block_per_row_2_7_kernelILj256ELj5EfllEEv20rocsparse_direction_T3_S2_21rocsparse_index_base_PKT1_PKT2_PKS2_S2_S3_PS4_PS7_PS2_
    .private_segment_fixed_size: 0
    .sgpr_count:     20
    .sgpr_spill_count: 0
    .symbol:         _ZN9rocsparseL32bsr2csr_block_per_row_2_7_kernelILj256ELj5EfllEEv20rocsparse_direction_T3_S2_21rocsparse_index_base_PKT1_PKT2_PKS2_S2_S3_PS4_PS7_PS2_.kd
    .uniform_work_group_size: 1
    .uses_dynamic_stack: false
    .vgpr_count:     36
    .vgpr_spill_count: 0
    .wavefront_size: 32
  - .args:
      - .offset:         0
        .size:           4
        .value_kind:     by_value
      - .offset:         8
        .size:           8
        .value_kind:     by_value
      - .offset:         16
        .size:           8
        .value_kind:     by_value
      - .offset:         24
        .size:           4
        .value_kind:     by_value
      - .actual_access:  read_only
        .address_space:  global
        .offset:         32
        .size:           8
        .value_kind:     global_buffer
      - .actual_access:  read_only
        .address_space:  global
        .offset:         40
        .size:           8
        .value_kind:     global_buffer
      - .actual_access:  read_only
        .address_space:  global
        .offset:         48
        .size:           8
        .value_kind:     global_buffer
      - .offset:         56
        .size:           8
        .value_kind:     by_value
      - .offset:         64
        .size:           4
        .value_kind:     by_value
      - .actual_access:  write_only
        .address_space:  global
        .offset:         72
        .size:           8
        .value_kind:     global_buffer
      - .actual_access:  write_only
        .address_space:  global
        .offset:         80
        .size:           8
        .value_kind:     global_buffer
      - .actual_access:  write_only
        .address_space:  global
        .offset:         88
        .size:           8
        .value_kind:     global_buffer
    .group_segment_fixed_size: 0
    .kernarg_segment_align: 8
    .kernarg_segment_size: 96
    .language:       OpenCL C
    .language_version:
      - 2
      - 0
    .max_flat_workgroup_size: 256
    .name:           _ZN9rocsparseL32bsr2csr_block_per_row_2_7_kernelILj256ELj6EfllEEv20rocsparse_direction_T3_S2_21rocsparse_index_base_PKT1_PKT2_PKS2_S2_S3_PS4_PS7_PS2_
    .private_segment_fixed_size: 0
    .sgpr_count:     20
    .sgpr_spill_count: 0
    .symbol:         _ZN9rocsparseL32bsr2csr_block_per_row_2_7_kernelILj256ELj6EfllEEv20rocsparse_direction_T3_S2_21rocsparse_index_base_PKT1_PKT2_PKS2_S2_S3_PS4_PS7_PS2_.kd
    .uniform_work_group_size: 1
    .uses_dynamic_stack: false
    .vgpr_count:     36
    .vgpr_spill_count: 0
    .wavefront_size: 32
  - .args:
      - .offset:         0
        .size:           4
        .value_kind:     by_value
      - .offset:         8
        .size:           8
        .value_kind:     by_value
      - .offset:         16
        .size:           8
        .value_kind:     by_value
      - .offset:         24
        .size:           4
        .value_kind:     by_value
      - .actual_access:  read_only
        .address_space:  global
        .offset:         32
        .size:           8
        .value_kind:     global_buffer
      - .actual_access:  read_only
        .address_space:  global
        .offset:         40
        .size:           8
        .value_kind:     global_buffer
      - .actual_access:  read_only
        .address_space:  global
        .offset:         48
        .size:           8
        .value_kind:     global_buffer
      - .offset:         56
        .size:           8
        .value_kind:     by_value
      - .offset:         64
        .size:           4
        .value_kind:     by_value
      - .actual_access:  write_only
        .address_space:  global
        .offset:         72
        .size:           8
        .value_kind:     global_buffer
      - .actual_access:  write_only
        .address_space:  global
        .offset:         80
        .size:           8
        .value_kind:     global_buffer
      - .actual_access:  write_only
        .address_space:  global
        .offset:         88
        .size:           8
        .value_kind:     global_buffer
    .group_segment_fixed_size: 0
    .kernarg_segment_align: 8
    .kernarg_segment_size: 96
    .language:       OpenCL C
    .language_version:
      - 2
      - 0
    .max_flat_workgroup_size: 256
    .name:           _ZN9rocsparseL32bsr2csr_block_per_row_2_7_kernelILj256ELj7EfllEEv20rocsparse_direction_T3_S2_21rocsparse_index_base_PKT1_PKT2_PKS2_S2_S3_PS4_PS7_PS2_
    .private_segment_fixed_size: 0
    .sgpr_count:     20
    .sgpr_spill_count: 0
    .symbol:         _ZN9rocsparseL32bsr2csr_block_per_row_2_7_kernelILj256ELj7EfllEEv20rocsparse_direction_T3_S2_21rocsparse_index_base_PKT1_PKT2_PKS2_S2_S3_PS4_PS7_PS2_.kd
    .uniform_work_group_size: 1
    .uses_dynamic_stack: false
    .vgpr_count:     40
    .vgpr_spill_count: 0
    .wavefront_size: 32
  - .args:
      - .offset:         0
        .size:           4
        .value_kind:     by_value
      - .offset:         8
        .size:           8
        .value_kind:     by_value
      - .offset:         16
        .size:           8
        .value_kind:     by_value
      - .offset:         24
        .size:           4
        .value_kind:     by_value
      - .actual_access:  read_only
        .address_space:  global
        .offset:         32
        .size:           8
        .value_kind:     global_buffer
      - .actual_access:  read_only
        .address_space:  global
        .offset:         40
        .size:           8
        .value_kind:     global_buffer
      - .actual_access:  read_only
        .address_space:  global
        .offset:         48
        .size:           8
        .value_kind:     global_buffer
      - .offset:         56
        .size:           8
        .value_kind:     by_value
      - .offset:         64
        .size:           4
        .value_kind:     by_value
      - .actual_access:  write_only
        .address_space:  global
        .offset:         72
        .size:           8
        .value_kind:     global_buffer
      - .actual_access:  write_only
        .address_space:  global
        .offset:         80
        .size:           8
        .value_kind:     global_buffer
      - .actual_access:  write_only
        .address_space:  global
        .offset:         88
        .size:           8
        .value_kind:     global_buffer
    .group_segment_fixed_size: 0
    .kernarg_segment_align: 8
    .kernarg_segment_size: 96
    .language:       OpenCL C
    .language_version:
      - 2
      - 0
    .max_flat_workgroup_size: 1024
    .name:           _ZN9rocsparseL33bsr2csr_block_per_row_8_32_kernelILj1024ELj8EfllEEv20rocsparse_direction_T3_S2_21rocsparse_index_base_PKT1_PKT2_PKS2_S2_S3_PS4_PS7_PS2_
    .private_segment_fixed_size: 0
    .sgpr_count:     28
    .sgpr_spill_count: 0
    .symbol:         _ZN9rocsparseL33bsr2csr_block_per_row_8_32_kernelILj1024ELj8EfllEEv20rocsparse_direction_T3_S2_21rocsparse_index_base_PKT1_PKT2_PKS2_S2_S3_PS4_PS7_PS2_.kd
    .uniform_work_group_size: 1
    .uses_dynamic_stack: false
    .vgpr_count:     17
    .vgpr_spill_count: 0
    .wavefront_size: 32
  - .args:
      - .offset:         0
        .size:           4
        .value_kind:     by_value
      - .offset:         8
        .size:           8
        .value_kind:     by_value
      - .offset:         16
        .size:           8
        .value_kind:     by_value
      - .offset:         24
        .size:           4
        .value_kind:     by_value
      - .actual_access:  read_only
        .address_space:  global
        .offset:         32
        .size:           8
        .value_kind:     global_buffer
      - .actual_access:  read_only
        .address_space:  global
        .offset:         40
        .size:           8
        .value_kind:     global_buffer
      - .actual_access:  read_only
        .address_space:  global
        .offset:         48
        .size:           8
        .value_kind:     global_buffer
      - .offset:         56
        .size:           8
        .value_kind:     by_value
      - .offset:         64
        .size:           4
        .value_kind:     by_value
      - .actual_access:  write_only
        .address_space:  global
        .offset:         72
        .size:           8
        .value_kind:     global_buffer
      - .actual_access:  write_only
        .address_space:  global
        .offset:         80
        .size:           8
        .value_kind:     global_buffer
      - .actual_access:  write_only
        .address_space:  global
        .offset:         88
        .size:           8
        .value_kind:     global_buffer
    .group_segment_fixed_size: 0
    .kernarg_segment_align: 8
    .kernarg_segment_size: 96
    .language:       OpenCL C
    .language_version:
      - 2
      - 0
    .max_flat_workgroup_size: 1024
    .name:           _ZN9rocsparseL33bsr2csr_block_per_row_8_32_kernelILj1024ELj16EfllEEv20rocsparse_direction_T3_S2_21rocsparse_index_base_PKT1_PKT2_PKS2_S2_S3_PS4_PS7_PS2_
    .private_segment_fixed_size: 0
    .sgpr_count:     28
    .sgpr_spill_count: 0
    .symbol:         _ZN9rocsparseL33bsr2csr_block_per_row_8_32_kernelILj1024ELj16EfllEEv20rocsparse_direction_T3_S2_21rocsparse_index_base_PKT1_PKT2_PKS2_S2_S3_PS4_PS7_PS2_.kd
    .uniform_work_group_size: 1
    .uses_dynamic_stack: false
    .vgpr_count:     17
    .vgpr_spill_count: 0
    .wavefront_size: 32
  - .args:
      - .offset:         0
        .size:           4
        .value_kind:     by_value
      - .offset:         8
        .size:           8
        .value_kind:     by_value
      - .offset:         16
        .size:           8
        .value_kind:     by_value
      - .offset:         24
        .size:           4
        .value_kind:     by_value
      - .actual_access:  read_only
        .address_space:  global
        .offset:         32
        .size:           8
        .value_kind:     global_buffer
      - .actual_access:  read_only
        .address_space:  global
        .offset:         40
        .size:           8
        .value_kind:     global_buffer
      - .actual_access:  read_only
        .address_space:  global
        .offset:         48
        .size:           8
        .value_kind:     global_buffer
      - .offset:         56
        .size:           8
        .value_kind:     by_value
      - .offset:         64
        .size:           4
        .value_kind:     by_value
      - .actual_access:  write_only
        .address_space:  global
        .offset:         72
        .size:           8
        .value_kind:     global_buffer
      - .actual_access:  write_only
        .address_space:  global
        .offset:         80
        .size:           8
        .value_kind:     global_buffer
      - .actual_access:  write_only
        .address_space:  global
        .offset:         88
        .size:           8
        .value_kind:     global_buffer
    .group_segment_fixed_size: 0
    .kernarg_segment_align: 8
    .kernarg_segment_size: 96
    .language:       OpenCL C
    .language_version:
      - 2
      - 0
    .max_flat_workgroup_size: 1024
    .name:           _ZN9rocsparseL33bsr2csr_block_per_row_8_32_kernelILj1024ELj32EfllEEv20rocsparse_direction_T3_S2_21rocsparse_index_base_PKT1_PKT2_PKS2_S2_S3_PS4_PS7_PS2_
    .private_segment_fixed_size: 0
    .sgpr_count:     32
    .sgpr_spill_count: 0
    .symbol:         _ZN9rocsparseL33bsr2csr_block_per_row_8_32_kernelILj1024ELj32EfllEEv20rocsparse_direction_T3_S2_21rocsparse_index_base_PKT1_PKT2_PKS2_S2_S3_PS4_PS7_PS2_.kd
    .uniform_work_group_size: 1
    .uses_dynamic_stack: false
    .vgpr_count:     12
    .vgpr_spill_count: 0
    .wavefront_size: 32
  - .args:
      - .offset:         0
        .size:           4
        .value_kind:     by_value
      - .offset:         8
        .size:           8
        .value_kind:     by_value
      - .offset:         16
        .size:           8
        .value_kind:     by_value
      - .offset:         24
        .size:           4
        .value_kind:     by_value
      - .actual_access:  read_only
        .address_space:  global
        .offset:         32
        .size:           8
        .value_kind:     global_buffer
      - .actual_access:  read_only
        .address_space:  global
        .offset:         40
        .size:           8
        .value_kind:     global_buffer
      - .actual_access:  read_only
        .address_space:  global
        .offset:         48
        .size:           8
        .value_kind:     global_buffer
      - .offset:         56
        .size:           8
        .value_kind:     by_value
      - .offset:         64
        .size:           4
        .value_kind:     by_value
      - .actual_access:  write_only
        .address_space:  global
        .offset:         72
        .size:           8
        .value_kind:     global_buffer
      - .actual_access:  write_only
        .address_space:  global
        .offset:         80
        .size:           8
        .value_kind:     global_buffer
      - .actual_access:  write_only
        .address_space:  global
        .offset:         88
        .size:           8
        .value_kind:     global_buffer
    .group_segment_fixed_size: 0
    .kernarg_segment_align: 8
    .kernarg_segment_size: 96
    .language:       OpenCL C
    .language_version:
      - 2
      - 0
    .max_flat_workgroup_size: 1024
    .name:           _ZN9rocsparseL35bsr2csr_block_per_row_33_256_kernelILj1024ELj64ELj32EfllEEv20rocsparse_direction_T4_S2_21rocsparse_index_base_PKT2_PKT3_PKS2_S2_S3_PS4_PS7_PS2_
    .private_segment_fixed_size: 0
    .sgpr_count:     32
    .sgpr_spill_count: 0
    .symbol:         _ZN9rocsparseL35bsr2csr_block_per_row_33_256_kernelILj1024ELj64ELj32EfllEEv20rocsparse_direction_T4_S2_21rocsparse_index_base_PKT2_PKT3_PKS2_S2_S3_PS4_PS7_PS2_.kd
    .uniform_work_group_size: 1
    .uses_dynamic_stack: false
    .vgpr_count:     38
    .vgpr_spill_count: 0
    .wavefront_size: 32
  - .args:
      - .offset:         0
        .size:           4
        .value_kind:     by_value
      - .offset:         8
        .size:           8
        .value_kind:     by_value
      - .offset:         16
        .size:           8
        .value_kind:     by_value
      - .offset:         24
        .size:           4
        .value_kind:     by_value
      - .actual_access:  read_only
        .address_space:  global
        .offset:         32
        .size:           8
        .value_kind:     global_buffer
      - .actual_access:  read_only
        .address_space:  global
        .offset:         40
        .size:           8
        .value_kind:     global_buffer
      - .actual_access:  read_only
        .address_space:  global
        .offset:         48
        .size:           8
        .value_kind:     global_buffer
      - .offset:         56
        .size:           8
        .value_kind:     by_value
      - .offset:         64
        .size:           4
        .value_kind:     by_value
      - .actual_access:  write_only
        .address_space:  global
        .offset:         72
        .size:           8
        .value_kind:     global_buffer
      - .actual_access:  write_only
        .address_space:  global
        .offset:         80
        .size:           8
        .value_kind:     global_buffer
      - .actual_access:  write_only
        .address_space:  global
        .offset:         88
        .size:           8
        .value_kind:     global_buffer
    .group_segment_fixed_size: 0
    .kernarg_segment_align: 8
    .kernarg_segment_size: 96
    .language:       OpenCL C
    .language_version:
      - 2
      - 0
    .max_flat_workgroup_size: 1024
    .name:           _ZN9rocsparseL35bsr2csr_block_per_row_33_256_kernelILj1024ELj128ELj32EfllEEv20rocsparse_direction_T4_S2_21rocsparse_index_base_PKT2_PKT3_PKS2_S2_S3_PS4_PS7_PS2_
    .private_segment_fixed_size: 0
    .sgpr_count:     48
    .sgpr_spill_count: 0
    .symbol:         _ZN9rocsparseL35bsr2csr_block_per_row_33_256_kernelILj1024ELj128ELj32EfllEEv20rocsparse_direction_T4_S2_21rocsparse_index_base_PKT2_PKT3_PKS2_S2_S3_PS4_PS7_PS2_.kd
    .uniform_work_group_size: 1
    .uses_dynamic_stack: false
    .vgpr_count:     70
    .vgpr_spill_count: 0
    .wavefront_size: 32
  - .args:
      - .offset:         0
        .size:           4
        .value_kind:     by_value
      - .offset:         8
        .size:           8
        .value_kind:     by_value
      - .offset:         16
        .size:           8
        .value_kind:     by_value
      - .offset:         24
        .size:           4
        .value_kind:     by_value
      - .actual_access:  read_only
        .address_space:  global
        .offset:         32
        .size:           8
        .value_kind:     global_buffer
      - .actual_access:  read_only
        .address_space:  global
        .offset:         40
        .size:           8
        .value_kind:     global_buffer
      - .actual_access:  read_only
        .address_space:  global
        .offset:         48
        .size:           8
        .value_kind:     global_buffer
      - .offset:         56
        .size:           8
        .value_kind:     by_value
      - .offset:         64
        .size:           4
        .value_kind:     by_value
      - .actual_access:  write_only
        .address_space:  global
        .offset:         72
        .size:           8
        .value_kind:     global_buffer
      - .actual_access:  write_only
        .address_space:  global
        .offset:         80
        .size:           8
        .value_kind:     global_buffer
      - .actual_access:  write_only
        .address_space:  global
        .offset:         88
        .size:           8
        .value_kind:     global_buffer
    .group_segment_fixed_size: 0
    .kernarg_segment_align: 8
    .kernarg_segment_size: 96
    .language:       OpenCL C
    .language_version:
      - 2
      - 0
    .max_flat_workgroup_size: 1024
    .name:           _ZN9rocsparseL35bsr2csr_block_per_row_33_256_kernelILj1024ELj256ELj32EfllEEv20rocsparse_direction_T4_S2_21rocsparse_index_base_PKT2_PKT3_PKS2_S2_S3_PS4_PS7_PS2_
    .private_segment_fixed_size: 0
    .sgpr_count:     102
    .sgpr_spill_count: 0
    .symbol:         _ZN9rocsparseL35bsr2csr_block_per_row_33_256_kernelILj1024ELj256ELj32EfllEEv20rocsparse_direction_T4_S2_21rocsparse_index_base_PKT2_PKT3_PKS2_S2_S3_PS4_PS7_PS2_.kd
    .uniform_work_group_size: 1
    .uses_dynamic_stack: false
    .vgpr_count:     94
    .vgpr_spill_count: 0
    .wavefront_size: 32
  - .args:
      - .offset:         0
        .size:           4
        .value_kind:     by_value
      - .offset:         4
        .size:           4
        .value_kind:     by_value
      - .offset:         8
        .size:           4
        .value_kind:     by_value
      - .actual_access:  read_only
        .address_space:  global
        .offset:         16
        .size:           8
        .value_kind:     global_buffer
      - .actual_access:  read_only
        .address_space:  global
        .offset:         24
        .size:           8
        .value_kind:     global_buffer
      - .actual_access:  read_only
        .address_space:  global
        .offset:         32
        .size:           8
        .value_kind:     global_buffer
      - .offset:         40
        .size:           4
        .value_kind:     by_value
      - .actual_access:  write_only
        .address_space:  global
        .offset:         48
        .size:           8
        .value_kind:     global_buffer
      - .actual_access:  write_only
        .address_space:  global
        .offset:         56
        .size:           8
        .value_kind:     global_buffer
      - .actual_access:  write_only
        .address_space:  global
        .offset:         64
        .size:           8
        .value_kind:     global_buffer
      - .offset:         72
        .size:           4
        .value_kind:     hidden_block_count_x
      - .offset:         76
        .size:           4
        .value_kind:     hidden_block_count_y
      - .offset:         80
        .size:           4
        .value_kind:     hidden_block_count_z
      - .offset:         84
        .size:           2
        .value_kind:     hidden_group_size_x
      - .offset:         86
        .size:           2
        .value_kind:     hidden_group_size_y
      - .offset:         88
        .size:           2
        .value_kind:     hidden_group_size_z
      - .offset:         90
        .size:           2
        .value_kind:     hidden_remainder_x
      - .offset:         92
        .size:           2
        .value_kind:     hidden_remainder_y
      - .offset:         94
        .size:           2
        .value_kind:     hidden_remainder_z
      - .offset:         112
        .size:           8
        .value_kind:     hidden_global_offset_x
      - .offset:         120
        .size:           8
        .value_kind:     hidden_global_offset_y
      - .offset:         128
        .size:           8
        .value_kind:     hidden_global_offset_z
      - .offset:         136
        .size:           2
        .value_kind:     hidden_grid_dims
    .group_segment_fixed_size: 0
    .kernarg_segment_align: 8
    .kernarg_segment_size: 328
    .language:       OpenCL C
    .language_version:
      - 2
      - 0
    .max_flat_workgroup_size: 1024
    .name:           _ZN9rocsparseL35bsr2csr_block_dim_equals_one_kernelILj1024E21rocsparse_complex_numIfEiiEEvT2_S3_21rocsparse_index_base_PKT0_PKT1_PKS3_S4_PS5_PS8_PS3_
    .private_segment_fixed_size: 0
    .sgpr_count:     23
    .sgpr_spill_count: 0
    .symbol:         _ZN9rocsparseL35bsr2csr_block_dim_equals_one_kernelILj1024E21rocsparse_complex_numIfEiiEEvT2_S3_21rocsparse_index_base_PKT0_PKT1_PKS3_S4_PS5_PS8_PS3_.kd
    .uniform_work_group_size: 1
    .uses_dynamic_stack: false
    .vgpr_count:     4
    .vgpr_spill_count: 0
    .wavefront_size: 32
  - .args:
      - .offset:         0
        .size:           4
        .value_kind:     by_value
      - .offset:         4
        .size:           4
        .value_kind:     by_value
      - .offset:         8
        .size:           4
        .value_kind:     by_value
      - .offset:         12
        .size:           4
        .value_kind:     by_value
      - .actual_access:  read_only
        .address_space:  global
        .offset:         16
        .size:           8
        .value_kind:     global_buffer
      - .actual_access:  read_only
        .address_space:  global
        .offset:         24
        .size:           8
        .value_kind:     global_buffer
      - .actual_access:  read_only
        .address_space:  global
        .offset:         32
        .size:           8
        .value_kind:     global_buffer
      - .offset:         40
        .size:           4
        .value_kind:     by_value
      - .offset:         44
        .size:           4
        .value_kind:     by_value
      - .actual_access:  write_only
        .address_space:  global
        .offset:         48
        .size:           8
        .value_kind:     global_buffer
      - .actual_access:  write_only
        .address_space:  global
        .offset:         56
        .size:           8
        .value_kind:     global_buffer
      - .actual_access:  write_only
        .address_space:  global
        .offset:         64
        .size:           8
        .value_kind:     global_buffer
    .group_segment_fixed_size: 0
    .kernarg_segment_align: 8
    .kernarg_segment_size: 72
    .language:       OpenCL C
    .language_version:
      - 2
      - 0
    .max_flat_workgroup_size: 256
    .name:           _ZN9rocsparseL32bsr2csr_block_per_row_2_7_kernelILj256ELj2E21rocsparse_complex_numIfEiiEEv20rocsparse_direction_T3_S4_21rocsparse_index_base_PKT1_PKT2_PKS4_S4_S5_PS6_PS9_PS4_
    .private_segment_fixed_size: 0
    .sgpr_count:     17
    .sgpr_spill_count: 0
    .symbol:         _ZN9rocsparseL32bsr2csr_block_per_row_2_7_kernelILj256ELj2E21rocsparse_complex_numIfEiiEEv20rocsparse_direction_T3_S4_21rocsparse_index_base_PKT1_PKT2_PKS4_S4_S5_PS6_PS9_PS4_.kd
    .uniform_work_group_size: 1
    .uses_dynamic_stack: false
    .vgpr_count:     16
    .vgpr_spill_count: 0
    .wavefront_size: 32
  - .args:
      - .offset:         0
        .size:           4
        .value_kind:     by_value
      - .offset:         4
        .size:           4
        .value_kind:     by_value
      - .offset:         8
        .size:           4
        .value_kind:     by_value
      - .offset:         12
        .size:           4
        .value_kind:     by_value
      - .actual_access:  read_only
        .address_space:  global
        .offset:         16
        .size:           8
        .value_kind:     global_buffer
      - .actual_access:  read_only
        .address_space:  global
        .offset:         24
        .size:           8
        .value_kind:     global_buffer
      - .actual_access:  read_only
        .address_space:  global
        .offset:         32
        .size:           8
        .value_kind:     global_buffer
      - .offset:         40
        .size:           4
        .value_kind:     by_value
      - .offset:         44
        .size:           4
        .value_kind:     by_value
      - .actual_access:  write_only
        .address_space:  global
        .offset:         48
        .size:           8
        .value_kind:     global_buffer
      - .actual_access:  write_only
        .address_space:  global
        .offset:         56
        .size:           8
        .value_kind:     global_buffer
      - .actual_access:  write_only
        .address_space:  global
        .offset:         64
        .size:           8
        .value_kind:     global_buffer
    .group_segment_fixed_size: 0
    .kernarg_segment_align: 8
    .kernarg_segment_size: 72
    .language:       OpenCL C
    .language_version:
      - 2
      - 0
    .max_flat_workgroup_size: 256
    .name:           _ZN9rocsparseL32bsr2csr_block_per_row_2_7_kernelILj256ELj3E21rocsparse_complex_numIfEiiEEv20rocsparse_direction_T3_S4_21rocsparse_index_base_PKT1_PKT2_PKS4_S4_S5_PS6_PS9_PS4_
    .private_segment_fixed_size: 0
    .sgpr_count:     17
    .sgpr_spill_count: 0
    .symbol:         _ZN9rocsparseL32bsr2csr_block_per_row_2_7_kernelILj256ELj3E21rocsparse_complex_numIfEiiEEv20rocsparse_direction_T3_S4_21rocsparse_index_base_PKT1_PKT2_PKS4_S4_S5_PS6_PS9_PS4_.kd
    .uniform_work_group_size: 1
    .uses_dynamic_stack: false
    .vgpr_count:     18
    .vgpr_spill_count: 0
    .wavefront_size: 32
  - .args:
      - .offset:         0
        .size:           4
        .value_kind:     by_value
      - .offset:         4
        .size:           4
        .value_kind:     by_value
      - .offset:         8
        .size:           4
        .value_kind:     by_value
      - .offset:         12
        .size:           4
        .value_kind:     by_value
      - .actual_access:  read_only
        .address_space:  global
        .offset:         16
        .size:           8
        .value_kind:     global_buffer
      - .actual_access:  read_only
        .address_space:  global
        .offset:         24
        .size:           8
        .value_kind:     global_buffer
      - .actual_access:  read_only
        .address_space:  global
        .offset:         32
        .size:           8
        .value_kind:     global_buffer
      - .offset:         40
        .size:           4
        .value_kind:     by_value
      - .offset:         44
        .size:           4
        .value_kind:     by_value
      - .actual_access:  write_only
        .address_space:  global
        .offset:         48
        .size:           8
        .value_kind:     global_buffer
      - .actual_access:  write_only
        .address_space:  global
        .offset:         56
        .size:           8
        .value_kind:     global_buffer
      - .actual_access:  write_only
        .address_space:  global
        .offset:         64
        .size:           8
        .value_kind:     global_buffer
    .group_segment_fixed_size: 0
    .kernarg_segment_align: 8
    .kernarg_segment_size: 72
    .language:       OpenCL C
    .language_version:
      - 2
      - 0
    .max_flat_workgroup_size: 256
    .name:           _ZN9rocsparseL32bsr2csr_block_per_row_2_7_kernelILj256ELj4E21rocsparse_complex_numIfEiiEEv20rocsparse_direction_T3_S4_21rocsparse_index_base_PKT1_PKT2_PKS4_S4_S5_PS6_PS9_PS4_
    .private_segment_fixed_size: 0
    .sgpr_count:     17
    .sgpr_spill_count: 0
    .symbol:         _ZN9rocsparseL32bsr2csr_block_per_row_2_7_kernelILj256ELj4E21rocsparse_complex_numIfEiiEEv20rocsparse_direction_T3_S4_21rocsparse_index_base_PKT1_PKT2_PKS4_S4_S5_PS6_PS9_PS4_.kd
    .uniform_work_group_size: 1
    .uses_dynamic_stack: false
    .vgpr_count:     22
    .vgpr_spill_count: 0
    .wavefront_size: 32
  - .args:
      - .offset:         0
        .size:           4
        .value_kind:     by_value
      - .offset:         4
        .size:           4
        .value_kind:     by_value
      - .offset:         8
        .size:           4
        .value_kind:     by_value
      - .offset:         12
        .size:           4
        .value_kind:     by_value
      - .actual_access:  read_only
        .address_space:  global
        .offset:         16
        .size:           8
        .value_kind:     global_buffer
      - .actual_access:  read_only
        .address_space:  global
        .offset:         24
        .size:           8
        .value_kind:     global_buffer
      - .actual_access:  read_only
        .address_space:  global
        .offset:         32
        .size:           8
        .value_kind:     global_buffer
      - .offset:         40
        .size:           4
        .value_kind:     by_value
      - .offset:         44
        .size:           4
        .value_kind:     by_value
      - .actual_access:  write_only
        .address_space:  global
        .offset:         48
        .size:           8
        .value_kind:     global_buffer
      - .actual_access:  write_only
        .address_space:  global
        .offset:         56
        .size:           8
        .value_kind:     global_buffer
      - .actual_access:  write_only
        .address_space:  global
        .offset:         64
        .size:           8
        .value_kind:     global_buffer
    .group_segment_fixed_size: 0
    .kernarg_segment_align: 8
    .kernarg_segment_size: 72
    .language:       OpenCL C
    .language_version:
      - 2
      - 0
    .max_flat_workgroup_size: 256
    .name:           _ZN9rocsparseL32bsr2csr_block_per_row_2_7_kernelILj256ELj5E21rocsparse_complex_numIfEiiEEv20rocsparse_direction_T3_S4_21rocsparse_index_base_PKT1_PKT2_PKS4_S4_S5_PS6_PS9_PS4_
    .private_segment_fixed_size: 0
    .sgpr_count:     17
    .sgpr_spill_count: 0
    .symbol:         _ZN9rocsparseL32bsr2csr_block_per_row_2_7_kernelILj256ELj5E21rocsparse_complex_numIfEiiEEv20rocsparse_direction_T3_S4_21rocsparse_index_base_PKT1_PKT2_PKS4_S4_S5_PS6_PS9_PS4_.kd
    .uniform_work_group_size: 1
    .uses_dynamic_stack: false
    .vgpr_count:     24
    .vgpr_spill_count: 0
    .wavefront_size: 32
  - .args:
      - .offset:         0
        .size:           4
        .value_kind:     by_value
      - .offset:         4
        .size:           4
        .value_kind:     by_value
      - .offset:         8
        .size:           4
        .value_kind:     by_value
      - .offset:         12
        .size:           4
        .value_kind:     by_value
      - .actual_access:  read_only
        .address_space:  global
        .offset:         16
        .size:           8
        .value_kind:     global_buffer
      - .actual_access:  read_only
        .address_space:  global
        .offset:         24
        .size:           8
        .value_kind:     global_buffer
      - .actual_access:  read_only
        .address_space:  global
        .offset:         32
        .size:           8
        .value_kind:     global_buffer
      - .offset:         40
        .size:           4
        .value_kind:     by_value
      - .offset:         44
        .size:           4
        .value_kind:     by_value
      - .actual_access:  write_only
        .address_space:  global
        .offset:         48
        .size:           8
        .value_kind:     global_buffer
      - .actual_access:  write_only
        .address_space:  global
        .offset:         56
        .size:           8
        .value_kind:     global_buffer
      - .actual_access:  write_only
        .address_space:  global
        .offset:         64
        .size:           8
        .value_kind:     global_buffer
    .group_segment_fixed_size: 0
    .kernarg_segment_align: 8
    .kernarg_segment_size: 72
    .language:       OpenCL C
    .language_version:
      - 2
      - 0
    .max_flat_workgroup_size: 256
    .name:           _ZN9rocsparseL32bsr2csr_block_per_row_2_7_kernelILj256ELj6E21rocsparse_complex_numIfEiiEEv20rocsparse_direction_T3_S4_21rocsparse_index_base_PKT1_PKT2_PKS4_S4_S5_PS6_PS9_PS4_
    .private_segment_fixed_size: 0
    .sgpr_count:     17
    .sgpr_spill_count: 0
    .symbol:         _ZN9rocsparseL32bsr2csr_block_per_row_2_7_kernelILj256ELj6E21rocsparse_complex_numIfEiiEEv20rocsparse_direction_T3_S4_21rocsparse_index_base_PKT1_PKT2_PKS4_S4_S5_PS6_PS9_PS4_.kd
    .uniform_work_group_size: 1
    .uses_dynamic_stack: false
    .vgpr_count:     28
    .vgpr_spill_count: 0
    .wavefront_size: 32
  - .args:
      - .offset:         0
        .size:           4
        .value_kind:     by_value
      - .offset:         4
        .size:           4
        .value_kind:     by_value
      - .offset:         8
        .size:           4
        .value_kind:     by_value
      - .offset:         12
        .size:           4
        .value_kind:     by_value
      - .actual_access:  read_only
        .address_space:  global
        .offset:         16
        .size:           8
        .value_kind:     global_buffer
      - .actual_access:  read_only
        .address_space:  global
        .offset:         24
        .size:           8
        .value_kind:     global_buffer
      - .actual_access:  read_only
        .address_space:  global
        .offset:         32
        .size:           8
        .value_kind:     global_buffer
      - .offset:         40
        .size:           4
        .value_kind:     by_value
      - .offset:         44
        .size:           4
        .value_kind:     by_value
      - .actual_access:  write_only
        .address_space:  global
        .offset:         48
        .size:           8
        .value_kind:     global_buffer
      - .actual_access:  write_only
        .address_space:  global
        .offset:         56
        .size:           8
        .value_kind:     global_buffer
      - .actual_access:  write_only
        .address_space:  global
        .offset:         64
        .size:           8
        .value_kind:     global_buffer
    .group_segment_fixed_size: 0
    .kernarg_segment_align: 8
    .kernarg_segment_size: 72
    .language:       OpenCL C
    .language_version:
      - 2
      - 0
    .max_flat_workgroup_size: 256
    .name:           _ZN9rocsparseL32bsr2csr_block_per_row_2_7_kernelILj256ELj7E21rocsparse_complex_numIfEiiEEv20rocsparse_direction_T3_S4_21rocsparse_index_base_PKT1_PKT2_PKS4_S4_S5_PS6_PS9_PS4_
    .private_segment_fixed_size: 0
    .sgpr_count:     17
    .sgpr_spill_count: 0
    .symbol:         _ZN9rocsparseL32bsr2csr_block_per_row_2_7_kernelILj256ELj7E21rocsparse_complex_numIfEiiEEv20rocsparse_direction_T3_S4_21rocsparse_index_base_PKT1_PKT2_PKS4_S4_S5_PS6_PS9_PS4_.kd
    .uniform_work_group_size: 1
    .uses_dynamic_stack: false
    .vgpr_count:     30
    .vgpr_spill_count: 0
    .wavefront_size: 32
  - .args:
      - .offset:         0
        .size:           4
        .value_kind:     by_value
      - .offset:         4
        .size:           4
        .value_kind:     by_value
      - .offset:         8
        .size:           4
        .value_kind:     by_value
      - .offset:         12
        .size:           4
        .value_kind:     by_value
      - .actual_access:  read_only
        .address_space:  global
        .offset:         16
        .size:           8
        .value_kind:     global_buffer
      - .actual_access:  read_only
        .address_space:  global
        .offset:         24
        .size:           8
        .value_kind:     global_buffer
      - .actual_access:  read_only
        .address_space:  global
        .offset:         32
        .size:           8
        .value_kind:     global_buffer
      - .offset:         40
        .size:           4
        .value_kind:     by_value
      - .offset:         44
        .size:           4
        .value_kind:     by_value
      - .actual_access:  write_only
        .address_space:  global
        .offset:         48
        .size:           8
        .value_kind:     global_buffer
      - .actual_access:  write_only
        .address_space:  global
        .offset:         56
        .size:           8
        .value_kind:     global_buffer
      - .actual_access:  write_only
        .address_space:  global
        .offset:         64
        .size:           8
        .value_kind:     global_buffer
    .group_segment_fixed_size: 0
    .kernarg_segment_align: 8
    .kernarg_segment_size: 72
    .language:       OpenCL C
    .language_version:
      - 2
      - 0
    .max_flat_workgroup_size: 1024
    .name:           _ZN9rocsparseL33bsr2csr_block_per_row_8_32_kernelILj1024ELj8E21rocsparse_complex_numIfEiiEEv20rocsparse_direction_T3_S4_21rocsparse_index_base_PKT1_PKT2_PKS4_S4_S5_PS6_PS9_PS4_
    .private_segment_fixed_size: 0
    .sgpr_count:     17
    .sgpr_spill_count: 0
    .symbol:         _ZN9rocsparseL33bsr2csr_block_per_row_8_32_kernelILj1024ELj8E21rocsparse_complex_numIfEiiEEv20rocsparse_direction_T3_S4_21rocsparse_index_base_PKT1_PKT2_PKS4_S4_S5_PS6_PS9_PS4_.kd
    .uniform_work_group_size: 1
    .uses_dynamic_stack: false
    .vgpr_count:     7
    .vgpr_spill_count: 0
    .wavefront_size: 32
  - .args:
      - .offset:         0
        .size:           4
        .value_kind:     by_value
      - .offset:         4
        .size:           4
        .value_kind:     by_value
      - .offset:         8
        .size:           4
        .value_kind:     by_value
      - .offset:         12
        .size:           4
        .value_kind:     by_value
      - .actual_access:  read_only
        .address_space:  global
        .offset:         16
        .size:           8
        .value_kind:     global_buffer
      - .actual_access:  read_only
        .address_space:  global
        .offset:         24
        .size:           8
        .value_kind:     global_buffer
      - .actual_access:  read_only
        .address_space:  global
        .offset:         32
        .size:           8
        .value_kind:     global_buffer
      - .offset:         40
        .size:           4
        .value_kind:     by_value
      - .offset:         44
        .size:           4
        .value_kind:     by_value
      - .actual_access:  write_only
        .address_space:  global
        .offset:         48
        .size:           8
        .value_kind:     global_buffer
      - .actual_access:  write_only
        .address_space:  global
        .offset:         56
        .size:           8
        .value_kind:     global_buffer
      - .actual_access:  write_only
        .address_space:  global
        .offset:         64
        .size:           8
        .value_kind:     global_buffer
    .group_segment_fixed_size: 0
    .kernarg_segment_align: 8
    .kernarg_segment_size: 72
    .language:       OpenCL C
    .language_version:
      - 2
      - 0
    .max_flat_workgroup_size: 1024
    .name:           _ZN9rocsparseL33bsr2csr_block_per_row_8_32_kernelILj1024ELj16E21rocsparse_complex_numIfEiiEEv20rocsparse_direction_T3_S4_21rocsparse_index_base_PKT1_PKT2_PKS4_S4_S5_PS6_PS9_PS4_
    .private_segment_fixed_size: 0
    .sgpr_count:     17
    .sgpr_spill_count: 0
    .symbol:         _ZN9rocsparseL33bsr2csr_block_per_row_8_32_kernelILj1024ELj16E21rocsparse_complex_numIfEiiEEv20rocsparse_direction_T3_S4_21rocsparse_index_base_PKT1_PKT2_PKS4_S4_S5_PS6_PS9_PS4_.kd
    .uniform_work_group_size: 1
    .uses_dynamic_stack: false
    .vgpr_count:     7
    .vgpr_spill_count: 0
    .wavefront_size: 32
  - .args:
      - .offset:         0
        .size:           4
        .value_kind:     by_value
      - .offset:         4
        .size:           4
        .value_kind:     by_value
      - .offset:         8
        .size:           4
        .value_kind:     by_value
      - .offset:         12
        .size:           4
        .value_kind:     by_value
      - .actual_access:  read_only
        .address_space:  global
        .offset:         16
        .size:           8
        .value_kind:     global_buffer
      - .actual_access:  read_only
        .address_space:  global
        .offset:         24
        .size:           8
        .value_kind:     global_buffer
      - .actual_access:  read_only
        .address_space:  global
        .offset:         32
        .size:           8
        .value_kind:     global_buffer
      - .offset:         40
        .size:           4
        .value_kind:     by_value
      - .offset:         44
        .size:           4
        .value_kind:     by_value
      - .actual_access:  write_only
        .address_space:  global
        .offset:         48
        .size:           8
        .value_kind:     global_buffer
      - .actual_access:  write_only
        .address_space:  global
        .offset:         56
        .size:           8
        .value_kind:     global_buffer
      - .actual_access:  write_only
        .address_space:  global
        .offset:         64
        .size:           8
        .value_kind:     global_buffer
    .group_segment_fixed_size: 0
    .kernarg_segment_align: 8
    .kernarg_segment_size: 72
    .language:       OpenCL C
    .language_version:
      - 2
      - 0
    .max_flat_workgroup_size: 1024
    .name:           _ZN9rocsparseL33bsr2csr_block_per_row_8_32_kernelILj1024ELj32E21rocsparse_complex_numIfEiiEEv20rocsparse_direction_T3_S4_21rocsparse_index_base_PKT1_PKT2_PKS4_S4_S5_PS6_PS9_PS4_
    .private_segment_fixed_size: 0
    .sgpr_count:     20
    .sgpr_spill_count: 0
    .symbol:         _ZN9rocsparseL33bsr2csr_block_per_row_8_32_kernelILj1024ELj32E21rocsparse_complex_numIfEiiEEv20rocsparse_direction_T3_S4_21rocsparse_index_base_PKT1_PKT2_PKS4_S4_S5_PS6_PS9_PS4_.kd
    .uniform_work_group_size: 1
    .uses_dynamic_stack: false
    .vgpr_count:     6
    .vgpr_spill_count: 0
    .wavefront_size: 32
  - .args:
      - .offset:         0
        .size:           4
        .value_kind:     by_value
      - .offset:         4
        .size:           4
        .value_kind:     by_value
      - .offset:         8
        .size:           4
        .value_kind:     by_value
      - .offset:         12
        .size:           4
        .value_kind:     by_value
      - .actual_access:  read_only
        .address_space:  global
        .offset:         16
        .size:           8
        .value_kind:     global_buffer
      - .actual_access:  read_only
        .address_space:  global
        .offset:         24
        .size:           8
        .value_kind:     global_buffer
      - .actual_access:  read_only
        .address_space:  global
        .offset:         32
        .size:           8
        .value_kind:     global_buffer
      - .offset:         40
        .size:           4
        .value_kind:     by_value
      - .offset:         44
        .size:           4
        .value_kind:     by_value
      - .actual_access:  write_only
        .address_space:  global
        .offset:         48
        .size:           8
        .value_kind:     global_buffer
      - .actual_access:  write_only
        .address_space:  global
        .offset:         56
        .size:           8
        .value_kind:     global_buffer
      - .actual_access:  write_only
        .address_space:  global
        .offset:         64
        .size:           8
        .value_kind:     global_buffer
    .group_segment_fixed_size: 0
    .kernarg_segment_align: 8
    .kernarg_segment_size: 72
    .language:       OpenCL C
    .language_version:
      - 2
      - 0
    .max_flat_workgroup_size: 1024
    .name:           _ZN9rocsparseL35bsr2csr_block_per_row_33_256_kernelILj1024ELj64ELj32E21rocsparse_complex_numIfEiiEEv20rocsparse_direction_T4_S4_21rocsparse_index_base_PKT2_PKT3_PKS4_S4_S5_PS6_PS9_PS4_
    .private_segment_fixed_size: 0
    .sgpr_count:     26
    .sgpr_spill_count: 0
    .symbol:         _ZN9rocsparseL35bsr2csr_block_per_row_33_256_kernelILj1024ELj64ELj32E21rocsparse_complex_numIfEiiEEv20rocsparse_direction_T4_S4_21rocsparse_index_base_PKT2_PKT3_PKS4_S4_S5_PS6_PS9_PS4_.kd
    .uniform_work_group_size: 1
    .uses_dynamic_stack: false
    .vgpr_count:     16
    .vgpr_spill_count: 0
    .wavefront_size: 32
  - .args:
      - .offset:         0
        .size:           4
        .value_kind:     by_value
      - .offset:         4
        .size:           4
        .value_kind:     by_value
      - .offset:         8
        .size:           4
        .value_kind:     by_value
      - .offset:         12
        .size:           4
        .value_kind:     by_value
      - .actual_access:  read_only
        .address_space:  global
        .offset:         16
        .size:           8
        .value_kind:     global_buffer
      - .actual_access:  read_only
        .address_space:  global
        .offset:         24
        .size:           8
        .value_kind:     global_buffer
      - .actual_access:  read_only
        .address_space:  global
        .offset:         32
        .size:           8
        .value_kind:     global_buffer
      - .offset:         40
        .size:           4
        .value_kind:     by_value
      - .offset:         44
        .size:           4
        .value_kind:     by_value
      - .actual_access:  write_only
        .address_space:  global
        .offset:         48
        .size:           8
        .value_kind:     global_buffer
      - .actual_access:  write_only
        .address_space:  global
        .offset:         56
        .size:           8
        .value_kind:     global_buffer
      - .actual_access:  write_only
        .address_space:  global
        .offset:         64
        .size:           8
        .value_kind:     global_buffer
    .group_segment_fixed_size: 0
    .kernarg_segment_align: 8
    .kernarg_segment_size: 72
    .language:       OpenCL C
    .language_version:
      - 2
      - 0
    .max_flat_workgroup_size: 1024
    .name:           _ZN9rocsparseL35bsr2csr_block_per_row_33_256_kernelILj1024ELj128ELj32E21rocsparse_complex_numIfEiiEEv20rocsparse_direction_T4_S4_21rocsparse_index_base_PKT2_PKT3_PKS4_S4_S5_PS6_PS9_PS4_
    .private_segment_fixed_size: 0
    .sgpr_count:     38
    .sgpr_spill_count: 0
    .symbol:         _ZN9rocsparseL35bsr2csr_block_per_row_33_256_kernelILj1024ELj128ELj32E21rocsparse_complex_numIfEiiEEv20rocsparse_direction_T4_S4_21rocsparse_index_base_PKT2_PKT3_PKS4_S4_S5_PS6_PS9_PS4_.kd
    .uniform_work_group_size: 1
    .uses_dynamic_stack: false
    .vgpr_count:     27
    .vgpr_spill_count: 0
    .wavefront_size: 32
  - .args:
      - .offset:         0
        .size:           4
        .value_kind:     by_value
      - .offset:         4
        .size:           4
        .value_kind:     by_value
      - .offset:         8
        .size:           4
        .value_kind:     by_value
      - .offset:         12
        .size:           4
        .value_kind:     by_value
      - .actual_access:  read_only
        .address_space:  global
        .offset:         16
        .size:           8
        .value_kind:     global_buffer
      - .actual_access:  read_only
        .address_space:  global
        .offset:         24
        .size:           8
        .value_kind:     global_buffer
      - .actual_access:  read_only
        .address_space:  global
        .offset:         32
        .size:           8
        .value_kind:     global_buffer
      - .offset:         40
        .size:           4
        .value_kind:     by_value
      - .offset:         44
        .size:           4
        .value_kind:     by_value
      - .actual_access:  write_only
        .address_space:  global
        .offset:         48
        .size:           8
        .value_kind:     global_buffer
      - .actual_access:  write_only
        .address_space:  global
        .offset:         56
        .size:           8
        .value_kind:     global_buffer
      - .actual_access:  write_only
        .address_space:  global
        .offset:         64
        .size:           8
        .value_kind:     global_buffer
    .group_segment_fixed_size: 0
    .kernarg_segment_align: 8
    .kernarg_segment_size: 72
    .language:       OpenCL C
    .language_version:
      - 2
      - 0
    .max_flat_workgroup_size: 1024
    .name:           _ZN9rocsparseL35bsr2csr_block_per_row_33_256_kernelILj1024ELj256ELj32E21rocsparse_complex_numIfEiiEEv20rocsparse_direction_T4_S4_21rocsparse_index_base_PKT2_PKT3_PKS4_S4_S5_PS6_PS9_PS4_
    .private_segment_fixed_size: 0
    .sgpr_count:     89
    .sgpr_spill_count: 0
    .symbol:         _ZN9rocsparseL35bsr2csr_block_per_row_33_256_kernelILj1024ELj256ELj32E21rocsparse_complex_numIfEiiEEv20rocsparse_direction_T4_S4_21rocsparse_index_base_PKT2_PKT3_PKS4_S4_S5_PS6_PS9_PS4_.kd
    .uniform_work_group_size: 1
    .uses_dynamic_stack: false
    .vgpr_count:     45
    .vgpr_spill_count: 0
    .wavefront_size: 32
  - .args:
      - .offset:         0
        .size:           4
        .value_kind:     by_value
      - .offset:         4
        .size:           4
        .value_kind:     by_value
      - .offset:         8
        .size:           4
        .value_kind:     by_value
      - .actual_access:  read_only
        .address_space:  global
        .offset:         16
        .size:           8
        .value_kind:     global_buffer
      - .actual_access:  read_only
        .address_space:  global
        .offset:         24
        .size:           8
        .value_kind:     global_buffer
      - .actual_access:  read_only
        .address_space:  global
        .offset:         32
        .size:           8
        .value_kind:     global_buffer
      - .offset:         40
        .size:           4
        .value_kind:     by_value
      - .actual_access:  write_only
        .address_space:  global
        .offset:         48
        .size:           8
        .value_kind:     global_buffer
      - .actual_access:  write_only
        .address_space:  global
        .offset:         56
        .size:           8
        .value_kind:     global_buffer
      - .actual_access:  write_only
        .address_space:  global
        .offset:         64
        .size:           8
        .value_kind:     global_buffer
      - .offset:         72
        .size:           4
        .value_kind:     hidden_block_count_x
      - .offset:         76
        .size:           4
        .value_kind:     hidden_block_count_y
      - .offset:         80
        .size:           4
        .value_kind:     hidden_block_count_z
      - .offset:         84
        .size:           2
        .value_kind:     hidden_group_size_x
      - .offset:         86
        .size:           2
        .value_kind:     hidden_group_size_y
      - .offset:         88
        .size:           2
        .value_kind:     hidden_group_size_z
      - .offset:         90
        .size:           2
        .value_kind:     hidden_remainder_x
      - .offset:         92
        .size:           2
        .value_kind:     hidden_remainder_y
      - .offset:         94
        .size:           2
        .value_kind:     hidden_remainder_z
      - .offset:         112
        .size:           8
        .value_kind:     hidden_global_offset_x
      - .offset:         120
        .size:           8
        .value_kind:     hidden_global_offset_y
      - .offset:         128
        .size:           8
        .value_kind:     hidden_global_offset_z
      - .offset:         136
        .size:           2
        .value_kind:     hidden_grid_dims
    .group_segment_fixed_size: 0
    .kernarg_segment_align: 8
    .kernarg_segment_size: 328
    .language:       OpenCL C
    .language_version:
      - 2
      - 0
    .max_flat_workgroup_size: 1024
    .name:           _ZN9rocsparseL35bsr2csr_block_dim_equals_one_kernelILj1024E21rocsparse_complex_numIfEliEEvT2_S3_21rocsparse_index_base_PKT0_PKT1_PKS3_S4_PS5_PS8_PS3_
    .private_segment_fixed_size: 0
    .sgpr_count:     26
    .sgpr_spill_count: 0
    .symbol:         _ZN9rocsparseL35bsr2csr_block_dim_equals_one_kernelILj1024E21rocsparse_complex_numIfEliEEvT2_S3_21rocsparse_index_base_PKT0_PKT1_PKS3_S4_PS5_PS8_PS3_.kd
    .uniform_work_group_size: 1
    .uses_dynamic_stack: false
    .vgpr_count:     13
    .vgpr_spill_count: 0
    .wavefront_size: 32
  - .args:
      - .offset:         0
        .size:           4
        .value_kind:     by_value
      - .offset:         4
        .size:           4
        .value_kind:     by_value
      - .offset:         8
        .size:           4
        .value_kind:     by_value
      - .offset:         12
        .size:           4
        .value_kind:     by_value
      - .actual_access:  read_only
        .address_space:  global
        .offset:         16
        .size:           8
        .value_kind:     global_buffer
      - .actual_access:  read_only
        .address_space:  global
        .offset:         24
        .size:           8
        .value_kind:     global_buffer
      - .actual_access:  read_only
        .address_space:  global
        .offset:         32
        .size:           8
        .value_kind:     global_buffer
      - .offset:         40
        .size:           4
        .value_kind:     by_value
      - .offset:         44
        .size:           4
        .value_kind:     by_value
      - .actual_access:  write_only
        .address_space:  global
        .offset:         48
        .size:           8
        .value_kind:     global_buffer
      - .actual_access:  write_only
        .address_space:  global
        .offset:         56
        .size:           8
        .value_kind:     global_buffer
      - .actual_access:  write_only
        .address_space:  global
        .offset:         64
        .size:           8
        .value_kind:     global_buffer
    .group_segment_fixed_size: 0
    .kernarg_segment_align: 8
    .kernarg_segment_size: 72
    .language:       OpenCL C
    .language_version:
      - 2
      - 0
    .max_flat_workgroup_size: 256
    .name:           _ZN9rocsparseL32bsr2csr_block_per_row_2_7_kernelILj256ELj2E21rocsparse_complex_numIfEliEEv20rocsparse_direction_T3_S4_21rocsparse_index_base_PKT1_PKT2_PKS4_S4_S5_PS6_PS9_PS4_
    .private_segment_fixed_size: 0
    .sgpr_count:     20
    .sgpr_spill_count: 0
    .symbol:         _ZN9rocsparseL32bsr2csr_block_per_row_2_7_kernelILj256ELj2E21rocsparse_complex_numIfEliEEv20rocsparse_direction_T3_S4_21rocsparse_index_base_PKT1_PKT2_PKS4_S4_S5_PS6_PS9_PS4_.kd
    .uniform_work_group_size: 1
    .uses_dynamic_stack: false
    .vgpr_count:     25
    .vgpr_spill_count: 0
    .wavefront_size: 32
  - .args:
      - .offset:         0
        .size:           4
        .value_kind:     by_value
      - .offset:         4
        .size:           4
        .value_kind:     by_value
      - .offset:         8
        .size:           4
        .value_kind:     by_value
      - .offset:         12
        .size:           4
        .value_kind:     by_value
      - .actual_access:  read_only
        .address_space:  global
        .offset:         16
        .size:           8
        .value_kind:     global_buffer
      - .actual_access:  read_only
        .address_space:  global
        .offset:         24
        .size:           8
        .value_kind:     global_buffer
      - .actual_access:  read_only
        .address_space:  global
        .offset:         32
        .size:           8
        .value_kind:     global_buffer
      - .offset:         40
        .size:           4
        .value_kind:     by_value
      - .offset:         44
        .size:           4
        .value_kind:     by_value
      - .actual_access:  write_only
        .address_space:  global
        .offset:         48
        .size:           8
        .value_kind:     global_buffer
      - .actual_access:  write_only
        .address_space:  global
        .offset:         56
        .size:           8
        .value_kind:     global_buffer
      - .actual_access:  write_only
        .address_space:  global
        .offset:         64
        .size:           8
        .value_kind:     global_buffer
    .group_segment_fixed_size: 0
    .kernarg_segment_align: 8
    .kernarg_segment_size: 72
    .language:       OpenCL C
    .language_version:
      - 2
      - 0
    .max_flat_workgroup_size: 256
    .name:           _ZN9rocsparseL32bsr2csr_block_per_row_2_7_kernelILj256ELj3E21rocsparse_complex_numIfEliEEv20rocsparse_direction_T3_S4_21rocsparse_index_base_PKT1_PKT2_PKS4_S4_S5_PS6_PS9_PS4_
    .private_segment_fixed_size: 0
    .sgpr_count:     22
    .sgpr_spill_count: 0
    .symbol:         _ZN9rocsparseL32bsr2csr_block_per_row_2_7_kernelILj256ELj3E21rocsparse_complex_numIfEliEEv20rocsparse_direction_T3_S4_21rocsparse_index_base_PKT1_PKT2_PKS4_S4_S5_PS6_PS9_PS4_.kd
    .uniform_work_group_size: 1
    .uses_dynamic_stack: false
    .vgpr_count:     27
    .vgpr_spill_count: 0
    .wavefront_size: 32
  - .args:
      - .offset:         0
        .size:           4
        .value_kind:     by_value
      - .offset:         4
        .size:           4
        .value_kind:     by_value
      - .offset:         8
        .size:           4
        .value_kind:     by_value
      - .offset:         12
        .size:           4
        .value_kind:     by_value
      - .actual_access:  read_only
        .address_space:  global
        .offset:         16
        .size:           8
        .value_kind:     global_buffer
      - .actual_access:  read_only
        .address_space:  global
        .offset:         24
        .size:           8
        .value_kind:     global_buffer
      - .actual_access:  read_only
        .address_space:  global
        .offset:         32
        .size:           8
        .value_kind:     global_buffer
      - .offset:         40
        .size:           4
        .value_kind:     by_value
      - .offset:         44
        .size:           4
        .value_kind:     by_value
      - .actual_access:  write_only
        .address_space:  global
        .offset:         48
        .size:           8
        .value_kind:     global_buffer
      - .actual_access:  write_only
        .address_space:  global
        .offset:         56
        .size:           8
        .value_kind:     global_buffer
      - .actual_access:  write_only
        .address_space:  global
        .offset:         64
        .size:           8
        .value_kind:     global_buffer
    .group_segment_fixed_size: 0
    .kernarg_segment_align: 8
    .kernarg_segment_size: 72
    .language:       OpenCL C
    .language_version:
      - 2
      - 0
    .max_flat_workgroup_size: 256
    .name:           _ZN9rocsparseL32bsr2csr_block_per_row_2_7_kernelILj256ELj4E21rocsparse_complex_numIfEliEEv20rocsparse_direction_T3_S4_21rocsparse_index_base_PKT1_PKT2_PKS4_S4_S5_PS6_PS9_PS4_
    .private_segment_fixed_size: 0
    .sgpr_count:     20
    .sgpr_spill_count: 0
    .symbol:         _ZN9rocsparseL32bsr2csr_block_per_row_2_7_kernelILj256ELj4E21rocsparse_complex_numIfEliEEv20rocsparse_direction_T3_S4_21rocsparse_index_base_PKT1_PKT2_PKS4_S4_S5_PS6_PS9_PS4_.kd
    .uniform_work_group_size: 1
    .uses_dynamic_stack: false
    .vgpr_count:     35
    .vgpr_spill_count: 0
    .wavefront_size: 32
  - .args:
      - .offset:         0
        .size:           4
        .value_kind:     by_value
      - .offset:         4
        .size:           4
        .value_kind:     by_value
      - .offset:         8
        .size:           4
        .value_kind:     by_value
      - .offset:         12
        .size:           4
        .value_kind:     by_value
      - .actual_access:  read_only
        .address_space:  global
        .offset:         16
        .size:           8
        .value_kind:     global_buffer
      - .actual_access:  read_only
        .address_space:  global
        .offset:         24
        .size:           8
        .value_kind:     global_buffer
      - .actual_access:  read_only
        .address_space:  global
        .offset:         32
        .size:           8
        .value_kind:     global_buffer
      - .offset:         40
        .size:           4
        .value_kind:     by_value
      - .offset:         44
        .size:           4
        .value_kind:     by_value
      - .actual_access:  write_only
        .address_space:  global
        .offset:         48
        .size:           8
        .value_kind:     global_buffer
      - .actual_access:  write_only
        .address_space:  global
        .offset:         56
        .size:           8
        .value_kind:     global_buffer
      - .actual_access:  write_only
        .address_space:  global
        .offset:         64
        .size:           8
        .value_kind:     global_buffer
    .group_segment_fixed_size: 0
    .kernarg_segment_align: 8
    .kernarg_segment_size: 72
    .language:       OpenCL C
    .language_version:
      - 2
      - 0
    .max_flat_workgroup_size: 256
    .name:           _ZN9rocsparseL32bsr2csr_block_per_row_2_7_kernelILj256ELj5E21rocsparse_complex_numIfEliEEv20rocsparse_direction_T3_S4_21rocsparse_index_base_PKT1_PKT2_PKS4_S4_S5_PS6_PS9_PS4_
    .private_segment_fixed_size: 0
    .sgpr_count:     22
    .sgpr_spill_count: 0
    .symbol:         _ZN9rocsparseL32bsr2csr_block_per_row_2_7_kernelILj256ELj5E21rocsparse_complex_numIfEliEEv20rocsparse_direction_T3_S4_21rocsparse_index_base_PKT1_PKT2_PKS4_S4_S5_PS6_PS9_PS4_.kd
    .uniform_work_group_size: 1
    .uses_dynamic_stack: false
    .vgpr_count:     35
    .vgpr_spill_count: 0
    .wavefront_size: 32
  - .args:
      - .offset:         0
        .size:           4
        .value_kind:     by_value
      - .offset:         4
        .size:           4
        .value_kind:     by_value
      - .offset:         8
        .size:           4
        .value_kind:     by_value
      - .offset:         12
        .size:           4
        .value_kind:     by_value
      - .actual_access:  read_only
        .address_space:  global
        .offset:         16
        .size:           8
        .value_kind:     global_buffer
      - .actual_access:  read_only
        .address_space:  global
        .offset:         24
        .size:           8
        .value_kind:     global_buffer
      - .actual_access:  read_only
        .address_space:  global
        .offset:         32
        .size:           8
        .value_kind:     global_buffer
      - .offset:         40
        .size:           4
        .value_kind:     by_value
      - .offset:         44
        .size:           4
        .value_kind:     by_value
      - .actual_access:  write_only
        .address_space:  global
        .offset:         48
        .size:           8
        .value_kind:     global_buffer
      - .actual_access:  write_only
        .address_space:  global
        .offset:         56
        .size:           8
        .value_kind:     global_buffer
      - .actual_access:  write_only
        .address_space:  global
        .offset:         64
        .size:           8
        .value_kind:     global_buffer
    .group_segment_fixed_size: 0
    .kernarg_segment_align: 8
    .kernarg_segment_size: 72
    .language:       OpenCL C
    .language_version:
      - 2
      - 0
    .max_flat_workgroup_size: 256
    .name:           _ZN9rocsparseL32bsr2csr_block_per_row_2_7_kernelILj256ELj6E21rocsparse_complex_numIfEliEEv20rocsparse_direction_T3_S4_21rocsparse_index_base_PKT1_PKT2_PKS4_S4_S5_PS6_PS9_PS4_
    .private_segment_fixed_size: 0
    .sgpr_count:     22
    .sgpr_spill_count: 0
    .symbol:         _ZN9rocsparseL32bsr2csr_block_per_row_2_7_kernelILj256ELj6E21rocsparse_complex_numIfEliEEv20rocsparse_direction_T3_S4_21rocsparse_index_base_PKT1_PKT2_PKS4_S4_S5_PS6_PS9_PS4_.kd
    .uniform_work_group_size: 1
    .uses_dynamic_stack: false
    .vgpr_count:     41
    .vgpr_spill_count: 0
    .wavefront_size: 32
  - .args:
      - .offset:         0
        .size:           4
        .value_kind:     by_value
      - .offset:         4
        .size:           4
        .value_kind:     by_value
      - .offset:         8
        .size:           4
        .value_kind:     by_value
      - .offset:         12
        .size:           4
        .value_kind:     by_value
      - .actual_access:  read_only
        .address_space:  global
        .offset:         16
        .size:           8
        .value_kind:     global_buffer
      - .actual_access:  read_only
        .address_space:  global
        .offset:         24
        .size:           8
        .value_kind:     global_buffer
      - .actual_access:  read_only
        .address_space:  global
        .offset:         32
        .size:           8
        .value_kind:     global_buffer
      - .offset:         40
        .size:           4
        .value_kind:     by_value
      - .offset:         44
        .size:           4
        .value_kind:     by_value
      - .actual_access:  write_only
        .address_space:  global
        .offset:         48
        .size:           8
        .value_kind:     global_buffer
      - .actual_access:  write_only
        .address_space:  global
        .offset:         56
        .size:           8
        .value_kind:     global_buffer
      - .actual_access:  write_only
        .address_space:  global
        .offset:         64
        .size:           8
        .value_kind:     global_buffer
    .group_segment_fixed_size: 0
    .kernarg_segment_align: 8
    .kernarg_segment_size: 72
    .language:       OpenCL C
    .language_version:
      - 2
      - 0
    .max_flat_workgroup_size: 256
    .name:           _ZN9rocsparseL32bsr2csr_block_per_row_2_7_kernelILj256ELj7E21rocsparse_complex_numIfEliEEv20rocsparse_direction_T3_S4_21rocsparse_index_base_PKT1_PKT2_PKS4_S4_S5_PS6_PS9_PS4_
    .private_segment_fixed_size: 0
    .sgpr_count:     22
    .sgpr_spill_count: 0
    .symbol:         _ZN9rocsparseL32bsr2csr_block_per_row_2_7_kernelILj256ELj7E21rocsparse_complex_numIfEliEEv20rocsparse_direction_T3_S4_21rocsparse_index_base_PKT1_PKT2_PKS4_S4_S5_PS6_PS9_PS4_.kd
    .uniform_work_group_size: 1
    .uses_dynamic_stack: false
    .vgpr_count:     45
    .vgpr_spill_count: 0
    .wavefront_size: 32
  - .args:
      - .offset:         0
        .size:           4
        .value_kind:     by_value
      - .offset:         4
        .size:           4
        .value_kind:     by_value
      - .offset:         8
        .size:           4
        .value_kind:     by_value
      - .offset:         12
        .size:           4
        .value_kind:     by_value
      - .actual_access:  read_only
        .address_space:  global
        .offset:         16
        .size:           8
        .value_kind:     global_buffer
      - .actual_access:  read_only
        .address_space:  global
        .offset:         24
        .size:           8
        .value_kind:     global_buffer
      - .actual_access:  read_only
        .address_space:  global
        .offset:         32
        .size:           8
        .value_kind:     global_buffer
      - .offset:         40
        .size:           4
        .value_kind:     by_value
      - .offset:         44
        .size:           4
        .value_kind:     by_value
      - .actual_access:  write_only
        .address_space:  global
        .offset:         48
        .size:           8
        .value_kind:     global_buffer
      - .actual_access:  write_only
        .address_space:  global
        .offset:         56
        .size:           8
        .value_kind:     global_buffer
      - .actual_access:  write_only
        .address_space:  global
        .offset:         64
        .size:           8
        .value_kind:     global_buffer
    .group_segment_fixed_size: 0
    .kernarg_segment_align: 8
    .kernarg_segment_size: 72
    .language:       OpenCL C
    .language_version:
      - 2
      - 0
    .max_flat_workgroup_size: 1024
    .name:           _ZN9rocsparseL33bsr2csr_block_per_row_8_32_kernelILj1024ELj8E21rocsparse_complex_numIfEliEEv20rocsparse_direction_T3_S4_21rocsparse_index_base_PKT1_PKT2_PKS4_S4_S5_PS6_PS9_PS4_
    .private_segment_fixed_size: 0
    .sgpr_count:     28
    .sgpr_spill_count: 0
    .symbol:         _ZN9rocsparseL33bsr2csr_block_per_row_8_32_kernelILj1024ELj8E21rocsparse_complex_numIfEliEEv20rocsparse_direction_T3_S4_21rocsparse_index_base_PKT1_PKT2_PKS4_S4_S5_PS6_PS9_PS4_.kd
    .uniform_work_group_size: 1
    .uses_dynamic_stack: false
    .vgpr_count:     18
    .vgpr_spill_count: 0
    .wavefront_size: 32
  - .args:
      - .offset:         0
        .size:           4
        .value_kind:     by_value
      - .offset:         4
        .size:           4
        .value_kind:     by_value
      - .offset:         8
        .size:           4
        .value_kind:     by_value
      - .offset:         12
        .size:           4
        .value_kind:     by_value
      - .actual_access:  read_only
        .address_space:  global
        .offset:         16
        .size:           8
        .value_kind:     global_buffer
      - .actual_access:  read_only
        .address_space:  global
        .offset:         24
        .size:           8
        .value_kind:     global_buffer
      - .actual_access:  read_only
        .address_space:  global
        .offset:         32
        .size:           8
        .value_kind:     global_buffer
      - .offset:         40
        .size:           4
        .value_kind:     by_value
      - .offset:         44
        .size:           4
        .value_kind:     by_value
      - .actual_access:  write_only
        .address_space:  global
        .offset:         48
        .size:           8
        .value_kind:     global_buffer
      - .actual_access:  write_only
        .address_space:  global
        .offset:         56
        .size:           8
        .value_kind:     global_buffer
      - .actual_access:  write_only
        .address_space:  global
        .offset:         64
        .size:           8
        .value_kind:     global_buffer
    .group_segment_fixed_size: 0
    .kernarg_segment_align: 8
    .kernarg_segment_size: 72
    .language:       OpenCL C
    .language_version:
      - 2
      - 0
    .max_flat_workgroup_size: 1024
    .name:           _ZN9rocsparseL33bsr2csr_block_per_row_8_32_kernelILj1024ELj16E21rocsparse_complex_numIfEliEEv20rocsparse_direction_T3_S4_21rocsparse_index_base_PKT1_PKT2_PKS4_S4_S5_PS6_PS9_PS4_
    .private_segment_fixed_size: 0
    .sgpr_count:     28
    .sgpr_spill_count: 0
    .symbol:         _ZN9rocsparseL33bsr2csr_block_per_row_8_32_kernelILj1024ELj16E21rocsparse_complex_numIfEliEEv20rocsparse_direction_T3_S4_21rocsparse_index_base_PKT1_PKT2_PKS4_S4_S5_PS6_PS9_PS4_.kd
    .uniform_work_group_size: 1
    .uses_dynamic_stack: false
    .vgpr_count:     18
    .vgpr_spill_count: 0
    .wavefront_size: 32
  - .args:
      - .offset:         0
        .size:           4
        .value_kind:     by_value
      - .offset:         4
        .size:           4
        .value_kind:     by_value
      - .offset:         8
        .size:           4
        .value_kind:     by_value
      - .offset:         12
        .size:           4
        .value_kind:     by_value
      - .actual_access:  read_only
        .address_space:  global
        .offset:         16
        .size:           8
        .value_kind:     global_buffer
      - .actual_access:  read_only
        .address_space:  global
        .offset:         24
        .size:           8
        .value_kind:     global_buffer
      - .actual_access:  read_only
        .address_space:  global
        .offset:         32
        .size:           8
        .value_kind:     global_buffer
      - .offset:         40
        .size:           4
        .value_kind:     by_value
      - .offset:         44
        .size:           4
        .value_kind:     by_value
      - .actual_access:  write_only
        .address_space:  global
        .offset:         48
        .size:           8
        .value_kind:     global_buffer
      - .actual_access:  write_only
        .address_space:  global
        .offset:         56
        .size:           8
        .value_kind:     global_buffer
      - .actual_access:  write_only
        .address_space:  global
        .offset:         64
        .size:           8
        .value_kind:     global_buffer
    .group_segment_fixed_size: 0
    .kernarg_segment_align: 8
    .kernarg_segment_size: 72
    .language:       OpenCL C
    .language_version:
      - 2
      - 0
    .max_flat_workgroup_size: 1024
    .name:           _ZN9rocsparseL33bsr2csr_block_per_row_8_32_kernelILj1024ELj32E21rocsparse_complex_numIfEliEEv20rocsparse_direction_T3_S4_21rocsparse_index_base_PKT1_PKT2_PKS4_S4_S5_PS6_PS9_PS4_
    .private_segment_fixed_size: 0
    .sgpr_count:     30
    .sgpr_spill_count: 0
    .symbol:         _ZN9rocsparseL33bsr2csr_block_per_row_8_32_kernelILj1024ELj32E21rocsparse_complex_numIfEliEEv20rocsparse_direction_T3_S4_21rocsparse_index_base_PKT1_PKT2_PKS4_S4_S5_PS6_PS9_PS4_.kd
    .uniform_work_group_size: 1
    .uses_dynamic_stack: false
    .vgpr_count:     14
    .vgpr_spill_count: 0
    .wavefront_size: 32
  - .args:
      - .offset:         0
        .size:           4
        .value_kind:     by_value
      - .offset:         4
        .size:           4
        .value_kind:     by_value
      - .offset:         8
        .size:           4
        .value_kind:     by_value
      - .offset:         12
        .size:           4
        .value_kind:     by_value
      - .actual_access:  read_only
        .address_space:  global
        .offset:         16
        .size:           8
        .value_kind:     global_buffer
      - .actual_access:  read_only
        .address_space:  global
        .offset:         24
        .size:           8
        .value_kind:     global_buffer
      - .actual_access:  read_only
        .address_space:  global
        .offset:         32
        .size:           8
        .value_kind:     global_buffer
      - .offset:         40
        .size:           4
        .value_kind:     by_value
      - .offset:         44
        .size:           4
        .value_kind:     by_value
      - .actual_access:  write_only
        .address_space:  global
        .offset:         48
        .size:           8
        .value_kind:     global_buffer
      - .actual_access:  write_only
        .address_space:  global
        .offset:         56
        .size:           8
        .value_kind:     global_buffer
      - .actual_access:  write_only
        .address_space:  global
        .offset:         64
        .size:           8
        .value_kind:     global_buffer
    .group_segment_fixed_size: 0
    .kernarg_segment_align: 8
    .kernarg_segment_size: 72
    .language:       OpenCL C
    .language_version:
      - 2
      - 0
    .max_flat_workgroup_size: 1024
    .name:           _ZN9rocsparseL35bsr2csr_block_per_row_33_256_kernelILj1024ELj64ELj32E21rocsparse_complex_numIfEliEEv20rocsparse_direction_T4_S4_21rocsparse_index_base_PKT2_PKT3_PKS4_S4_S5_PS6_PS9_PS4_
    .private_segment_fixed_size: 0
    .sgpr_count:     36
    .sgpr_spill_count: 0
    .symbol:         _ZN9rocsparseL35bsr2csr_block_per_row_33_256_kernelILj1024ELj64ELj32E21rocsparse_complex_numIfEliEEv20rocsparse_direction_T4_S4_21rocsparse_index_base_PKT2_PKT3_PKS4_S4_S5_PS6_PS9_PS4_.kd
    .uniform_work_group_size: 1
    .uses_dynamic_stack: false
    .vgpr_count:     32
    .vgpr_spill_count: 0
    .wavefront_size: 32
  - .args:
      - .offset:         0
        .size:           4
        .value_kind:     by_value
      - .offset:         4
        .size:           4
        .value_kind:     by_value
      - .offset:         8
        .size:           4
        .value_kind:     by_value
      - .offset:         12
        .size:           4
        .value_kind:     by_value
      - .actual_access:  read_only
        .address_space:  global
        .offset:         16
        .size:           8
        .value_kind:     global_buffer
      - .actual_access:  read_only
        .address_space:  global
        .offset:         24
        .size:           8
        .value_kind:     global_buffer
      - .actual_access:  read_only
        .address_space:  global
        .offset:         32
        .size:           8
        .value_kind:     global_buffer
      - .offset:         40
        .size:           4
        .value_kind:     by_value
      - .offset:         44
        .size:           4
        .value_kind:     by_value
      - .actual_access:  write_only
        .address_space:  global
        .offset:         48
        .size:           8
        .value_kind:     global_buffer
      - .actual_access:  write_only
        .address_space:  global
        .offset:         56
        .size:           8
        .value_kind:     global_buffer
      - .actual_access:  write_only
        .address_space:  global
        .offset:         64
        .size:           8
        .value_kind:     global_buffer
    .group_segment_fixed_size: 0
    .kernarg_segment_align: 8
    .kernarg_segment_size: 72
    .language:       OpenCL C
    .language_version:
      - 2
      - 0
    .max_flat_workgroup_size: 1024
    .name:           _ZN9rocsparseL35bsr2csr_block_per_row_33_256_kernelILj1024ELj128ELj32E21rocsparse_complex_numIfEliEEv20rocsparse_direction_T4_S4_21rocsparse_index_base_PKT2_PKT3_PKS4_S4_S5_PS6_PS9_PS4_
    .private_segment_fixed_size: 0
    .sgpr_count:     49
    .sgpr_spill_count: 0
    .symbol:         _ZN9rocsparseL35bsr2csr_block_per_row_33_256_kernelILj1024ELj128ELj32E21rocsparse_complex_numIfEliEEv20rocsparse_direction_T4_S4_21rocsparse_index_base_PKT2_PKT3_PKS4_S4_S5_PS6_PS9_PS4_.kd
    .uniform_work_group_size: 1
    .uses_dynamic_stack: false
    .vgpr_count:     58
    .vgpr_spill_count: 0
    .wavefront_size: 32
  - .args:
      - .offset:         0
        .size:           4
        .value_kind:     by_value
      - .offset:         4
        .size:           4
        .value_kind:     by_value
      - .offset:         8
        .size:           4
        .value_kind:     by_value
      - .offset:         12
        .size:           4
        .value_kind:     by_value
      - .actual_access:  read_only
        .address_space:  global
        .offset:         16
        .size:           8
        .value_kind:     global_buffer
      - .actual_access:  read_only
        .address_space:  global
        .offset:         24
        .size:           8
        .value_kind:     global_buffer
      - .actual_access:  read_only
        .address_space:  global
        .offset:         32
        .size:           8
        .value_kind:     global_buffer
      - .offset:         40
        .size:           4
        .value_kind:     by_value
      - .offset:         44
        .size:           4
        .value_kind:     by_value
      - .actual_access:  write_only
        .address_space:  global
        .offset:         48
        .size:           8
        .value_kind:     global_buffer
      - .actual_access:  write_only
        .address_space:  global
        .offset:         56
        .size:           8
        .value_kind:     global_buffer
      - .actual_access:  write_only
        .address_space:  global
        .offset:         64
        .size:           8
        .value_kind:     global_buffer
    .group_segment_fixed_size: 0
    .kernarg_segment_align: 8
    .kernarg_segment_size: 72
    .language:       OpenCL C
    .language_version:
      - 2
      - 0
    .max_flat_workgroup_size: 1024
    .name:           _ZN9rocsparseL35bsr2csr_block_per_row_33_256_kernelILj1024ELj256ELj32E21rocsparse_complex_numIfEliEEv20rocsparse_direction_T4_S4_21rocsparse_index_base_PKT2_PKT3_PKS4_S4_S5_PS6_PS9_PS4_
    .private_segment_fixed_size: 0
    .sgpr_count:     95
    .sgpr_spill_count: 0
    .symbol:         _ZN9rocsparseL35bsr2csr_block_per_row_33_256_kernelILj1024ELj256ELj32E21rocsparse_complex_numIfEliEEv20rocsparse_direction_T4_S4_21rocsparse_index_base_PKT2_PKT3_PKS4_S4_S5_PS6_PS9_PS4_.kd
    .uniform_work_group_size: 1
    .uses_dynamic_stack: false
    .vgpr_count:     96
    .vgpr_spill_count: 0
    .wavefront_size: 32
  - .args:
      - .offset:         0
        .size:           8
        .value_kind:     by_value
      - .offset:         8
        .size:           8
        .value_kind:     by_value
      - .offset:         16
        .size:           4
        .value_kind:     by_value
      - .actual_access:  read_only
        .address_space:  global
        .offset:         24
        .size:           8
        .value_kind:     global_buffer
      - .actual_access:  read_only
        .address_space:  global
        .offset:         32
        .size:           8
        .value_kind:     global_buffer
      - .actual_access:  read_only
        .address_space:  global
        .offset:         40
        .size:           8
        .value_kind:     global_buffer
      - .offset:         48
        .size:           4
        .value_kind:     by_value
      - .actual_access:  write_only
        .address_space:  global
        .offset:         56
        .size:           8
        .value_kind:     global_buffer
      - .actual_access:  write_only
        .address_space:  global
        .offset:         64
        .size:           8
        .value_kind:     global_buffer
      - .actual_access:  write_only
        .address_space:  global
        .offset:         72
        .size:           8
        .value_kind:     global_buffer
      - .offset:         80
        .size:           4
        .value_kind:     hidden_block_count_x
      - .offset:         84
        .size:           4
        .value_kind:     hidden_block_count_y
      - .offset:         88
        .size:           4
        .value_kind:     hidden_block_count_z
      - .offset:         92
        .size:           2
        .value_kind:     hidden_group_size_x
      - .offset:         94
        .size:           2
        .value_kind:     hidden_group_size_y
      - .offset:         96
        .size:           2
        .value_kind:     hidden_group_size_z
      - .offset:         98
        .size:           2
        .value_kind:     hidden_remainder_x
      - .offset:         100
        .size:           2
        .value_kind:     hidden_remainder_y
      - .offset:         102
        .size:           2
        .value_kind:     hidden_remainder_z
      - .offset:         120
        .size:           8
        .value_kind:     hidden_global_offset_x
      - .offset:         128
        .size:           8
        .value_kind:     hidden_global_offset_y
      - .offset:         136
        .size:           8
        .value_kind:     hidden_global_offset_z
      - .offset:         144
        .size:           2
        .value_kind:     hidden_grid_dims
    .group_segment_fixed_size: 0
    .kernarg_segment_align: 8
    .kernarg_segment_size: 336
    .language:       OpenCL C
    .language_version:
      - 2
      - 0
    .max_flat_workgroup_size: 1024
    .name:           _ZN9rocsparseL35bsr2csr_block_dim_equals_one_kernelILj1024E21rocsparse_complex_numIfEilEEvT2_S3_21rocsparse_index_base_PKT0_PKT1_PKS3_S4_PS5_PS8_PS3_
    .private_segment_fixed_size: 0
    .sgpr_count:     20
    .sgpr_spill_count: 0
    .symbol:         _ZN9rocsparseL35bsr2csr_block_dim_equals_one_kernelILj1024E21rocsparse_complex_numIfEilEEvT2_S3_21rocsparse_index_base_PKT0_PKT1_PKS3_S4_PS5_PS8_PS3_.kd
    .uniform_work_group_size: 1
    .uses_dynamic_stack: false
    .vgpr_count:     12
    .vgpr_spill_count: 0
    .wavefront_size: 32
  - .args:
      - .offset:         0
        .size:           4
        .value_kind:     by_value
      - .offset:         8
        .size:           8
        .value_kind:     by_value
      - .offset:         16
        .size:           8
        .value_kind:     by_value
      - .offset:         24
        .size:           4
        .value_kind:     by_value
      - .actual_access:  read_only
        .address_space:  global
        .offset:         32
        .size:           8
        .value_kind:     global_buffer
      - .actual_access:  read_only
        .address_space:  global
        .offset:         40
        .size:           8
        .value_kind:     global_buffer
      - .actual_access:  read_only
        .address_space:  global
        .offset:         48
        .size:           8
        .value_kind:     global_buffer
      - .offset:         56
        .size:           8
        .value_kind:     by_value
      - .offset:         64
        .size:           4
        .value_kind:     by_value
      - .actual_access:  write_only
        .address_space:  global
        .offset:         72
        .size:           8
        .value_kind:     global_buffer
      - .actual_access:  write_only
        .address_space:  global
        .offset:         80
        .size:           8
        .value_kind:     global_buffer
      - .actual_access:  write_only
        .address_space:  global
        .offset:         88
        .size:           8
        .value_kind:     global_buffer
    .group_segment_fixed_size: 0
    .kernarg_segment_align: 8
    .kernarg_segment_size: 96
    .language:       OpenCL C
    .language_version:
      - 2
      - 0
    .max_flat_workgroup_size: 256
    .name:           _ZN9rocsparseL32bsr2csr_block_per_row_2_7_kernelILj256ELj2E21rocsparse_complex_numIfEilEEv20rocsparse_direction_T3_S4_21rocsparse_index_base_PKT1_PKT2_PKS4_S4_S5_PS6_PS9_PS4_
    .private_segment_fixed_size: 0
    .sgpr_count:     18
    .sgpr_spill_count: 0
    .symbol:         _ZN9rocsparseL32bsr2csr_block_per_row_2_7_kernelILj256ELj2E21rocsparse_complex_numIfEilEEv20rocsparse_direction_T3_S4_21rocsparse_index_base_PKT1_PKT2_PKS4_S4_S5_PS6_PS9_PS4_.kd
    .uniform_work_group_size: 1
    .uses_dynamic_stack: false
    .vgpr_count:     22
    .vgpr_spill_count: 0
    .wavefront_size: 32
  - .args:
      - .offset:         0
        .size:           4
        .value_kind:     by_value
      - .offset:         8
        .size:           8
        .value_kind:     by_value
      - .offset:         16
        .size:           8
        .value_kind:     by_value
      - .offset:         24
        .size:           4
        .value_kind:     by_value
      - .actual_access:  read_only
        .address_space:  global
        .offset:         32
        .size:           8
        .value_kind:     global_buffer
      - .actual_access:  read_only
        .address_space:  global
        .offset:         40
        .size:           8
        .value_kind:     global_buffer
      - .actual_access:  read_only
        .address_space:  global
        .offset:         48
        .size:           8
        .value_kind:     global_buffer
      - .offset:         56
        .size:           8
        .value_kind:     by_value
      - .offset:         64
        .size:           4
        .value_kind:     by_value
      - .actual_access:  write_only
        .address_space:  global
        .offset:         72
        .size:           8
        .value_kind:     global_buffer
      - .actual_access:  write_only
        .address_space:  global
        .offset:         80
        .size:           8
        .value_kind:     global_buffer
      - .actual_access:  write_only
        .address_space:  global
        .offset:         88
        .size:           8
        .value_kind:     global_buffer
    .group_segment_fixed_size: 0
    .kernarg_segment_align: 8
    .kernarg_segment_size: 96
    .language:       OpenCL C
    .language_version:
      - 2
      - 0
    .max_flat_workgroup_size: 256
    .name:           _ZN9rocsparseL32bsr2csr_block_per_row_2_7_kernelILj256ELj3E21rocsparse_complex_numIfEilEEv20rocsparse_direction_T3_S4_21rocsparse_index_base_PKT1_PKT2_PKS4_S4_S5_PS6_PS9_PS4_
    .private_segment_fixed_size: 0
    .sgpr_count:     18
    .sgpr_spill_count: 0
    .symbol:         _ZN9rocsparseL32bsr2csr_block_per_row_2_7_kernelILj256ELj3E21rocsparse_complex_numIfEilEEv20rocsparse_direction_T3_S4_21rocsparse_index_base_PKT1_PKT2_PKS4_S4_S5_PS6_PS9_PS4_.kd
    .uniform_work_group_size: 1
    .uses_dynamic_stack: false
    .vgpr_count:     26
    .vgpr_spill_count: 0
    .wavefront_size: 32
  - .args:
      - .offset:         0
        .size:           4
        .value_kind:     by_value
      - .offset:         8
        .size:           8
        .value_kind:     by_value
      - .offset:         16
        .size:           8
        .value_kind:     by_value
      - .offset:         24
        .size:           4
        .value_kind:     by_value
      - .actual_access:  read_only
        .address_space:  global
        .offset:         32
        .size:           8
        .value_kind:     global_buffer
      - .actual_access:  read_only
        .address_space:  global
        .offset:         40
        .size:           8
        .value_kind:     global_buffer
      - .actual_access:  read_only
        .address_space:  global
        .offset:         48
        .size:           8
        .value_kind:     global_buffer
      - .offset:         56
        .size:           8
        .value_kind:     by_value
      - .offset:         64
        .size:           4
        .value_kind:     by_value
      - .actual_access:  write_only
        .address_space:  global
        .offset:         72
        .size:           8
        .value_kind:     global_buffer
      - .actual_access:  write_only
        .address_space:  global
        .offset:         80
        .size:           8
        .value_kind:     global_buffer
      - .actual_access:  write_only
        .address_space:  global
        .offset:         88
        .size:           8
        .value_kind:     global_buffer
    .group_segment_fixed_size: 0
    .kernarg_segment_align: 8
    .kernarg_segment_size: 96
    .language:       OpenCL C
    .language_version:
      - 2
      - 0
    .max_flat_workgroup_size: 256
    .name:           _ZN9rocsparseL32bsr2csr_block_per_row_2_7_kernelILj256ELj4E21rocsparse_complex_numIfEilEEv20rocsparse_direction_T3_S4_21rocsparse_index_base_PKT1_PKT2_PKS4_S4_S5_PS6_PS9_PS4_
    .private_segment_fixed_size: 0
    .sgpr_count:     18
    .sgpr_spill_count: 0
    .symbol:         _ZN9rocsparseL32bsr2csr_block_per_row_2_7_kernelILj256ELj4E21rocsparse_complex_numIfEilEEv20rocsparse_direction_T3_S4_21rocsparse_index_base_PKT1_PKT2_PKS4_S4_S5_PS6_PS9_PS4_.kd
    .uniform_work_group_size: 1
    .uses_dynamic_stack: false
    .vgpr_count:     32
    .vgpr_spill_count: 0
    .wavefront_size: 32
  - .args:
      - .offset:         0
        .size:           4
        .value_kind:     by_value
      - .offset:         8
        .size:           8
        .value_kind:     by_value
      - .offset:         16
        .size:           8
        .value_kind:     by_value
      - .offset:         24
        .size:           4
        .value_kind:     by_value
      - .actual_access:  read_only
        .address_space:  global
        .offset:         32
        .size:           8
        .value_kind:     global_buffer
      - .actual_access:  read_only
        .address_space:  global
        .offset:         40
        .size:           8
        .value_kind:     global_buffer
      - .actual_access:  read_only
        .address_space:  global
        .offset:         48
        .size:           8
        .value_kind:     global_buffer
      - .offset:         56
        .size:           8
        .value_kind:     by_value
      - .offset:         64
        .size:           4
        .value_kind:     by_value
      - .actual_access:  write_only
        .address_space:  global
        .offset:         72
        .size:           8
        .value_kind:     global_buffer
      - .actual_access:  write_only
        .address_space:  global
        .offset:         80
        .size:           8
        .value_kind:     global_buffer
      - .actual_access:  write_only
        .address_space:  global
        .offset:         88
        .size:           8
        .value_kind:     global_buffer
    .group_segment_fixed_size: 0
    .kernarg_segment_align: 8
    .kernarg_segment_size: 96
    .language:       OpenCL C
    .language_version:
      - 2
      - 0
    .max_flat_workgroup_size: 256
    .name:           _ZN9rocsparseL32bsr2csr_block_per_row_2_7_kernelILj256ELj5E21rocsparse_complex_numIfEilEEv20rocsparse_direction_T3_S4_21rocsparse_index_base_PKT1_PKT2_PKS4_S4_S5_PS6_PS9_PS4_
    .private_segment_fixed_size: 0
    .sgpr_count:     18
    .sgpr_spill_count: 0
    .symbol:         _ZN9rocsparseL32bsr2csr_block_per_row_2_7_kernelILj256ELj5E21rocsparse_complex_numIfEilEEv20rocsparse_direction_T3_S4_21rocsparse_index_base_PKT1_PKT2_PKS4_S4_S5_PS6_PS9_PS4_.kd
    .uniform_work_group_size: 1
    .uses_dynamic_stack: false
    .vgpr_count:     34
    .vgpr_spill_count: 0
    .wavefront_size: 32
  - .args:
      - .offset:         0
        .size:           4
        .value_kind:     by_value
      - .offset:         8
        .size:           8
        .value_kind:     by_value
      - .offset:         16
        .size:           8
        .value_kind:     by_value
      - .offset:         24
        .size:           4
        .value_kind:     by_value
      - .actual_access:  read_only
        .address_space:  global
        .offset:         32
        .size:           8
        .value_kind:     global_buffer
      - .actual_access:  read_only
        .address_space:  global
        .offset:         40
        .size:           8
        .value_kind:     global_buffer
      - .actual_access:  read_only
        .address_space:  global
        .offset:         48
        .size:           8
        .value_kind:     global_buffer
      - .offset:         56
        .size:           8
        .value_kind:     by_value
      - .offset:         64
        .size:           4
        .value_kind:     by_value
      - .actual_access:  write_only
        .address_space:  global
        .offset:         72
        .size:           8
        .value_kind:     global_buffer
      - .actual_access:  write_only
        .address_space:  global
        .offset:         80
        .size:           8
        .value_kind:     global_buffer
      - .actual_access:  write_only
        .address_space:  global
        .offset:         88
        .size:           8
        .value_kind:     global_buffer
    .group_segment_fixed_size: 0
    .kernarg_segment_align: 8
    .kernarg_segment_size: 96
    .language:       OpenCL C
    .language_version:
      - 2
      - 0
    .max_flat_workgroup_size: 256
    .name:           _ZN9rocsparseL32bsr2csr_block_per_row_2_7_kernelILj256ELj6E21rocsparse_complex_numIfEilEEv20rocsparse_direction_T3_S4_21rocsparse_index_base_PKT1_PKT2_PKS4_S4_S5_PS6_PS9_PS4_
    .private_segment_fixed_size: 0
    .sgpr_count:     18
    .sgpr_spill_count: 0
    .symbol:         _ZN9rocsparseL32bsr2csr_block_per_row_2_7_kernelILj256ELj6E21rocsparse_complex_numIfEilEEv20rocsparse_direction_T3_S4_21rocsparse_index_base_PKT1_PKT2_PKS4_S4_S5_PS6_PS9_PS4_.kd
    .uniform_work_group_size: 1
    .uses_dynamic_stack: false
    .vgpr_count:     38
    .vgpr_spill_count: 0
    .wavefront_size: 32
  - .args:
      - .offset:         0
        .size:           4
        .value_kind:     by_value
      - .offset:         8
        .size:           8
        .value_kind:     by_value
      - .offset:         16
        .size:           8
        .value_kind:     by_value
      - .offset:         24
        .size:           4
        .value_kind:     by_value
      - .actual_access:  read_only
        .address_space:  global
        .offset:         32
        .size:           8
        .value_kind:     global_buffer
      - .actual_access:  read_only
        .address_space:  global
        .offset:         40
        .size:           8
        .value_kind:     global_buffer
      - .actual_access:  read_only
        .address_space:  global
        .offset:         48
        .size:           8
        .value_kind:     global_buffer
      - .offset:         56
        .size:           8
        .value_kind:     by_value
      - .offset:         64
        .size:           4
        .value_kind:     by_value
      - .actual_access:  write_only
        .address_space:  global
        .offset:         72
        .size:           8
        .value_kind:     global_buffer
      - .actual_access:  write_only
        .address_space:  global
        .offset:         80
        .size:           8
        .value_kind:     global_buffer
      - .actual_access:  write_only
        .address_space:  global
        .offset:         88
        .size:           8
        .value_kind:     global_buffer
    .group_segment_fixed_size: 0
    .kernarg_segment_align: 8
    .kernarg_segment_size: 96
    .language:       OpenCL C
    .language_version:
      - 2
      - 0
    .max_flat_workgroup_size: 256
    .name:           _ZN9rocsparseL32bsr2csr_block_per_row_2_7_kernelILj256ELj7E21rocsparse_complex_numIfEilEEv20rocsparse_direction_T3_S4_21rocsparse_index_base_PKT1_PKT2_PKS4_S4_S5_PS6_PS9_PS4_
    .private_segment_fixed_size: 0
    .sgpr_count:     18
    .sgpr_spill_count: 0
    .symbol:         _ZN9rocsparseL32bsr2csr_block_per_row_2_7_kernelILj256ELj7E21rocsparse_complex_numIfEilEEv20rocsparse_direction_T3_S4_21rocsparse_index_base_PKT1_PKT2_PKS4_S4_S5_PS6_PS9_PS4_.kd
    .uniform_work_group_size: 1
    .uses_dynamic_stack: false
    .vgpr_count:     42
    .vgpr_spill_count: 0
    .wavefront_size: 32
  - .args:
      - .offset:         0
        .size:           4
        .value_kind:     by_value
      - .offset:         8
        .size:           8
        .value_kind:     by_value
      - .offset:         16
        .size:           8
        .value_kind:     by_value
      - .offset:         24
        .size:           4
        .value_kind:     by_value
      - .actual_access:  read_only
        .address_space:  global
        .offset:         32
        .size:           8
        .value_kind:     global_buffer
      - .actual_access:  read_only
        .address_space:  global
        .offset:         40
        .size:           8
        .value_kind:     global_buffer
      - .actual_access:  read_only
        .address_space:  global
        .offset:         48
        .size:           8
        .value_kind:     global_buffer
      - .offset:         56
        .size:           8
        .value_kind:     by_value
      - .offset:         64
        .size:           4
        .value_kind:     by_value
      - .actual_access:  write_only
        .address_space:  global
        .offset:         72
        .size:           8
        .value_kind:     global_buffer
      - .actual_access:  write_only
        .address_space:  global
        .offset:         80
        .size:           8
        .value_kind:     global_buffer
      - .actual_access:  write_only
        .address_space:  global
        .offset:         88
        .size:           8
        .value_kind:     global_buffer
    .group_segment_fixed_size: 0
    .kernarg_segment_align: 8
    .kernarg_segment_size: 96
    .language:       OpenCL C
    .language_version:
      - 2
      - 0
    .max_flat_workgroup_size: 1024
    .name:           _ZN9rocsparseL33bsr2csr_block_per_row_8_32_kernelILj1024ELj8E21rocsparse_complex_numIfEilEEv20rocsparse_direction_T3_S4_21rocsparse_index_base_PKT1_PKT2_PKS4_S4_S5_PS6_PS9_PS4_
    .private_segment_fixed_size: 0
    .sgpr_count:     22
    .sgpr_spill_count: 0
    .symbol:         _ZN9rocsparseL33bsr2csr_block_per_row_8_32_kernelILj1024ELj8E21rocsparse_complex_numIfEilEEv20rocsparse_direction_T3_S4_21rocsparse_index_base_PKT1_PKT2_PKS4_S4_S5_PS6_PS9_PS4_.kd
    .uniform_work_group_size: 1
    .uses_dynamic_stack: false
    .vgpr_count:     16
    .vgpr_spill_count: 0
    .wavefront_size: 32
  - .args:
      - .offset:         0
        .size:           4
        .value_kind:     by_value
      - .offset:         8
        .size:           8
        .value_kind:     by_value
      - .offset:         16
        .size:           8
        .value_kind:     by_value
      - .offset:         24
        .size:           4
        .value_kind:     by_value
      - .actual_access:  read_only
        .address_space:  global
        .offset:         32
        .size:           8
        .value_kind:     global_buffer
      - .actual_access:  read_only
        .address_space:  global
        .offset:         40
        .size:           8
        .value_kind:     global_buffer
      - .actual_access:  read_only
        .address_space:  global
        .offset:         48
        .size:           8
        .value_kind:     global_buffer
      - .offset:         56
        .size:           8
        .value_kind:     by_value
      - .offset:         64
        .size:           4
        .value_kind:     by_value
      - .actual_access:  write_only
        .address_space:  global
        .offset:         72
        .size:           8
        .value_kind:     global_buffer
      - .actual_access:  write_only
        .address_space:  global
        .offset:         80
        .size:           8
        .value_kind:     global_buffer
      - .actual_access:  write_only
        .address_space:  global
        .offset:         88
        .size:           8
        .value_kind:     global_buffer
    .group_segment_fixed_size: 0
    .kernarg_segment_align: 8
    .kernarg_segment_size: 96
    .language:       OpenCL C
    .language_version:
      - 2
      - 0
    .max_flat_workgroup_size: 1024
    .name:           _ZN9rocsparseL33bsr2csr_block_per_row_8_32_kernelILj1024ELj16E21rocsparse_complex_numIfEilEEv20rocsparse_direction_T3_S4_21rocsparse_index_base_PKT1_PKT2_PKS4_S4_S5_PS6_PS9_PS4_
    .private_segment_fixed_size: 0
    .sgpr_count:     22
    .sgpr_spill_count: 0
    .symbol:         _ZN9rocsparseL33bsr2csr_block_per_row_8_32_kernelILj1024ELj16E21rocsparse_complex_numIfEilEEv20rocsparse_direction_T3_S4_21rocsparse_index_base_PKT1_PKT2_PKS4_S4_S5_PS6_PS9_PS4_.kd
    .uniform_work_group_size: 1
    .uses_dynamic_stack: false
    .vgpr_count:     16
    .vgpr_spill_count: 0
    .wavefront_size: 32
  - .args:
      - .offset:         0
        .size:           4
        .value_kind:     by_value
      - .offset:         8
        .size:           8
        .value_kind:     by_value
      - .offset:         16
        .size:           8
        .value_kind:     by_value
      - .offset:         24
        .size:           4
        .value_kind:     by_value
      - .actual_access:  read_only
        .address_space:  global
        .offset:         32
        .size:           8
        .value_kind:     global_buffer
      - .actual_access:  read_only
        .address_space:  global
        .offset:         40
        .size:           8
        .value_kind:     global_buffer
      - .actual_access:  read_only
        .address_space:  global
        .offset:         48
        .size:           8
        .value_kind:     global_buffer
      - .offset:         56
        .size:           8
        .value_kind:     by_value
      - .offset:         64
        .size:           4
        .value_kind:     by_value
      - .actual_access:  write_only
        .address_space:  global
        .offset:         72
        .size:           8
        .value_kind:     global_buffer
      - .actual_access:  write_only
        .address_space:  global
        .offset:         80
        .size:           8
        .value_kind:     global_buffer
      - .actual_access:  write_only
        .address_space:  global
        .offset:         88
        .size:           8
        .value_kind:     global_buffer
    .group_segment_fixed_size: 0
    .kernarg_segment_align: 8
    .kernarg_segment_size: 96
    .language:       OpenCL C
    .language_version:
      - 2
      - 0
    .max_flat_workgroup_size: 1024
    .name:           _ZN9rocsparseL33bsr2csr_block_per_row_8_32_kernelILj1024ELj32E21rocsparse_complex_numIfEilEEv20rocsparse_direction_T3_S4_21rocsparse_index_base_PKT1_PKT2_PKS4_S4_S5_PS6_PS9_PS4_
    .private_segment_fixed_size: 0
    .sgpr_count:     24
    .sgpr_spill_count: 0
    .symbol:         _ZN9rocsparseL33bsr2csr_block_per_row_8_32_kernelILj1024ELj32E21rocsparse_complex_numIfEilEEv20rocsparse_direction_T3_S4_21rocsparse_index_base_PKT1_PKT2_PKS4_S4_S5_PS6_PS9_PS4_.kd
    .uniform_work_group_size: 1
    .uses_dynamic_stack: false
    .vgpr_count:     14
    .vgpr_spill_count: 0
    .wavefront_size: 32
  - .args:
      - .offset:         0
        .size:           4
        .value_kind:     by_value
      - .offset:         8
        .size:           8
        .value_kind:     by_value
      - .offset:         16
        .size:           8
        .value_kind:     by_value
      - .offset:         24
        .size:           4
        .value_kind:     by_value
      - .actual_access:  read_only
        .address_space:  global
        .offset:         32
        .size:           8
        .value_kind:     global_buffer
      - .actual_access:  read_only
        .address_space:  global
        .offset:         40
        .size:           8
        .value_kind:     global_buffer
      - .actual_access:  read_only
        .address_space:  global
        .offset:         48
        .size:           8
        .value_kind:     global_buffer
      - .offset:         56
        .size:           8
        .value_kind:     by_value
      - .offset:         64
        .size:           4
        .value_kind:     by_value
      - .actual_access:  write_only
        .address_space:  global
        .offset:         72
        .size:           8
        .value_kind:     global_buffer
      - .actual_access:  write_only
        .address_space:  global
        .offset:         80
        .size:           8
        .value_kind:     global_buffer
      - .actual_access:  write_only
        .address_space:  global
        .offset:         88
        .size:           8
        .value_kind:     global_buffer
    .group_segment_fixed_size: 0
    .kernarg_segment_align: 8
    .kernarg_segment_size: 96
    .language:       OpenCL C
    .language_version:
      - 2
      - 0
    .max_flat_workgroup_size: 1024
    .name:           _ZN9rocsparseL35bsr2csr_block_per_row_33_256_kernelILj1024ELj64ELj32E21rocsparse_complex_numIfEilEEv20rocsparse_direction_T4_S4_21rocsparse_index_base_PKT2_PKT3_PKS4_S4_S5_PS6_PS9_PS4_
    .private_segment_fixed_size: 0
    .sgpr_count:     30
    .sgpr_spill_count: 0
    .symbol:         _ZN9rocsparseL35bsr2csr_block_per_row_33_256_kernelILj1024ELj64ELj32E21rocsparse_complex_numIfEilEEv20rocsparse_direction_T4_S4_21rocsparse_index_base_PKT2_PKT3_PKS4_S4_S5_PS6_PS9_PS4_.kd
    .uniform_work_group_size: 1
    .uses_dynamic_stack: false
    .vgpr_count:     34
    .vgpr_spill_count: 0
    .wavefront_size: 32
  - .args:
      - .offset:         0
        .size:           4
        .value_kind:     by_value
      - .offset:         8
        .size:           8
        .value_kind:     by_value
      - .offset:         16
        .size:           8
        .value_kind:     by_value
      - .offset:         24
        .size:           4
        .value_kind:     by_value
      - .actual_access:  read_only
        .address_space:  global
        .offset:         32
        .size:           8
        .value_kind:     global_buffer
      - .actual_access:  read_only
        .address_space:  global
        .offset:         40
        .size:           8
        .value_kind:     global_buffer
      - .actual_access:  read_only
        .address_space:  global
        .offset:         48
        .size:           8
        .value_kind:     global_buffer
      - .offset:         56
        .size:           8
        .value_kind:     by_value
      - .offset:         64
        .size:           4
        .value_kind:     by_value
      - .actual_access:  write_only
        .address_space:  global
        .offset:         72
        .size:           8
        .value_kind:     global_buffer
      - .actual_access:  write_only
        .address_space:  global
        .offset:         80
        .size:           8
        .value_kind:     global_buffer
      - .actual_access:  write_only
        .address_space:  global
        .offset:         88
        .size:           8
        .value_kind:     global_buffer
    .group_segment_fixed_size: 0
    .kernarg_segment_align: 8
    .kernarg_segment_size: 96
    .language:       OpenCL C
    .language_version:
      - 2
      - 0
    .max_flat_workgroup_size: 1024
    .name:           _ZN9rocsparseL35bsr2csr_block_per_row_33_256_kernelILj1024ELj128ELj32E21rocsparse_complex_numIfEilEEv20rocsparse_direction_T4_S4_21rocsparse_index_base_PKT2_PKT3_PKS4_S4_S5_PS6_PS9_PS4_
    .private_segment_fixed_size: 0
    .sgpr_count:     47
    .sgpr_spill_count: 0
    .symbol:         _ZN9rocsparseL35bsr2csr_block_per_row_33_256_kernelILj1024ELj128ELj32E21rocsparse_complex_numIfEilEEv20rocsparse_direction_T4_S4_21rocsparse_index_base_PKT2_PKT3_PKS4_S4_S5_PS6_PS9_PS4_.kd
    .uniform_work_group_size: 1
    .uses_dynamic_stack: false
    .vgpr_count:     60
    .vgpr_spill_count: 0
    .wavefront_size: 32
  - .args:
      - .offset:         0
        .size:           4
        .value_kind:     by_value
      - .offset:         8
        .size:           8
        .value_kind:     by_value
      - .offset:         16
        .size:           8
        .value_kind:     by_value
      - .offset:         24
        .size:           4
        .value_kind:     by_value
      - .actual_access:  read_only
        .address_space:  global
        .offset:         32
        .size:           8
        .value_kind:     global_buffer
      - .actual_access:  read_only
        .address_space:  global
        .offset:         40
        .size:           8
        .value_kind:     global_buffer
      - .actual_access:  read_only
        .address_space:  global
        .offset:         48
        .size:           8
        .value_kind:     global_buffer
      - .offset:         56
        .size:           8
        .value_kind:     by_value
      - .offset:         64
        .size:           4
        .value_kind:     by_value
      - .actual_access:  write_only
        .address_space:  global
        .offset:         72
        .size:           8
        .value_kind:     global_buffer
      - .actual_access:  write_only
        .address_space:  global
        .offset:         80
        .size:           8
        .value_kind:     global_buffer
      - .actual_access:  write_only
        .address_space:  global
        .offset:         88
        .size:           8
        .value_kind:     global_buffer
    .group_segment_fixed_size: 0
    .kernarg_segment_align: 8
    .kernarg_segment_size: 96
    .language:       OpenCL C
    .language_version:
      - 2
      - 0
    .max_flat_workgroup_size: 1024
    .name:           _ZN9rocsparseL35bsr2csr_block_per_row_33_256_kernelILj1024ELj256ELj32E21rocsparse_complex_numIfEilEEv20rocsparse_direction_T4_S4_21rocsparse_index_base_PKT2_PKT3_PKS4_S4_S5_PS6_PS9_PS4_
    .private_segment_fixed_size: 0
    .sgpr_count:     97
    .sgpr_spill_count: 0
    .symbol:         _ZN9rocsparseL35bsr2csr_block_per_row_33_256_kernelILj1024ELj256ELj32E21rocsparse_complex_numIfEilEEv20rocsparse_direction_T4_S4_21rocsparse_index_base_PKT2_PKT3_PKS4_S4_S5_PS6_PS9_PS4_.kd
    .uniform_work_group_size: 1
    .uses_dynamic_stack: false
    .vgpr_count:     108
    .vgpr_spill_count: 0
    .wavefront_size: 32
  - .args:
      - .offset:         0
        .size:           8
        .value_kind:     by_value
      - .offset:         8
        .size:           8
        .value_kind:     by_value
      - .offset:         16
        .size:           4
        .value_kind:     by_value
      - .actual_access:  read_only
        .address_space:  global
        .offset:         24
        .size:           8
        .value_kind:     global_buffer
      - .actual_access:  read_only
        .address_space:  global
        .offset:         32
        .size:           8
        .value_kind:     global_buffer
      - .actual_access:  read_only
        .address_space:  global
        .offset:         40
        .size:           8
        .value_kind:     global_buffer
      - .offset:         48
        .size:           4
        .value_kind:     by_value
      - .actual_access:  write_only
        .address_space:  global
        .offset:         56
        .size:           8
        .value_kind:     global_buffer
      - .actual_access:  write_only
        .address_space:  global
        .offset:         64
        .size:           8
        .value_kind:     global_buffer
      - .actual_access:  write_only
        .address_space:  global
        .offset:         72
        .size:           8
        .value_kind:     global_buffer
      - .offset:         80
        .size:           4
        .value_kind:     hidden_block_count_x
      - .offset:         84
        .size:           4
        .value_kind:     hidden_block_count_y
      - .offset:         88
        .size:           4
        .value_kind:     hidden_block_count_z
      - .offset:         92
        .size:           2
        .value_kind:     hidden_group_size_x
      - .offset:         94
        .size:           2
        .value_kind:     hidden_group_size_y
      - .offset:         96
        .size:           2
        .value_kind:     hidden_group_size_z
      - .offset:         98
        .size:           2
        .value_kind:     hidden_remainder_x
      - .offset:         100
        .size:           2
        .value_kind:     hidden_remainder_y
      - .offset:         102
        .size:           2
        .value_kind:     hidden_remainder_z
      - .offset:         120
        .size:           8
        .value_kind:     hidden_global_offset_x
      - .offset:         128
        .size:           8
        .value_kind:     hidden_global_offset_y
      - .offset:         136
        .size:           8
        .value_kind:     hidden_global_offset_z
      - .offset:         144
        .size:           2
        .value_kind:     hidden_grid_dims
    .group_segment_fixed_size: 0
    .kernarg_segment_align: 8
    .kernarg_segment_size: 336
    .language:       OpenCL C
    .language_version:
      - 2
      - 0
    .max_flat_workgroup_size: 1024
    .name:           _ZN9rocsparseL35bsr2csr_block_dim_equals_one_kernelILj1024E21rocsparse_complex_numIfEllEEvT2_S3_21rocsparse_index_base_PKT0_PKT1_PKS3_S4_PS5_PS8_PS3_
    .private_segment_fixed_size: 0
    .sgpr_count:     24
    .sgpr_spill_count: 0
    .symbol:         _ZN9rocsparseL35bsr2csr_block_dim_equals_one_kernelILj1024E21rocsparse_complex_numIfEllEEvT2_S3_21rocsparse_index_base_PKT0_PKT1_PKS3_S4_PS5_PS8_PS3_.kd
    .uniform_work_group_size: 1
    .uses_dynamic_stack: false
    .vgpr_count:     12
    .vgpr_spill_count: 0
    .wavefront_size: 32
  - .args:
      - .offset:         0
        .size:           4
        .value_kind:     by_value
      - .offset:         8
        .size:           8
        .value_kind:     by_value
      - .offset:         16
        .size:           8
        .value_kind:     by_value
      - .offset:         24
        .size:           4
        .value_kind:     by_value
      - .actual_access:  read_only
        .address_space:  global
        .offset:         32
        .size:           8
        .value_kind:     global_buffer
      - .actual_access:  read_only
        .address_space:  global
        .offset:         40
        .size:           8
        .value_kind:     global_buffer
      - .actual_access:  read_only
        .address_space:  global
        .offset:         48
        .size:           8
        .value_kind:     global_buffer
      - .offset:         56
        .size:           8
        .value_kind:     by_value
      - .offset:         64
        .size:           4
        .value_kind:     by_value
      - .actual_access:  write_only
        .address_space:  global
        .offset:         72
        .size:           8
        .value_kind:     global_buffer
      - .actual_access:  write_only
        .address_space:  global
        .offset:         80
        .size:           8
        .value_kind:     global_buffer
      - .actual_access:  write_only
        .address_space:  global
        .offset:         88
        .size:           8
        .value_kind:     global_buffer
    .group_segment_fixed_size: 0
    .kernarg_segment_align: 8
    .kernarg_segment_size: 96
    .language:       OpenCL C
    .language_version:
      - 2
      - 0
    .max_flat_workgroup_size: 256
    .name:           _ZN9rocsparseL32bsr2csr_block_per_row_2_7_kernelILj256ELj2E21rocsparse_complex_numIfEllEEv20rocsparse_direction_T3_S4_21rocsparse_index_base_PKT1_PKT2_PKS4_S4_S5_PS6_PS9_PS4_
    .private_segment_fixed_size: 0
    .sgpr_count:     20
    .sgpr_spill_count: 0
    .symbol:         _ZN9rocsparseL32bsr2csr_block_per_row_2_7_kernelILj256ELj2E21rocsparse_complex_numIfEllEEv20rocsparse_direction_T3_S4_21rocsparse_index_base_PKT1_PKT2_PKS4_S4_S5_PS6_PS9_PS4_.kd
    .uniform_work_group_size: 1
    .uses_dynamic_stack: false
    .vgpr_count:     26
    .vgpr_spill_count: 0
    .wavefront_size: 32
  - .args:
      - .offset:         0
        .size:           4
        .value_kind:     by_value
      - .offset:         8
        .size:           8
        .value_kind:     by_value
      - .offset:         16
        .size:           8
        .value_kind:     by_value
      - .offset:         24
        .size:           4
        .value_kind:     by_value
      - .actual_access:  read_only
        .address_space:  global
        .offset:         32
        .size:           8
        .value_kind:     global_buffer
      - .actual_access:  read_only
        .address_space:  global
        .offset:         40
        .size:           8
        .value_kind:     global_buffer
      - .actual_access:  read_only
        .address_space:  global
        .offset:         48
        .size:           8
        .value_kind:     global_buffer
      - .offset:         56
        .size:           8
        .value_kind:     by_value
      - .offset:         64
        .size:           4
        .value_kind:     by_value
      - .actual_access:  write_only
        .address_space:  global
        .offset:         72
        .size:           8
        .value_kind:     global_buffer
      - .actual_access:  write_only
        .address_space:  global
        .offset:         80
        .size:           8
        .value_kind:     global_buffer
      - .actual_access:  write_only
        .address_space:  global
        .offset:         88
        .size:           8
        .value_kind:     global_buffer
    .group_segment_fixed_size: 0
    .kernarg_segment_align: 8
    .kernarg_segment_size: 96
    .language:       OpenCL C
    .language_version:
      - 2
      - 0
    .max_flat_workgroup_size: 256
    .name:           _ZN9rocsparseL32bsr2csr_block_per_row_2_7_kernelILj256ELj3E21rocsparse_complex_numIfEllEEv20rocsparse_direction_T3_S4_21rocsparse_index_base_PKT1_PKT2_PKS4_S4_S5_PS6_PS9_PS4_
    .private_segment_fixed_size: 0
    .sgpr_count:     20
    .sgpr_spill_count: 0
    .symbol:         _ZN9rocsparseL32bsr2csr_block_per_row_2_7_kernelILj256ELj3E21rocsparse_complex_numIfEllEEv20rocsparse_direction_T3_S4_21rocsparse_index_base_PKT1_PKT2_PKS4_S4_S5_PS6_PS9_PS4_.kd
    .uniform_work_group_size: 1
    .uses_dynamic_stack: false
    .vgpr_count:     28
    .vgpr_spill_count: 0
    .wavefront_size: 32
  - .args:
      - .offset:         0
        .size:           4
        .value_kind:     by_value
      - .offset:         8
        .size:           8
        .value_kind:     by_value
      - .offset:         16
        .size:           8
        .value_kind:     by_value
      - .offset:         24
        .size:           4
        .value_kind:     by_value
      - .actual_access:  read_only
        .address_space:  global
        .offset:         32
        .size:           8
        .value_kind:     global_buffer
      - .actual_access:  read_only
        .address_space:  global
        .offset:         40
        .size:           8
        .value_kind:     global_buffer
      - .actual_access:  read_only
        .address_space:  global
        .offset:         48
        .size:           8
        .value_kind:     global_buffer
      - .offset:         56
        .size:           8
        .value_kind:     by_value
      - .offset:         64
        .size:           4
        .value_kind:     by_value
      - .actual_access:  write_only
        .address_space:  global
        .offset:         72
        .size:           8
        .value_kind:     global_buffer
      - .actual_access:  write_only
        .address_space:  global
        .offset:         80
        .size:           8
        .value_kind:     global_buffer
      - .actual_access:  write_only
        .address_space:  global
        .offset:         88
        .size:           8
        .value_kind:     global_buffer
    .group_segment_fixed_size: 0
    .kernarg_segment_align: 8
    .kernarg_segment_size: 96
    .language:       OpenCL C
    .language_version:
      - 2
      - 0
    .max_flat_workgroup_size: 256
    .name:           _ZN9rocsparseL32bsr2csr_block_per_row_2_7_kernelILj256ELj4E21rocsparse_complex_numIfEllEEv20rocsparse_direction_T3_S4_21rocsparse_index_base_PKT1_PKT2_PKS4_S4_S5_PS6_PS9_PS4_
    .private_segment_fixed_size: 0
    .sgpr_count:     20
    .sgpr_spill_count: 0
    .symbol:         _ZN9rocsparseL32bsr2csr_block_per_row_2_7_kernelILj256ELj4E21rocsparse_complex_numIfEllEEv20rocsparse_direction_T3_S4_21rocsparse_index_base_PKT1_PKT2_PKS4_S4_S5_PS6_PS9_PS4_.kd
    .uniform_work_group_size: 1
    .uses_dynamic_stack: false
    .vgpr_count:     30
    .vgpr_spill_count: 0
    .wavefront_size: 32
  - .args:
      - .offset:         0
        .size:           4
        .value_kind:     by_value
      - .offset:         8
        .size:           8
        .value_kind:     by_value
      - .offset:         16
        .size:           8
        .value_kind:     by_value
      - .offset:         24
        .size:           4
        .value_kind:     by_value
      - .actual_access:  read_only
        .address_space:  global
        .offset:         32
        .size:           8
        .value_kind:     global_buffer
      - .actual_access:  read_only
        .address_space:  global
        .offset:         40
        .size:           8
        .value_kind:     global_buffer
      - .actual_access:  read_only
        .address_space:  global
        .offset:         48
        .size:           8
        .value_kind:     global_buffer
      - .offset:         56
        .size:           8
        .value_kind:     by_value
      - .offset:         64
        .size:           4
        .value_kind:     by_value
      - .actual_access:  write_only
        .address_space:  global
        .offset:         72
        .size:           8
        .value_kind:     global_buffer
      - .actual_access:  write_only
        .address_space:  global
        .offset:         80
        .size:           8
        .value_kind:     global_buffer
      - .actual_access:  write_only
        .address_space:  global
        .offset:         88
        .size:           8
        .value_kind:     global_buffer
    .group_segment_fixed_size: 0
    .kernarg_segment_align: 8
    .kernarg_segment_size: 96
    .language:       OpenCL C
    .language_version:
      - 2
      - 0
    .max_flat_workgroup_size: 256
    .name:           _ZN9rocsparseL32bsr2csr_block_per_row_2_7_kernelILj256ELj5E21rocsparse_complex_numIfEllEEv20rocsparse_direction_T3_S4_21rocsparse_index_base_PKT1_PKT2_PKS4_S4_S5_PS6_PS9_PS4_
    .private_segment_fixed_size: 0
    .sgpr_count:     20
    .sgpr_spill_count: 0
    .symbol:         _ZN9rocsparseL32bsr2csr_block_per_row_2_7_kernelILj256ELj5E21rocsparse_complex_numIfEllEEv20rocsparse_direction_T3_S4_21rocsparse_index_base_PKT1_PKT2_PKS4_S4_S5_PS6_PS9_PS4_.kd
    .uniform_work_group_size: 1
    .uses_dynamic_stack: false
    .vgpr_count:     36
    .vgpr_spill_count: 0
    .wavefront_size: 32
  - .args:
      - .offset:         0
        .size:           4
        .value_kind:     by_value
      - .offset:         8
        .size:           8
        .value_kind:     by_value
      - .offset:         16
        .size:           8
        .value_kind:     by_value
      - .offset:         24
        .size:           4
        .value_kind:     by_value
      - .actual_access:  read_only
        .address_space:  global
        .offset:         32
        .size:           8
        .value_kind:     global_buffer
      - .actual_access:  read_only
        .address_space:  global
        .offset:         40
        .size:           8
        .value_kind:     global_buffer
      - .actual_access:  read_only
        .address_space:  global
        .offset:         48
        .size:           8
        .value_kind:     global_buffer
      - .offset:         56
        .size:           8
        .value_kind:     by_value
      - .offset:         64
        .size:           4
        .value_kind:     by_value
      - .actual_access:  write_only
        .address_space:  global
        .offset:         72
        .size:           8
        .value_kind:     global_buffer
      - .actual_access:  write_only
        .address_space:  global
        .offset:         80
        .size:           8
        .value_kind:     global_buffer
      - .actual_access:  write_only
        .address_space:  global
        .offset:         88
        .size:           8
        .value_kind:     global_buffer
    .group_segment_fixed_size: 0
    .kernarg_segment_align: 8
    .kernarg_segment_size: 96
    .language:       OpenCL C
    .language_version:
      - 2
      - 0
    .max_flat_workgroup_size: 256
    .name:           _ZN9rocsparseL32bsr2csr_block_per_row_2_7_kernelILj256ELj6E21rocsparse_complex_numIfEllEEv20rocsparse_direction_T3_S4_21rocsparse_index_base_PKT1_PKT2_PKS4_S4_S5_PS6_PS9_PS4_
    .private_segment_fixed_size: 0
    .sgpr_count:     20
    .sgpr_spill_count: 0
    .symbol:         _ZN9rocsparseL32bsr2csr_block_per_row_2_7_kernelILj256ELj6E21rocsparse_complex_numIfEllEEv20rocsparse_direction_T3_S4_21rocsparse_index_base_PKT1_PKT2_PKS4_S4_S5_PS6_PS9_PS4_.kd
    .uniform_work_group_size: 1
    .uses_dynamic_stack: false
    .vgpr_count:     38
    .vgpr_spill_count: 0
    .wavefront_size: 32
  - .args:
      - .offset:         0
        .size:           4
        .value_kind:     by_value
      - .offset:         8
        .size:           8
        .value_kind:     by_value
      - .offset:         16
        .size:           8
        .value_kind:     by_value
      - .offset:         24
        .size:           4
        .value_kind:     by_value
      - .actual_access:  read_only
        .address_space:  global
        .offset:         32
        .size:           8
        .value_kind:     global_buffer
      - .actual_access:  read_only
        .address_space:  global
        .offset:         40
        .size:           8
        .value_kind:     global_buffer
      - .actual_access:  read_only
        .address_space:  global
        .offset:         48
        .size:           8
        .value_kind:     global_buffer
      - .offset:         56
        .size:           8
        .value_kind:     by_value
      - .offset:         64
        .size:           4
        .value_kind:     by_value
      - .actual_access:  write_only
        .address_space:  global
        .offset:         72
        .size:           8
        .value_kind:     global_buffer
      - .actual_access:  write_only
        .address_space:  global
        .offset:         80
        .size:           8
        .value_kind:     global_buffer
      - .actual_access:  write_only
        .address_space:  global
        .offset:         88
        .size:           8
        .value_kind:     global_buffer
    .group_segment_fixed_size: 0
    .kernarg_segment_align: 8
    .kernarg_segment_size: 96
    .language:       OpenCL C
    .language_version:
      - 2
      - 0
    .max_flat_workgroup_size: 256
    .name:           _ZN9rocsparseL32bsr2csr_block_per_row_2_7_kernelILj256ELj7E21rocsparse_complex_numIfEllEEv20rocsparse_direction_T3_S4_21rocsparse_index_base_PKT1_PKT2_PKS4_S4_S5_PS6_PS9_PS4_
    .private_segment_fixed_size: 0
    .sgpr_count:     20
    .sgpr_spill_count: 0
    .symbol:         _ZN9rocsparseL32bsr2csr_block_per_row_2_7_kernelILj256ELj7E21rocsparse_complex_numIfEllEEv20rocsparse_direction_T3_S4_21rocsparse_index_base_PKT1_PKT2_PKS4_S4_S5_PS6_PS9_PS4_.kd
    .uniform_work_group_size: 1
    .uses_dynamic_stack: false
    .vgpr_count:     42
    .vgpr_spill_count: 0
    .wavefront_size: 32
  - .args:
      - .offset:         0
        .size:           4
        .value_kind:     by_value
      - .offset:         8
        .size:           8
        .value_kind:     by_value
      - .offset:         16
        .size:           8
        .value_kind:     by_value
      - .offset:         24
        .size:           4
        .value_kind:     by_value
      - .actual_access:  read_only
        .address_space:  global
        .offset:         32
        .size:           8
        .value_kind:     global_buffer
      - .actual_access:  read_only
        .address_space:  global
        .offset:         40
        .size:           8
        .value_kind:     global_buffer
      - .actual_access:  read_only
        .address_space:  global
        .offset:         48
        .size:           8
        .value_kind:     global_buffer
      - .offset:         56
        .size:           8
        .value_kind:     by_value
      - .offset:         64
        .size:           4
        .value_kind:     by_value
      - .actual_access:  write_only
        .address_space:  global
        .offset:         72
        .size:           8
        .value_kind:     global_buffer
      - .actual_access:  write_only
        .address_space:  global
        .offset:         80
        .size:           8
        .value_kind:     global_buffer
      - .actual_access:  write_only
        .address_space:  global
        .offset:         88
        .size:           8
        .value_kind:     global_buffer
    .group_segment_fixed_size: 0
    .kernarg_segment_align: 8
    .kernarg_segment_size: 96
    .language:       OpenCL C
    .language_version:
      - 2
      - 0
    .max_flat_workgroup_size: 1024
    .name:           _ZN9rocsparseL33bsr2csr_block_per_row_8_32_kernelILj1024ELj8E21rocsparse_complex_numIfEllEEv20rocsparse_direction_T3_S4_21rocsparse_index_base_PKT1_PKT2_PKS4_S4_S5_PS6_PS9_PS4_
    .private_segment_fixed_size: 0
    .sgpr_count:     28
    .sgpr_spill_count: 0
    .symbol:         _ZN9rocsparseL33bsr2csr_block_per_row_8_32_kernelILj1024ELj8E21rocsparse_complex_numIfEllEEv20rocsparse_direction_T3_S4_21rocsparse_index_base_PKT1_PKT2_PKS4_S4_S5_PS6_PS9_PS4_.kd
    .uniform_work_group_size: 1
    .uses_dynamic_stack: false
    .vgpr_count:     18
    .vgpr_spill_count: 0
    .wavefront_size: 32
  - .args:
      - .offset:         0
        .size:           4
        .value_kind:     by_value
      - .offset:         8
        .size:           8
        .value_kind:     by_value
      - .offset:         16
        .size:           8
        .value_kind:     by_value
      - .offset:         24
        .size:           4
        .value_kind:     by_value
      - .actual_access:  read_only
        .address_space:  global
        .offset:         32
        .size:           8
        .value_kind:     global_buffer
      - .actual_access:  read_only
        .address_space:  global
        .offset:         40
        .size:           8
        .value_kind:     global_buffer
      - .actual_access:  read_only
        .address_space:  global
        .offset:         48
        .size:           8
        .value_kind:     global_buffer
      - .offset:         56
        .size:           8
        .value_kind:     by_value
      - .offset:         64
        .size:           4
        .value_kind:     by_value
      - .actual_access:  write_only
        .address_space:  global
        .offset:         72
        .size:           8
        .value_kind:     global_buffer
      - .actual_access:  write_only
        .address_space:  global
        .offset:         80
        .size:           8
        .value_kind:     global_buffer
      - .actual_access:  write_only
        .address_space:  global
        .offset:         88
        .size:           8
        .value_kind:     global_buffer
    .group_segment_fixed_size: 0
    .kernarg_segment_align: 8
    .kernarg_segment_size: 96
    .language:       OpenCL C
    .language_version:
      - 2
      - 0
    .max_flat_workgroup_size: 1024
    .name:           _ZN9rocsparseL33bsr2csr_block_per_row_8_32_kernelILj1024ELj16E21rocsparse_complex_numIfEllEEv20rocsparse_direction_T3_S4_21rocsparse_index_base_PKT1_PKT2_PKS4_S4_S5_PS6_PS9_PS4_
    .private_segment_fixed_size: 0
    .sgpr_count:     28
    .sgpr_spill_count: 0
    .symbol:         _ZN9rocsparseL33bsr2csr_block_per_row_8_32_kernelILj1024ELj16E21rocsparse_complex_numIfEllEEv20rocsparse_direction_T3_S4_21rocsparse_index_base_PKT1_PKT2_PKS4_S4_S5_PS6_PS9_PS4_.kd
    .uniform_work_group_size: 1
    .uses_dynamic_stack: false
    .vgpr_count:     18
    .vgpr_spill_count: 0
    .wavefront_size: 32
  - .args:
      - .offset:         0
        .size:           4
        .value_kind:     by_value
      - .offset:         8
        .size:           8
        .value_kind:     by_value
      - .offset:         16
        .size:           8
        .value_kind:     by_value
      - .offset:         24
        .size:           4
        .value_kind:     by_value
      - .actual_access:  read_only
        .address_space:  global
        .offset:         32
        .size:           8
        .value_kind:     global_buffer
      - .actual_access:  read_only
        .address_space:  global
        .offset:         40
        .size:           8
        .value_kind:     global_buffer
      - .actual_access:  read_only
        .address_space:  global
        .offset:         48
        .size:           8
        .value_kind:     global_buffer
      - .offset:         56
        .size:           8
        .value_kind:     by_value
      - .offset:         64
        .size:           4
        .value_kind:     by_value
      - .actual_access:  write_only
        .address_space:  global
        .offset:         72
        .size:           8
        .value_kind:     global_buffer
      - .actual_access:  write_only
        .address_space:  global
        .offset:         80
        .size:           8
        .value_kind:     global_buffer
      - .actual_access:  write_only
        .address_space:  global
        .offset:         88
        .size:           8
        .value_kind:     global_buffer
    .group_segment_fixed_size: 0
    .kernarg_segment_align: 8
    .kernarg_segment_size: 96
    .language:       OpenCL C
    .language_version:
      - 2
      - 0
    .max_flat_workgroup_size: 1024
    .name:           _ZN9rocsparseL33bsr2csr_block_per_row_8_32_kernelILj1024ELj32E21rocsparse_complex_numIfEllEEv20rocsparse_direction_T3_S4_21rocsparse_index_base_PKT1_PKT2_PKS4_S4_S5_PS6_PS9_PS4_
    .private_segment_fixed_size: 0
    .sgpr_count:     32
    .sgpr_spill_count: 0
    .symbol:         _ZN9rocsparseL33bsr2csr_block_per_row_8_32_kernelILj1024ELj32E21rocsparse_complex_numIfEllEEv20rocsparse_direction_T3_S4_21rocsparse_index_base_PKT1_PKT2_PKS4_S4_S5_PS6_PS9_PS4_.kd
    .uniform_work_group_size: 1
    .uses_dynamic_stack: false
    .vgpr_count:     14
    .vgpr_spill_count: 0
    .wavefront_size: 32
  - .args:
      - .offset:         0
        .size:           4
        .value_kind:     by_value
      - .offset:         8
        .size:           8
        .value_kind:     by_value
      - .offset:         16
        .size:           8
        .value_kind:     by_value
      - .offset:         24
        .size:           4
        .value_kind:     by_value
      - .actual_access:  read_only
        .address_space:  global
        .offset:         32
        .size:           8
        .value_kind:     global_buffer
      - .actual_access:  read_only
        .address_space:  global
        .offset:         40
        .size:           8
        .value_kind:     global_buffer
      - .actual_access:  read_only
        .address_space:  global
        .offset:         48
        .size:           8
        .value_kind:     global_buffer
      - .offset:         56
        .size:           8
        .value_kind:     by_value
      - .offset:         64
        .size:           4
        .value_kind:     by_value
      - .actual_access:  write_only
        .address_space:  global
        .offset:         72
        .size:           8
        .value_kind:     global_buffer
      - .actual_access:  write_only
        .address_space:  global
        .offset:         80
        .size:           8
        .value_kind:     global_buffer
      - .actual_access:  write_only
        .address_space:  global
        .offset:         88
        .size:           8
        .value_kind:     global_buffer
    .group_segment_fixed_size: 0
    .kernarg_segment_align: 8
    .kernarg_segment_size: 96
    .language:       OpenCL C
    .language_version:
      - 2
      - 0
    .max_flat_workgroup_size: 1024
    .name:           _ZN9rocsparseL35bsr2csr_block_per_row_33_256_kernelILj1024ELj64ELj32E21rocsparse_complex_numIfEllEEv20rocsparse_direction_T4_S4_21rocsparse_index_base_PKT2_PKT3_PKS4_S4_S5_PS6_PS9_PS4_
    .private_segment_fixed_size: 0
    .sgpr_count:     32
    .sgpr_spill_count: 0
    .symbol:         _ZN9rocsparseL35bsr2csr_block_per_row_33_256_kernelILj1024ELj64ELj32E21rocsparse_complex_numIfEllEEv20rocsparse_direction_T4_S4_21rocsparse_index_base_PKT2_PKT3_PKS4_S4_S5_PS6_PS9_PS4_.kd
    .uniform_work_group_size: 1
    .uses_dynamic_stack: false
    .vgpr_count:     36
    .vgpr_spill_count: 0
    .wavefront_size: 32
  - .args:
      - .offset:         0
        .size:           4
        .value_kind:     by_value
      - .offset:         8
        .size:           8
        .value_kind:     by_value
      - .offset:         16
        .size:           8
        .value_kind:     by_value
      - .offset:         24
        .size:           4
        .value_kind:     by_value
      - .actual_access:  read_only
        .address_space:  global
        .offset:         32
        .size:           8
        .value_kind:     global_buffer
      - .actual_access:  read_only
        .address_space:  global
        .offset:         40
        .size:           8
        .value_kind:     global_buffer
      - .actual_access:  read_only
        .address_space:  global
        .offset:         48
        .size:           8
        .value_kind:     global_buffer
      - .offset:         56
        .size:           8
        .value_kind:     by_value
      - .offset:         64
        .size:           4
        .value_kind:     by_value
      - .actual_access:  write_only
        .address_space:  global
        .offset:         72
        .size:           8
        .value_kind:     global_buffer
      - .actual_access:  write_only
        .address_space:  global
        .offset:         80
        .size:           8
        .value_kind:     global_buffer
      - .actual_access:  write_only
        .address_space:  global
        .offset:         88
        .size:           8
        .value_kind:     global_buffer
    .group_segment_fixed_size: 0
    .kernarg_segment_align: 8
    .kernarg_segment_size: 96
    .language:       OpenCL C
    .language_version:
      - 2
      - 0
    .max_flat_workgroup_size: 1024
    .name:           _ZN9rocsparseL35bsr2csr_block_per_row_33_256_kernelILj1024ELj128ELj32E21rocsparse_complex_numIfEllEEv20rocsparse_direction_T4_S4_21rocsparse_index_base_PKT2_PKT3_PKS4_S4_S5_PS6_PS9_PS4_
    .private_segment_fixed_size: 0
    .sgpr_count:     46
    .sgpr_spill_count: 0
    .symbol:         _ZN9rocsparseL35bsr2csr_block_per_row_33_256_kernelILj1024ELj128ELj32E21rocsparse_complex_numIfEllEEv20rocsparse_direction_T4_S4_21rocsparse_index_base_PKT2_PKT3_PKS4_S4_S5_PS6_PS9_PS4_.kd
    .uniform_work_group_size: 1
    .uses_dynamic_stack: false
    .vgpr_count:     68
    .vgpr_spill_count: 0
    .wavefront_size: 32
  - .args:
      - .offset:         0
        .size:           4
        .value_kind:     by_value
      - .offset:         8
        .size:           8
        .value_kind:     by_value
      - .offset:         16
        .size:           8
        .value_kind:     by_value
      - .offset:         24
        .size:           4
        .value_kind:     by_value
      - .actual_access:  read_only
        .address_space:  global
        .offset:         32
        .size:           8
        .value_kind:     global_buffer
      - .actual_access:  read_only
        .address_space:  global
        .offset:         40
        .size:           8
        .value_kind:     global_buffer
      - .actual_access:  read_only
        .address_space:  global
        .offset:         48
        .size:           8
        .value_kind:     global_buffer
      - .offset:         56
        .size:           8
        .value_kind:     by_value
      - .offset:         64
        .size:           4
        .value_kind:     by_value
      - .actual_access:  write_only
        .address_space:  global
        .offset:         72
        .size:           8
        .value_kind:     global_buffer
      - .actual_access:  write_only
        .address_space:  global
        .offset:         80
        .size:           8
        .value_kind:     global_buffer
      - .actual_access:  write_only
        .address_space:  global
        .offset:         88
        .size:           8
        .value_kind:     global_buffer
    .group_segment_fixed_size: 0
    .kernarg_segment_align: 8
    .kernarg_segment_size: 96
    .language:       OpenCL C
    .language_version:
      - 2
      - 0
    .max_flat_workgroup_size: 1024
    .name:           _ZN9rocsparseL35bsr2csr_block_per_row_33_256_kernelILj1024ELj256ELj32E21rocsparse_complex_numIfEllEEv20rocsparse_direction_T4_S4_21rocsparse_index_base_PKT2_PKT3_PKS4_S4_S5_PS6_PS9_PS4_
    .private_segment_fixed_size: 0
    .sgpr_count:     102
    .sgpr_spill_count: 0
    .symbol:         _ZN9rocsparseL35bsr2csr_block_per_row_33_256_kernelILj1024ELj256ELj32E21rocsparse_complex_numIfEllEEv20rocsparse_direction_T4_S4_21rocsparse_index_base_PKT2_PKT3_PKS4_S4_S5_PS6_PS9_PS4_.kd
    .uniform_work_group_size: 1
    .uses_dynamic_stack: false
    .vgpr_count:     96
    .vgpr_spill_count: 0
    .wavefront_size: 32
  - .args:
      - .offset:         0
        .size:           4
        .value_kind:     by_value
      - .offset:         4
        .size:           4
        .value_kind:     by_value
      - .offset:         8
        .size:           4
        .value_kind:     by_value
      - .actual_access:  read_only
        .address_space:  global
        .offset:         16
        .size:           8
        .value_kind:     global_buffer
      - .actual_access:  read_only
        .address_space:  global
        .offset:         24
        .size:           8
        .value_kind:     global_buffer
      - .actual_access:  read_only
        .address_space:  global
        .offset:         32
        .size:           8
        .value_kind:     global_buffer
      - .offset:         40
        .size:           4
        .value_kind:     by_value
      - .actual_access:  write_only
        .address_space:  global
        .offset:         48
        .size:           8
        .value_kind:     global_buffer
      - .actual_access:  write_only
        .address_space:  global
        .offset:         56
        .size:           8
        .value_kind:     global_buffer
      - .actual_access:  write_only
        .address_space:  global
        .offset:         64
        .size:           8
        .value_kind:     global_buffer
      - .offset:         72
        .size:           4
        .value_kind:     hidden_block_count_x
      - .offset:         76
        .size:           4
        .value_kind:     hidden_block_count_y
      - .offset:         80
        .size:           4
        .value_kind:     hidden_block_count_z
      - .offset:         84
        .size:           2
        .value_kind:     hidden_group_size_x
      - .offset:         86
        .size:           2
        .value_kind:     hidden_group_size_y
      - .offset:         88
        .size:           2
        .value_kind:     hidden_group_size_z
      - .offset:         90
        .size:           2
        .value_kind:     hidden_remainder_x
      - .offset:         92
        .size:           2
        .value_kind:     hidden_remainder_y
      - .offset:         94
        .size:           2
        .value_kind:     hidden_remainder_z
      - .offset:         112
        .size:           8
        .value_kind:     hidden_global_offset_x
      - .offset:         120
        .size:           8
        .value_kind:     hidden_global_offset_y
      - .offset:         128
        .size:           8
        .value_kind:     hidden_global_offset_z
      - .offset:         136
        .size:           2
        .value_kind:     hidden_grid_dims
    .group_segment_fixed_size: 0
    .kernarg_segment_align: 8
    .kernarg_segment_size: 328
    .language:       OpenCL C
    .language_version:
      - 2
      - 0
    .max_flat_workgroup_size: 1024
    .name:           _ZN9rocsparseL35bsr2csr_block_dim_equals_one_kernelILj1024EdiiEEvT2_S1_21rocsparse_index_base_PKT0_PKT1_PKS1_S2_PS3_PS6_PS1_
    .private_segment_fixed_size: 0
    .sgpr_count:     23
    .sgpr_spill_count: 0
    .symbol:         _ZN9rocsparseL35bsr2csr_block_dim_equals_one_kernelILj1024EdiiEEvT2_S1_21rocsparse_index_base_PKT0_PKT1_PKS1_S2_PS3_PS6_PS1_.kd
    .uniform_work_group_size: 1
    .uses_dynamic_stack: false
    .vgpr_count:     4
    .vgpr_spill_count: 0
    .wavefront_size: 32
  - .args:
      - .offset:         0
        .size:           4
        .value_kind:     by_value
      - .offset:         4
        .size:           4
        .value_kind:     by_value
      - .offset:         8
        .size:           4
        .value_kind:     by_value
      - .offset:         12
        .size:           4
        .value_kind:     by_value
      - .actual_access:  read_only
        .address_space:  global
        .offset:         16
        .size:           8
        .value_kind:     global_buffer
      - .actual_access:  read_only
        .address_space:  global
        .offset:         24
        .size:           8
        .value_kind:     global_buffer
      - .actual_access:  read_only
        .address_space:  global
        .offset:         32
        .size:           8
        .value_kind:     global_buffer
      - .offset:         40
        .size:           4
        .value_kind:     by_value
      - .offset:         44
        .size:           4
        .value_kind:     by_value
      - .actual_access:  write_only
        .address_space:  global
        .offset:         48
        .size:           8
        .value_kind:     global_buffer
      - .actual_access:  write_only
        .address_space:  global
        .offset:         56
        .size:           8
        .value_kind:     global_buffer
      - .actual_access:  write_only
        .address_space:  global
        .offset:         64
        .size:           8
        .value_kind:     global_buffer
    .group_segment_fixed_size: 0
    .kernarg_segment_align: 8
    .kernarg_segment_size: 72
    .language:       OpenCL C
    .language_version:
      - 2
      - 0
    .max_flat_workgroup_size: 256
    .name:           _ZN9rocsparseL32bsr2csr_block_per_row_2_7_kernelILj256ELj2EdiiEEv20rocsparse_direction_T3_S2_21rocsparse_index_base_PKT1_PKT2_PKS2_S2_S3_PS4_PS7_PS2_
    .private_segment_fixed_size: 0
    .sgpr_count:     17
    .sgpr_spill_count: 0
    .symbol:         _ZN9rocsparseL32bsr2csr_block_per_row_2_7_kernelILj256ELj2EdiiEEv20rocsparse_direction_T3_S2_21rocsparse_index_base_PKT1_PKT2_PKS2_S2_S3_PS4_PS7_PS2_.kd
    .uniform_work_group_size: 1
    .uses_dynamic_stack: false
    .vgpr_count:     16
    .vgpr_spill_count: 0
    .wavefront_size: 32
  - .args:
      - .offset:         0
        .size:           4
        .value_kind:     by_value
      - .offset:         4
        .size:           4
        .value_kind:     by_value
      - .offset:         8
        .size:           4
        .value_kind:     by_value
      - .offset:         12
        .size:           4
        .value_kind:     by_value
      - .actual_access:  read_only
        .address_space:  global
        .offset:         16
        .size:           8
        .value_kind:     global_buffer
      - .actual_access:  read_only
        .address_space:  global
        .offset:         24
        .size:           8
        .value_kind:     global_buffer
      - .actual_access:  read_only
        .address_space:  global
        .offset:         32
        .size:           8
        .value_kind:     global_buffer
      - .offset:         40
        .size:           4
        .value_kind:     by_value
      - .offset:         44
        .size:           4
        .value_kind:     by_value
      - .actual_access:  write_only
        .address_space:  global
        .offset:         48
        .size:           8
        .value_kind:     global_buffer
      - .actual_access:  write_only
        .address_space:  global
        .offset:         56
        .size:           8
        .value_kind:     global_buffer
      - .actual_access:  write_only
        .address_space:  global
        .offset:         64
        .size:           8
        .value_kind:     global_buffer
    .group_segment_fixed_size: 0
    .kernarg_segment_align: 8
    .kernarg_segment_size: 72
    .language:       OpenCL C
    .language_version:
      - 2
      - 0
    .max_flat_workgroup_size: 256
    .name:           _ZN9rocsparseL32bsr2csr_block_per_row_2_7_kernelILj256ELj3EdiiEEv20rocsparse_direction_T3_S2_21rocsparse_index_base_PKT1_PKT2_PKS2_S2_S3_PS4_PS7_PS2_
    .private_segment_fixed_size: 0
    .sgpr_count:     17
    .sgpr_spill_count: 0
    .symbol:         _ZN9rocsparseL32bsr2csr_block_per_row_2_7_kernelILj256ELj3EdiiEEv20rocsparse_direction_T3_S2_21rocsparse_index_base_PKT1_PKT2_PKS2_S2_S3_PS4_PS7_PS2_.kd
    .uniform_work_group_size: 1
    .uses_dynamic_stack: false
    .vgpr_count:     18
    .vgpr_spill_count: 0
    .wavefront_size: 32
  - .args:
      - .offset:         0
        .size:           4
        .value_kind:     by_value
      - .offset:         4
        .size:           4
        .value_kind:     by_value
      - .offset:         8
        .size:           4
        .value_kind:     by_value
      - .offset:         12
        .size:           4
        .value_kind:     by_value
      - .actual_access:  read_only
        .address_space:  global
        .offset:         16
        .size:           8
        .value_kind:     global_buffer
      - .actual_access:  read_only
        .address_space:  global
        .offset:         24
        .size:           8
        .value_kind:     global_buffer
      - .actual_access:  read_only
        .address_space:  global
        .offset:         32
        .size:           8
        .value_kind:     global_buffer
      - .offset:         40
        .size:           4
        .value_kind:     by_value
      - .offset:         44
        .size:           4
        .value_kind:     by_value
      - .actual_access:  write_only
        .address_space:  global
        .offset:         48
        .size:           8
        .value_kind:     global_buffer
      - .actual_access:  write_only
        .address_space:  global
        .offset:         56
        .size:           8
        .value_kind:     global_buffer
      - .actual_access:  write_only
        .address_space:  global
        .offset:         64
        .size:           8
        .value_kind:     global_buffer
    .group_segment_fixed_size: 0
    .kernarg_segment_align: 8
    .kernarg_segment_size: 72
    .language:       OpenCL C
    .language_version:
      - 2
      - 0
    .max_flat_workgroup_size: 256
    .name:           _ZN9rocsparseL32bsr2csr_block_per_row_2_7_kernelILj256ELj4EdiiEEv20rocsparse_direction_T3_S2_21rocsparse_index_base_PKT1_PKT2_PKS2_S2_S3_PS4_PS7_PS2_
    .private_segment_fixed_size: 0
    .sgpr_count:     17
    .sgpr_spill_count: 0
    .symbol:         _ZN9rocsparseL32bsr2csr_block_per_row_2_7_kernelILj256ELj4EdiiEEv20rocsparse_direction_T3_S2_21rocsparse_index_base_PKT1_PKT2_PKS2_S2_S3_PS4_PS7_PS2_.kd
    .uniform_work_group_size: 1
    .uses_dynamic_stack: false
    .vgpr_count:     22
    .vgpr_spill_count: 0
    .wavefront_size: 32
  - .args:
      - .offset:         0
        .size:           4
        .value_kind:     by_value
      - .offset:         4
        .size:           4
        .value_kind:     by_value
      - .offset:         8
        .size:           4
        .value_kind:     by_value
      - .offset:         12
        .size:           4
        .value_kind:     by_value
      - .actual_access:  read_only
        .address_space:  global
        .offset:         16
        .size:           8
        .value_kind:     global_buffer
      - .actual_access:  read_only
        .address_space:  global
        .offset:         24
        .size:           8
        .value_kind:     global_buffer
      - .actual_access:  read_only
        .address_space:  global
        .offset:         32
        .size:           8
        .value_kind:     global_buffer
      - .offset:         40
        .size:           4
        .value_kind:     by_value
      - .offset:         44
        .size:           4
        .value_kind:     by_value
      - .actual_access:  write_only
        .address_space:  global
        .offset:         48
        .size:           8
        .value_kind:     global_buffer
      - .actual_access:  write_only
        .address_space:  global
        .offset:         56
        .size:           8
        .value_kind:     global_buffer
      - .actual_access:  write_only
        .address_space:  global
        .offset:         64
        .size:           8
        .value_kind:     global_buffer
    .group_segment_fixed_size: 0
    .kernarg_segment_align: 8
    .kernarg_segment_size: 72
    .language:       OpenCL C
    .language_version:
      - 2
      - 0
    .max_flat_workgroup_size: 256
    .name:           _ZN9rocsparseL32bsr2csr_block_per_row_2_7_kernelILj256ELj5EdiiEEv20rocsparse_direction_T3_S2_21rocsparse_index_base_PKT1_PKT2_PKS2_S2_S3_PS4_PS7_PS2_
    .private_segment_fixed_size: 0
    .sgpr_count:     17
    .sgpr_spill_count: 0
    .symbol:         _ZN9rocsparseL32bsr2csr_block_per_row_2_7_kernelILj256ELj5EdiiEEv20rocsparse_direction_T3_S2_21rocsparse_index_base_PKT1_PKT2_PKS2_S2_S3_PS4_PS7_PS2_.kd
    .uniform_work_group_size: 1
    .uses_dynamic_stack: false
    .vgpr_count:     24
    .vgpr_spill_count: 0
    .wavefront_size: 32
  - .args:
      - .offset:         0
        .size:           4
        .value_kind:     by_value
      - .offset:         4
        .size:           4
        .value_kind:     by_value
      - .offset:         8
        .size:           4
        .value_kind:     by_value
      - .offset:         12
        .size:           4
        .value_kind:     by_value
      - .actual_access:  read_only
        .address_space:  global
        .offset:         16
        .size:           8
        .value_kind:     global_buffer
      - .actual_access:  read_only
        .address_space:  global
        .offset:         24
        .size:           8
        .value_kind:     global_buffer
      - .actual_access:  read_only
        .address_space:  global
        .offset:         32
        .size:           8
        .value_kind:     global_buffer
      - .offset:         40
        .size:           4
        .value_kind:     by_value
      - .offset:         44
        .size:           4
        .value_kind:     by_value
      - .actual_access:  write_only
        .address_space:  global
        .offset:         48
        .size:           8
        .value_kind:     global_buffer
      - .actual_access:  write_only
        .address_space:  global
        .offset:         56
        .size:           8
        .value_kind:     global_buffer
      - .actual_access:  write_only
        .address_space:  global
        .offset:         64
        .size:           8
        .value_kind:     global_buffer
    .group_segment_fixed_size: 0
    .kernarg_segment_align: 8
    .kernarg_segment_size: 72
    .language:       OpenCL C
    .language_version:
      - 2
      - 0
    .max_flat_workgroup_size: 256
    .name:           _ZN9rocsparseL32bsr2csr_block_per_row_2_7_kernelILj256ELj6EdiiEEv20rocsparse_direction_T3_S2_21rocsparse_index_base_PKT1_PKT2_PKS2_S2_S3_PS4_PS7_PS2_
    .private_segment_fixed_size: 0
    .sgpr_count:     17
    .sgpr_spill_count: 0
    .symbol:         _ZN9rocsparseL32bsr2csr_block_per_row_2_7_kernelILj256ELj6EdiiEEv20rocsparse_direction_T3_S2_21rocsparse_index_base_PKT1_PKT2_PKS2_S2_S3_PS4_PS7_PS2_.kd
    .uniform_work_group_size: 1
    .uses_dynamic_stack: false
    .vgpr_count:     28
    .vgpr_spill_count: 0
    .wavefront_size: 32
  - .args:
      - .offset:         0
        .size:           4
        .value_kind:     by_value
      - .offset:         4
        .size:           4
        .value_kind:     by_value
      - .offset:         8
        .size:           4
        .value_kind:     by_value
      - .offset:         12
        .size:           4
        .value_kind:     by_value
      - .actual_access:  read_only
        .address_space:  global
        .offset:         16
        .size:           8
        .value_kind:     global_buffer
      - .actual_access:  read_only
        .address_space:  global
        .offset:         24
        .size:           8
        .value_kind:     global_buffer
      - .actual_access:  read_only
        .address_space:  global
        .offset:         32
        .size:           8
        .value_kind:     global_buffer
      - .offset:         40
        .size:           4
        .value_kind:     by_value
      - .offset:         44
        .size:           4
        .value_kind:     by_value
      - .actual_access:  write_only
        .address_space:  global
        .offset:         48
        .size:           8
        .value_kind:     global_buffer
      - .actual_access:  write_only
        .address_space:  global
        .offset:         56
        .size:           8
        .value_kind:     global_buffer
      - .actual_access:  write_only
        .address_space:  global
        .offset:         64
        .size:           8
        .value_kind:     global_buffer
    .group_segment_fixed_size: 0
    .kernarg_segment_align: 8
    .kernarg_segment_size: 72
    .language:       OpenCL C
    .language_version:
      - 2
      - 0
    .max_flat_workgroup_size: 256
    .name:           _ZN9rocsparseL32bsr2csr_block_per_row_2_7_kernelILj256ELj7EdiiEEv20rocsparse_direction_T3_S2_21rocsparse_index_base_PKT1_PKT2_PKS2_S2_S3_PS4_PS7_PS2_
    .private_segment_fixed_size: 0
    .sgpr_count:     17
    .sgpr_spill_count: 0
    .symbol:         _ZN9rocsparseL32bsr2csr_block_per_row_2_7_kernelILj256ELj7EdiiEEv20rocsparse_direction_T3_S2_21rocsparse_index_base_PKT1_PKT2_PKS2_S2_S3_PS4_PS7_PS2_.kd
    .uniform_work_group_size: 1
    .uses_dynamic_stack: false
    .vgpr_count:     30
    .vgpr_spill_count: 0
    .wavefront_size: 32
  - .args:
      - .offset:         0
        .size:           4
        .value_kind:     by_value
      - .offset:         4
        .size:           4
        .value_kind:     by_value
      - .offset:         8
        .size:           4
        .value_kind:     by_value
      - .offset:         12
        .size:           4
        .value_kind:     by_value
      - .actual_access:  read_only
        .address_space:  global
        .offset:         16
        .size:           8
        .value_kind:     global_buffer
      - .actual_access:  read_only
        .address_space:  global
        .offset:         24
        .size:           8
        .value_kind:     global_buffer
      - .actual_access:  read_only
        .address_space:  global
        .offset:         32
        .size:           8
        .value_kind:     global_buffer
      - .offset:         40
        .size:           4
        .value_kind:     by_value
      - .offset:         44
        .size:           4
        .value_kind:     by_value
      - .actual_access:  write_only
        .address_space:  global
        .offset:         48
        .size:           8
        .value_kind:     global_buffer
      - .actual_access:  write_only
        .address_space:  global
        .offset:         56
        .size:           8
        .value_kind:     global_buffer
      - .actual_access:  write_only
        .address_space:  global
        .offset:         64
        .size:           8
        .value_kind:     global_buffer
    .group_segment_fixed_size: 0
    .kernarg_segment_align: 8
    .kernarg_segment_size: 72
    .language:       OpenCL C
    .language_version:
      - 2
      - 0
    .max_flat_workgroup_size: 1024
    .name:           _ZN9rocsparseL33bsr2csr_block_per_row_8_32_kernelILj1024ELj8EdiiEEv20rocsparse_direction_T3_S2_21rocsparse_index_base_PKT1_PKT2_PKS2_S2_S3_PS4_PS7_PS2_
    .private_segment_fixed_size: 0
    .sgpr_count:     17
    .sgpr_spill_count: 0
    .symbol:         _ZN9rocsparseL33bsr2csr_block_per_row_8_32_kernelILj1024ELj8EdiiEEv20rocsparse_direction_T3_S2_21rocsparse_index_base_PKT1_PKT2_PKS2_S2_S3_PS4_PS7_PS2_.kd
    .uniform_work_group_size: 1
    .uses_dynamic_stack: false
    .vgpr_count:     7
    .vgpr_spill_count: 0
    .wavefront_size: 32
  - .args:
      - .offset:         0
        .size:           4
        .value_kind:     by_value
      - .offset:         4
        .size:           4
        .value_kind:     by_value
      - .offset:         8
        .size:           4
        .value_kind:     by_value
      - .offset:         12
        .size:           4
        .value_kind:     by_value
      - .actual_access:  read_only
        .address_space:  global
        .offset:         16
        .size:           8
        .value_kind:     global_buffer
      - .actual_access:  read_only
        .address_space:  global
        .offset:         24
        .size:           8
        .value_kind:     global_buffer
      - .actual_access:  read_only
        .address_space:  global
        .offset:         32
        .size:           8
        .value_kind:     global_buffer
      - .offset:         40
        .size:           4
        .value_kind:     by_value
      - .offset:         44
        .size:           4
        .value_kind:     by_value
      - .actual_access:  write_only
        .address_space:  global
        .offset:         48
        .size:           8
        .value_kind:     global_buffer
      - .actual_access:  write_only
        .address_space:  global
        .offset:         56
        .size:           8
        .value_kind:     global_buffer
      - .actual_access:  write_only
        .address_space:  global
        .offset:         64
        .size:           8
        .value_kind:     global_buffer
    .group_segment_fixed_size: 0
    .kernarg_segment_align: 8
    .kernarg_segment_size: 72
    .language:       OpenCL C
    .language_version:
      - 2
      - 0
    .max_flat_workgroup_size: 1024
    .name:           _ZN9rocsparseL33bsr2csr_block_per_row_8_32_kernelILj1024ELj16EdiiEEv20rocsparse_direction_T3_S2_21rocsparse_index_base_PKT1_PKT2_PKS2_S2_S3_PS4_PS7_PS2_
    .private_segment_fixed_size: 0
    .sgpr_count:     17
    .sgpr_spill_count: 0
    .symbol:         _ZN9rocsparseL33bsr2csr_block_per_row_8_32_kernelILj1024ELj16EdiiEEv20rocsparse_direction_T3_S2_21rocsparse_index_base_PKT1_PKT2_PKS2_S2_S3_PS4_PS7_PS2_.kd
    .uniform_work_group_size: 1
    .uses_dynamic_stack: false
    .vgpr_count:     7
    .vgpr_spill_count: 0
    .wavefront_size: 32
  - .args:
      - .offset:         0
        .size:           4
        .value_kind:     by_value
      - .offset:         4
        .size:           4
        .value_kind:     by_value
      - .offset:         8
        .size:           4
        .value_kind:     by_value
      - .offset:         12
        .size:           4
        .value_kind:     by_value
      - .actual_access:  read_only
        .address_space:  global
        .offset:         16
        .size:           8
        .value_kind:     global_buffer
      - .actual_access:  read_only
        .address_space:  global
        .offset:         24
        .size:           8
        .value_kind:     global_buffer
      - .actual_access:  read_only
        .address_space:  global
        .offset:         32
        .size:           8
        .value_kind:     global_buffer
      - .offset:         40
        .size:           4
        .value_kind:     by_value
      - .offset:         44
        .size:           4
        .value_kind:     by_value
      - .actual_access:  write_only
        .address_space:  global
        .offset:         48
        .size:           8
        .value_kind:     global_buffer
      - .actual_access:  write_only
        .address_space:  global
        .offset:         56
        .size:           8
        .value_kind:     global_buffer
      - .actual_access:  write_only
        .address_space:  global
        .offset:         64
        .size:           8
        .value_kind:     global_buffer
    .group_segment_fixed_size: 0
    .kernarg_segment_align: 8
    .kernarg_segment_size: 72
    .language:       OpenCL C
    .language_version:
      - 2
      - 0
    .max_flat_workgroup_size: 1024
    .name:           _ZN9rocsparseL33bsr2csr_block_per_row_8_32_kernelILj1024ELj32EdiiEEv20rocsparse_direction_T3_S2_21rocsparse_index_base_PKT1_PKT2_PKS2_S2_S3_PS4_PS7_PS2_
    .private_segment_fixed_size: 0
    .sgpr_count:     20
    .sgpr_spill_count: 0
    .symbol:         _ZN9rocsparseL33bsr2csr_block_per_row_8_32_kernelILj1024ELj32EdiiEEv20rocsparse_direction_T3_S2_21rocsparse_index_base_PKT1_PKT2_PKS2_S2_S3_PS4_PS7_PS2_.kd
    .uniform_work_group_size: 1
    .uses_dynamic_stack: false
    .vgpr_count:     6
    .vgpr_spill_count: 0
    .wavefront_size: 32
  - .args:
      - .offset:         0
        .size:           4
        .value_kind:     by_value
      - .offset:         4
        .size:           4
        .value_kind:     by_value
      - .offset:         8
        .size:           4
        .value_kind:     by_value
      - .offset:         12
        .size:           4
        .value_kind:     by_value
      - .actual_access:  read_only
        .address_space:  global
        .offset:         16
        .size:           8
        .value_kind:     global_buffer
      - .actual_access:  read_only
        .address_space:  global
        .offset:         24
        .size:           8
        .value_kind:     global_buffer
      - .actual_access:  read_only
        .address_space:  global
        .offset:         32
        .size:           8
        .value_kind:     global_buffer
      - .offset:         40
        .size:           4
        .value_kind:     by_value
      - .offset:         44
        .size:           4
        .value_kind:     by_value
      - .actual_access:  write_only
        .address_space:  global
        .offset:         48
        .size:           8
        .value_kind:     global_buffer
      - .actual_access:  write_only
        .address_space:  global
        .offset:         56
        .size:           8
        .value_kind:     global_buffer
      - .actual_access:  write_only
        .address_space:  global
        .offset:         64
        .size:           8
        .value_kind:     global_buffer
    .group_segment_fixed_size: 0
    .kernarg_segment_align: 8
    .kernarg_segment_size: 72
    .language:       OpenCL C
    .language_version:
      - 2
      - 0
    .max_flat_workgroup_size: 1024
    .name:           _ZN9rocsparseL35bsr2csr_block_per_row_33_256_kernelILj1024ELj64ELj32EdiiEEv20rocsparse_direction_T4_S2_21rocsparse_index_base_PKT2_PKT3_PKS2_S2_S3_PS4_PS7_PS2_
    .private_segment_fixed_size: 0
    .sgpr_count:     26
    .sgpr_spill_count: 0
    .symbol:         _ZN9rocsparseL35bsr2csr_block_per_row_33_256_kernelILj1024ELj64ELj32EdiiEEv20rocsparse_direction_T4_S2_21rocsparse_index_base_PKT2_PKT3_PKS2_S2_S3_PS4_PS7_PS2_.kd
    .uniform_work_group_size: 1
    .uses_dynamic_stack: false
    .vgpr_count:     16
    .vgpr_spill_count: 0
    .wavefront_size: 32
  - .args:
      - .offset:         0
        .size:           4
        .value_kind:     by_value
      - .offset:         4
        .size:           4
        .value_kind:     by_value
      - .offset:         8
        .size:           4
        .value_kind:     by_value
      - .offset:         12
        .size:           4
        .value_kind:     by_value
      - .actual_access:  read_only
        .address_space:  global
        .offset:         16
        .size:           8
        .value_kind:     global_buffer
      - .actual_access:  read_only
        .address_space:  global
        .offset:         24
        .size:           8
        .value_kind:     global_buffer
      - .actual_access:  read_only
        .address_space:  global
        .offset:         32
        .size:           8
        .value_kind:     global_buffer
      - .offset:         40
        .size:           4
        .value_kind:     by_value
      - .offset:         44
        .size:           4
        .value_kind:     by_value
      - .actual_access:  write_only
        .address_space:  global
        .offset:         48
        .size:           8
        .value_kind:     global_buffer
      - .actual_access:  write_only
        .address_space:  global
        .offset:         56
        .size:           8
        .value_kind:     global_buffer
      - .actual_access:  write_only
        .address_space:  global
        .offset:         64
        .size:           8
        .value_kind:     global_buffer
    .group_segment_fixed_size: 0
    .kernarg_segment_align: 8
    .kernarg_segment_size: 72
    .language:       OpenCL C
    .language_version:
      - 2
      - 0
    .max_flat_workgroup_size: 1024
    .name:           _ZN9rocsparseL35bsr2csr_block_per_row_33_256_kernelILj1024ELj128ELj32EdiiEEv20rocsparse_direction_T4_S2_21rocsparse_index_base_PKT2_PKT3_PKS2_S2_S3_PS4_PS7_PS2_
    .private_segment_fixed_size: 0
    .sgpr_count:     38
    .sgpr_spill_count: 0
    .symbol:         _ZN9rocsparseL35bsr2csr_block_per_row_33_256_kernelILj1024ELj128ELj32EdiiEEv20rocsparse_direction_T4_S2_21rocsparse_index_base_PKT2_PKT3_PKS2_S2_S3_PS4_PS7_PS2_.kd
    .uniform_work_group_size: 1
    .uses_dynamic_stack: false
    .vgpr_count:     27
    .vgpr_spill_count: 0
    .wavefront_size: 32
  - .args:
      - .offset:         0
        .size:           4
        .value_kind:     by_value
      - .offset:         4
        .size:           4
        .value_kind:     by_value
      - .offset:         8
        .size:           4
        .value_kind:     by_value
      - .offset:         12
        .size:           4
        .value_kind:     by_value
      - .actual_access:  read_only
        .address_space:  global
        .offset:         16
        .size:           8
        .value_kind:     global_buffer
      - .actual_access:  read_only
        .address_space:  global
        .offset:         24
        .size:           8
        .value_kind:     global_buffer
      - .actual_access:  read_only
        .address_space:  global
        .offset:         32
        .size:           8
        .value_kind:     global_buffer
      - .offset:         40
        .size:           4
        .value_kind:     by_value
      - .offset:         44
        .size:           4
        .value_kind:     by_value
      - .actual_access:  write_only
        .address_space:  global
        .offset:         48
        .size:           8
        .value_kind:     global_buffer
      - .actual_access:  write_only
        .address_space:  global
        .offset:         56
        .size:           8
        .value_kind:     global_buffer
      - .actual_access:  write_only
        .address_space:  global
        .offset:         64
        .size:           8
        .value_kind:     global_buffer
    .group_segment_fixed_size: 0
    .kernarg_segment_align: 8
    .kernarg_segment_size: 72
    .language:       OpenCL C
    .language_version:
      - 2
      - 0
    .max_flat_workgroup_size: 1024
    .name:           _ZN9rocsparseL35bsr2csr_block_per_row_33_256_kernelILj1024ELj256ELj32EdiiEEv20rocsparse_direction_T4_S2_21rocsparse_index_base_PKT2_PKT3_PKS2_S2_S3_PS4_PS7_PS2_
    .private_segment_fixed_size: 0
    .sgpr_count:     89
    .sgpr_spill_count: 0
    .symbol:         _ZN9rocsparseL35bsr2csr_block_per_row_33_256_kernelILj1024ELj256ELj32EdiiEEv20rocsparse_direction_T4_S2_21rocsparse_index_base_PKT2_PKT3_PKS2_S2_S3_PS4_PS7_PS2_.kd
    .uniform_work_group_size: 1
    .uses_dynamic_stack: false
    .vgpr_count:     45
    .vgpr_spill_count: 0
    .wavefront_size: 32
  - .args:
      - .offset:         0
        .size:           4
        .value_kind:     by_value
      - .offset:         4
        .size:           4
        .value_kind:     by_value
      - .offset:         8
        .size:           4
        .value_kind:     by_value
      - .actual_access:  read_only
        .address_space:  global
        .offset:         16
        .size:           8
        .value_kind:     global_buffer
      - .actual_access:  read_only
        .address_space:  global
        .offset:         24
        .size:           8
        .value_kind:     global_buffer
      - .actual_access:  read_only
        .address_space:  global
        .offset:         32
        .size:           8
        .value_kind:     global_buffer
      - .offset:         40
        .size:           4
        .value_kind:     by_value
      - .actual_access:  write_only
        .address_space:  global
        .offset:         48
        .size:           8
        .value_kind:     global_buffer
      - .actual_access:  write_only
        .address_space:  global
        .offset:         56
        .size:           8
        .value_kind:     global_buffer
      - .actual_access:  write_only
        .address_space:  global
        .offset:         64
        .size:           8
        .value_kind:     global_buffer
      - .offset:         72
        .size:           4
        .value_kind:     hidden_block_count_x
      - .offset:         76
        .size:           4
        .value_kind:     hidden_block_count_y
      - .offset:         80
        .size:           4
        .value_kind:     hidden_block_count_z
      - .offset:         84
        .size:           2
        .value_kind:     hidden_group_size_x
      - .offset:         86
        .size:           2
        .value_kind:     hidden_group_size_y
      - .offset:         88
        .size:           2
        .value_kind:     hidden_group_size_z
      - .offset:         90
        .size:           2
        .value_kind:     hidden_remainder_x
      - .offset:         92
        .size:           2
        .value_kind:     hidden_remainder_y
      - .offset:         94
        .size:           2
        .value_kind:     hidden_remainder_z
      - .offset:         112
        .size:           8
        .value_kind:     hidden_global_offset_x
      - .offset:         120
        .size:           8
        .value_kind:     hidden_global_offset_y
      - .offset:         128
        .size:           8
        .value_kind:     hidden_global_offset_z
      - .offset:         136
        .size:           2
        .value_kind:     hidden_grid_dims
    .group_segment_fixed_size: 0
    .kernarg_segment_align: 8
    .kernarg_segment_size: 328
    .language:       OpenCL C
    .language_version:
      - 2
      - 0
    .max_flat_workgroup_size: 1024
    .name:           _ZN9rocsparseL35bsr2csr_block_dim_equals_one_kernelILj1024EdliEEvT2_S1_21rocsparse_index_base_PKT0_PKT1_PKS1_S2_PS3_PS6_PS1_
    .private_segment_fixed_size: 0
    .sgpr_count:     26
    .sgpr_spill_count: 0
    .symbol:         _ZN9rocsparseL35bsr2csr_block_dim_equals_one_kernelILj1024EdliEEvT2_S1_21rocsparse_index_base_PKT0_PKT1_PKS1_S2_PS3_PS6_PS1_.kd
    .uniform_work_group_size: 1
    .uses_dynamic_stack: false
    .vgpr_count:     13
    .vgpr_spill_count: 0
    .wavefront_size: 32
  - .args:
      - .offset:         0
        .size:           4
        .value_kind:     by_value
      - .offset:         4
        .size:           4
        .value_kind:     by_value
      - .offset:         8
        .size:           4
        .value_kind:     by_value
      - .offset:         12
        .size:           4
        .value_kind:     by_value
      - .actual_access:  read_only
        .address_space:  global
        .offset:         16
        .size:           8
        .value_kind:     global_buffer
      - .actual_access:  read_only
        .address_space:  global
        .offset:         24
        .size:           8
        .value_kind:     global_buffer
      - .actual_access:  read_only
        .address_space:  global
        .offset:         32
        .size:           8
        .value_kind:     global_buffer
      - .offset:         40
        .size:           4
        .value_kind:     by_value
      - .offset:         44
        .size:           4
        .value_kind:     by_value
      - .actual_access:  write_only
        .address_space:  global
        .offset:         48
        .size:           8
        .value_kind:     global_buffer
      - .actual_access:  write_only
        .address_space:  global
        .offset:         56
        .size:           8
        .value_kind:     global_buffer
      - .actual_access:  write_only
        .address_space:  global
        .offset:         64
        .size:           8
        .value_kind:     global_buffer
    .group_segment_fixed_size: 0
    .kernarg_segment_align: 8
    .kernarg_segment_size: 72
    .language:       OpenCL C
    .language_version:
      - 2
      - 0
    .max_flat_workgroup_size: 256
    .name:           _ZN9rocsparseL32bsr2csr_block_per_row_2_7_kernelILj256ELj2EdliEEv20rocsparse_direction_T3_S2_21rocsparse_index_base_PKT1_PKT2_PKS2_S2_S3_PS4_PS7_PS2_
    .private_segment_fixed_size: 0
    .sgpr_count:     20
    .sgpr_spill_count: 0
    .symbol:         _ZN9rocsparseL32bsr2csr_block_per_row_2_7_kernelILj256ELj2EdliEEv20rocsparse_direction_T3_S2_21rocsparse_index_base_PKT1_PKT2_PKS2_S2_S3_PS4_PS7_PS2_.kd
    .uniform_work_group_size: 1
    .uses_dynamic_stack: false
    .vgpr_count:     25
    .vgpr_spill_count: 0
    .wavefront_size: 32
  - .args:
      - .offset:         0
        .size:           4
        .value_kind:     by_value
      - .offset:         4
        .size:           4
        .value_kind:     by_value
      - .offset:         8
        .size:           4
        .value_kind:     by_value
      - .offset:         12
        .size:           4
        .value_kind:     by_value
      - .actual_access:  read_only
        .address_space:  global
        .offset:         16
        .size:           8
        .value_kind:     global_buffer
      - .actual_access:  read_only
        .address_space:  global
        .offset:         24
        .size:           8
        .value_kind:     global_buffer
      - .actual_access:  read_only
        .address_space:  global
        .offset:         32
        .size:           8
        .value_kind:     global_buffer
      - .offset:         40
        .size:           4
        .value_kind:     by_value
      - .offset:         44
        .size:           4
        .value_kind:     by_value
      - .actual_access:  write_only
        .address_space:  global
        .offset:         48
        .size:           8
        .value_kind:     global_buffer
      - .actual_access:  write_only
        .address_space:  global
        .offset:         56
        .size:           8
        .value_kind:     global_buffer
      - .actual_access:  write_only
        .address_space:  global
        .offset:         64
        .size:           8
        .value_kind:     global_buffer
    .group_segment_fixed_size: 0
    .kernarg_segment_align: 8
    .kernarg_segment_size: 72
    .language:       OpenCL C
    .language_version:
      - 2
      - 0
    .max_flat_workgroup_size: 256
    .name:           _ZN9rocsparseL32bsr2csr_block_per_row_2_7_kernelILj256ELj3EdliEEv20rocsparse_direction_T3_S2_21rocsparse_index_base_PKT1_PKT2_PKS2_S2_S3_PS4_PS7_PS2_
    .private_segment_fixed_size: 0
    .sgpr_count:     22
    .sgpr_spill_count: 0
    .symbol:         _ZN9rocsparseL32bsr2csr_block_per_row_2_7_kernelILj256ELj3EdliEEv20rocsparse_direction_T3_S2_21rocsparse_index_base_PKT1_PKT2_PKS2_S2_S3_PS4_PS7_PS2_.kd
    .uniform_work_group_size: 1
    .uses_dynamic_stack: false
    .vgpr_count:     27
    .vgpr_spill_count: 0
    .wavefront_size: 32
  - .args:
      - .offset:         0
        .size:           4
        .value_kind:     by_value
      - .offset:         4
        .size:           4
        .value_kind:     by_value
      - .offset:         8
        .size:           4
        .value_kind:     by_value
      - .offset:         12
        .size:           4
        .value_kind:     by_value
      - .actual_access:  read_only
        .address_space:  global
        .offset:         16
        .size:           8
        .value_kind:     global_buffer
      - .actual_access:  read_only
        .address_space:  global
        .offset:         24
        .size:           8
        .value_kind:     global_buffer
      - .actual_access:  read_only
        .address_space:  global
        .offset:         32
        .size:           8
        .value_kind:     global_buffer
      - .offset:         40
        .size:           4
        .value_kind:     by_value
      - .offset:         44
        .size:           4
        .value_kind:     by_value
      - .actual_access:  write_only
        .address_space:  global
        .offset:         48
        .size:           8
        .value_kind:     global_buffer
      - .actual_access:  write_only
        .address_space:  global
        .offset:         56
        .size:           8
        .value_kind:     global_buffer
      - .actual_access:  write_only
        .address_space:  global
        .offset:         64
        .size:           8
        .value_kind:     global_buffer
    .group_segment_fixed_size: 0
    .kernarg_segment_align: 8
    .kernarg_segment_size: 72
    .language:       OpenCL C
    .language_version:
      - 2
      - 0
    .max_flat_workgroup_size: 256
    .name:           _ZN9rocsparseL32bsr2csr_block_per_row_2_7_kernelILj256ELj4EdliEEv20rocsparse_direction_T3_S2_21rocsparse_index_base_PKT1_PKT2_PKS2_S2_S3_PS4_PS7_PS2_
    .private_segment_fixed_size: 0
    .sgpr_count:     20
    .sgpr_spill_count: 0
    .symbol:         _ZN9rocsparseL32bsr2csr_block_per_row_2_7_kernelILj256ELj4EdliEEv20rocsparse_direction_T3_S2_21rocsparse_index_base_PKT1_PKT2_PKS2_S2_S3_PS4_PS7_PS2_.kd
    .uniform_work_group_size: 1
    .uses_dynamic_stack: false
    .vgpr_count:     35
    .vgpr_spill_count: 0
    .wavefront_size: 32
  - .args:
      - .offset:         0
        .size:           4
        .value_kind:     by_value
      - .offset:         4
        .size:           4
        .value_kind:     by_value
      - .offset:         8
        .size:           4
        .value_kind:     by_value
      - .offset:         12
        .size:           4
        .value_kind:     by_value
      - .actual_access:  read_only
        .address_space:  global
        .offset:         16
        .size:           8
        .value_kind:     global_buffer
      - .actual_access:  read_only
        .address_space:  global
        .offset:         24
        .size:           8
        .value_kind:     global_buffer
      - .actual_access:  read_only
        .address_space:  global
        .offset:         32
        .size:           8
        .value_kind:     global_buffer
      - .offset:         40
        .size:           4
        .value_kind:     by_value
      - .offset:         44
        .size:           4
        .value_kind:     by_value
      - .actual_access:  write_only
        .address_space:  global
        .offset:         48
        .size:           8
        .value_kind:     global_buffer
      - .actual_access:  write_only
        .address_space:  global
        .offset:         56
        .size:           8
        .value_kind:     global_buffer
      - .actual_access:  write_only
        .address_space:  global
        .offset:         64
        .size:           8
        .value_kind:     global_buffer
    .group_segment_fixed_size: 0
    .kernarg_segment_align: 8
    .kernarg_segment_size: 72
    .language:       OpenCL C
    .language_version:
      - 2
      - 0
    .max_flat_workgroup_size: 256
    .name:           _ZN9rocsparseL32bsr2csr_block_per_row_2_7_kernelILj256ELj5EdliEEv20rocsparse_direction_T3_S2_21rocsparse_index_base_PKT1_PKT2_PKS2_S2_S3_PS4_PS7_PS2_
    .private_segment_fixed_size: 0
    .sgpr_count:     22
    .sgpr_spill_count: 0
    .symbol:         _ZN9rocsparseL32bsr2csr_block_per_row_2_7_kernelILj256ELj5EdliEEv20rocsparse_direction_T3_S2_21rocsparse_index_base_PKT1_PKT2_PKS2_S2_S3_PS4_PS7_PS2_.kd
    .uniform_work_group_size: 1
    .uses_dynamic_stack: false
    .vgpr_count:     35
    .vgpr_spill_count: 0
    .wavefront_size: 32
  - .args:
      - .offset:         0
        .size:           4
        .value_kind:     by_value
      - .offset:         4
        .size:           4
        .value_kind:     by_value
      - .offset:         8
        .size:           4
        .value_kind:     by_value
      - .offset:         12
        .size:           4
        .value_kind:     by_value
      - .actual_access:  read_only
        .address_space:  global
        .offset:         16
        .size:           8
        .value_kind:     global_buffer
      - .actual_access:  read_only
        .address_space:  global
        .offset:         24
        .size:           8
        .value_kind:     global_buffer
      - .actual_access:  read_only
        .address_space:  global
        .offset:         32
        .size:           8
        .value_kind:     global_buffer
      - .offset:         40
        .size:           4
        .value_kind:     by_value
      - .offset:         44
        .size:           4
        .value_kind:     by_value
      - .actual_access:  write_only
        .address_space:  global
        .offset:         48
        .size:           8
        .value_kind:     global_buffer
      - .actual_access:  write_only
        .address_space:  global
        .offset:         56
        .size:           8
        .value_kind:     global_buffer
      - .actual_access:  write_only
        .address_space:  global
        .offset:         64
        .size:           8
        .value_kind:     global_buffer
    .group_segment_fixed_size: 0
    .kernarg_segment_align: 8
    .kernarg_segment_size: 72
    .language:       OpenCL C
    .language_version:
      - 2
      - 0
    .max_flat_workgroup_size: 256
    .name:           _ZN9rocsparseL32bsr2csr_block_per_row_2_7_kernelILj256ELj6EdliEEv20rocsparse_direction_T3_S2_21rocsparse_index_base_PKT1_PKT2_PKS2_S2_S3_PS4_PS7_PS2_
    .private_segment_fixed_size: 0
    .sgpr_count:     22
    .sgpr_spill_count: 0
    .symbol:         _ZN9rocsparseL32bsr2csr_block_per_row_2_7_kernelILj256ELj6EdliEEv20rocsparse_direction_T3_S2_21rocsparse_index_base_PKT1_PKT2_PKS2_S2_S3_PS4_PS7_PS2_.kd
    .uniform_work_group_size: 1
    .uses_dynamic_stack: false
    .vgpr_count:     41
    .vgpr_spill_count: 0
    .wavefront_size: 32
  - .args:
      - .offset:         0
        .size:           4
        .value_kind:     by_value
      - .offset:         4
        .size:           4
        .value_kind:     by_value
      - .offset:         8
        .size:           4
        .value_kind:     by_value
      - .offset:         12
        .size:           4
        .value_kind:     by_value
      - .actual_access:  read_only
        .address_space:  global
        .offset:         16
        .size:           8
        .value_kind:     global_buffer
      - .actual_access:  read_only
        .address_space:  global
        .offset:         24
        .size:           8
        .value_kind:     global_buffer
      - .actual_access:  read_only
        .address_space:  global
        .offset:         32
        .size:           8
        .value_kind:     global_buffer
      - .offset:         40
        .size:           4
        .value_kind:     by_value
      - .offset:         44
        .size:           4
        .value_kind:     by_value
      - .actual_access:  write_only
        .address_space:  global
        .offset:         48
        .size:           8
        .value_kind:     global_buffer
      - .actual_access:  write_only
        .address_space:  global
        .offset:         56
        .size:           8
        .value_kind:     global_buffer
      - .actual_access:  write_only
        .address_space:  global
        .offset:         64
        .size:           8
        .value_kind:     global_buffer
    .group_segment_fixed_size: 0
    .kernarg_segment_align: 8
    .kernarg_segment_size: 72
    .language:       OpenCL C
    .language_version:
      - 2
      - 0
    .max_flat_workgroup_size: 256
    .name:           _ZN9rocsparseL32bsr2csr_block_per_row_2_7_kernelILj256ELj7EdliEEv20rocsparse_direction_T3_S2_21rocsparse_index_base_PKT1_PKT2_PKS2_S2_S3_PS4_PS7_PS2_
    .private_segment_fixed_size: 0
    .sgpr_count:     22
    .sgpr_spill_count: 0
    .symbol:         _ZN9rocsparseL32bsr2csr_block_per_row_2_7_kernelILj256ELj7EdliEEv20rocsparse_direction_T3_S2_21rocsparse_index_base_PKT1_PKT2_PKS2_S2_S3_PS4_PS7_PS2_.kd
    .uniform_work_group_size: 1
    .uses_dynamic_stack: false
    .vgpr_count:     45
    .vgpr_spill_count: 0
    .wavefront_size: 32
  - .args:
      - .offset:         0
        .size:           4
        .value_kind:     by_value
      - .offset:         4
        .size:           4
        .value_kind:     by_value
      - .offset:         8
        .size:           4
        .value_kind:     by_value
      - .offset:         12
        .size:           4
        .value_kind:     by_value
      - .actual_access:  read_only
        .address_space:  global
        .offset:         16
        .size:           8
        .value_kind:     global_buffer
      - .actual_access:  read_only
        .address_space:  global
        .offset:         24
        .size:           8
        .value_kind:     global_buffer
      - .actual_access:  read_only
        .address_space:  global
        .offset:         32
        .size:           8
        .value_kind:     global_buffer
      - .offset:         40
        .size:           4
        .value_kind:     by_value
      - .offset:         44
        .size:           4
        .value_kind:     by_value
      - .actual_access:  write_only
        .address_space:  global
        .offset:         48
        .size:           8
        .value_kind:     global_buffer
      - .actual_access:  write_only
        .address_space:  global
        .offset:         56
        .size:           8
        .value_kind:     global_buffer
      - .actual_access:  write_only
        .address_space:  global
        .offset:         64
        .size:           8
        .value_kind:     global_buffer
    .group_segment_fixed_size: 0
    .kernarg_segment_align: 8
    .kernarg_segment_size: 72
    .language:       OpenCL C
    .language_version:
      - 2
      - 0
    .max_flat_workgroup_size: 1024
    .name:           _ZN9rocsparseL33bsr2csr_block_per_row_8_32_kernelILj1024ELj8EdliEEv20rocsparse_direction_T3_S2_21rocsparse_index_base_PKT1_PKT2_PKS2_S2_S3_PS4_PS7_PS2_
    .private_segment_fixed_size: 0
    .sgpr_count:     28
    .sgpr_spill_count: 0
    .symbol:         _ZN9rocsparseL33bsr2csr_block_per_row_8_32_kernelILj1024ELj8EdliEEv20rocsparse_direction_T3_S2_21rocsparse_index_base_PKT1_PKT2_PKS2_S2_S3_PS4_PS7_PS2_.kd
    .uniform_work_group_size: 1
    .uses_dynamic_stack: false
    .vgpr_count:     18
    .vgpr_spill_count: 0
    .wavefront_size: 32
  - .args:
      - .offset:         0
        .size:           4
        .value_kind:     by_value
      - .offset:         4
        .size:           4
        .value_kind:     by_value
      - .offset:         8
        .size:           4
        .value_kind:     by_value
      - .offset:         12
        .size:           4
        .value_kind:     by_value
      - .actual_access:  read_only
        .address_space:  global
        .offset:         16
        .size:           8
        .value_kind:     global_buffer
      - .actual_access:  read_only
        .address_space:  global
        .offset:         24
        .size:           8
        .value_kind:     global_buffer
      - .actual_access:  read_only
        .address_space:  global
        .offset:         32
        .size:           8
        .value_kind:     global_buffer
      - .offset:         40
        .size:           4
        .value_kind:     by_value
      - .offset:         44
        .size:           4
        .value_kind:     by_value
      - .actual_access:  write_only
        .address_space:  global
        .offset:         48
        .size:           8
        .value_kind:     global_buffer
      - .actual_access:  write_only
        .address_space:  global
        .offset:         56
        .size:           8
        .value_kind:     global_buffer
      - .actual_access:  write_only
        .address_space:  global
        .offset:         64
        .size:           8
        .value_kind:     global_buffer
    .group_segment_fixed_size: 0
    .kernarg_segment_align: 8
    .kernarg_segment_size: 72
    .language:       OpenCL C
    .language_version:
      - 2
      - 0
    .max_flat_workgroup_size: 1024
    .name:           _ZN9rocsparseL33bsr2csr_block_per_row_8_32_kernelILj1024ELj16EdliEEv20rocsparse_direction_T3_S2_21rocsparse_index_base_PKT1_PKT2_PKS2_S2_S3_PS4_PS7_PS2_
    .private_segment_fixed_size: 0
    .sgpr_count:     28
    .sgpr_spill_count: 0
    .symbol:         _ZN9rocsparseL33bsr2csr_block_per_row_8_32_kernelILj1024ELj16EdliEEv20rocsparse_direction_T3_S2_21rocsparse_index_base_PKT1_PKT2_PKS2_S2_S3_PS4_PS7_PS2_.kd
    .uniform_work_group_size: 1
    .uses_dynamic_stack: false
    .vgpr_count:     18
    .vgpr_spill_count: 0
    .wavefront_size: 32
  - .args:
      - .offset:         0
        .size:           4
        .value_kind:     by_value
      - .offset:         4
        .size:           4
        .value_kind:     by_value
      - .offset:         8
        .size:           4
        .value_kind:     by_value
      - .offset:         12
        .size:           4
        .value_kind:     by_value
      - .actual_access:  read_only
        .address_space:  global
        .offset:         16
        .size:           8
        .value_kind:     global_buffer
      - .actual_access:  read_only
        .address_space:  global
        .offset:         24
        .size:           8
        .value_kind:     global_buffer
      - .actual_access:  read_only
        .address_space:  global
        .offset:         32
        .size:           8
        .value_kind:     global_buffer
      - .offset:         40
        .size:           4
        .value_kind:     by_value
      - .offset:         44
        .size:           4
        .value_kind:     by_value
      - .actual_access:  write_only
        .address_space:  global
        .offset:         48
        .size:           8
        .value_kind:     global_buffer
      - .actual_access:  write_only
        .address_space:  global
        .offset:         56
        .size:           8
        .value_kind:     global_buffer
      - .actual_access:  write_only
        .address_space:  global
        .offset:         64
        .size:           8
        .value_kind:     global_buffer
    .group_segment_fixed_size: 0
    .kernarg_segment_align: 8
    .kernarg_segment_size: 72
    .language:       OpenCL C
    .language_version:
      - 2
      - 0
    .max_flat_workgroup_size: 1024
    .name:           _ZN9rocsparseL33bsr2csr_block_per_row_8_32_kernelILj1024ELj32EdliEEv20rocsparse_direction_T3_S2_21rocsparse_index_base_PKT1_PKT2_PKS2_S2_S3_PS4_PS7_PS2_
    .private_segment_fixed_size: 0
    .sgpr_count:     30
    .sgpr_spill_count: 0
    .symbol:         _ZN9rocsparseL33bsr2csr_block_per_row_8_32_kernelILj1024ELj32EdliEEv20rocsparse_direction_T3_S2_21rocsparse_index_base_PKT1_PKT2_PKS2_S2_S3_PS4_PS7_PS2_.kd
    .uniform_work_group_size: 1
    .uses_dynamic_stack: false
    .vgpr_count:     14
    .vgpr_spill_count: 0
    .wavefront_size: 32
  - .args:
      - .offset:         0
        .size:           4
        .value_kind:     by_value
      - .offset:         4
        .size:           4
        .value_kind:     by_value
      - .offset:         8
        .size:           4
        .value_kind:     by_value
      - .offset:         12
        .size:           4
        .value_kind:     by_value
      - .actual_access:  read_only
        .address_space:  global
        .offset:         16
        .size:           8
        .value_kind:     global_buffer
      - .actual_access:  read_only
        .address_space:  global
        .offset:         24
        .size:           8
        .value_kind:     global_buffer
      - .actual_access:  read_only
        .address_space:  global
        .offset:         32
        .size:           8
        .value_kind:     global_buffer
      - .offset:         40
        .size:           4
        .value_kind:     by_value
      - .offset:         44
        .size:           4
        .value_kind:     by_value
      - .actual_access:  write_only
        .address_space:  global
        .offset:         48
        .size:           8
        .value_kind:     global_buffer
      - .actual_access:  write_only
        .address_space:  global
        .offset:         56
        .size:           8
        .value_kind:     global_buffer
      - .actual_access:  write_only
        .address_space:  global
        .offset:         64
        .size:           8
        .value_kind:     global_buffer
    .group_segment_fixed_size: 0
    .kernarg_segment_align: 8
    .kernarg_segment_size: 72
    .language:       OpenCL C
    .language_version:
      - 2
      - 0
    .max_flat_workgroup_size: 1024
    .name:           _ZN9rocsparseL35bsr2csr_block_per_row_33_256_kernelILj1024ELj64ELj32EdliEEv20rocsparse_direction_T4_S2_21rocsparse_index_base_PKT2_PKT3_PKS2_S2_S3_PS4_PS7_PS2_
    .private_segment_fixed_size: 0
    .sgpr_count:     36
    .sgpr_spill_count: 0
    .symbol:         _ZN9rocsparseL35bsr2csr_block_per_row_33_256_kernelILj1024ELj64ELj32EdliEEv20rocsparse_direction_T4_S2_21rocsparse_index_base_PKT2_PKT3_PKS2_S2_S3_PS4_PS7_PS2_.kd
    .uniform_work_group_size: 1
    .uses_dynamic_stack: false
    .vgpr_count:     32
    .vgpr_spill_count: 0
    .wavefront_size: 32
  - .args:
      - .offset:         0
        .size:           4
        .value_kind:     by_value
      - .offset:         4
        .size:           4
        .value_kind:     by_value
      - .offset:         8
        .size:           4
        .value_kind:     by_value
      - .offset:         12
        .size:           4
        .value_kind:     by_value
      - .actual_access:  read_only
        .address_space:  global
        .offset:         16
        .size:           8
        .value_kind:     global_buffer
      - .actual_access:  read_only
        .address_space:  global
        .offset:         24
        .size:           8
        .value_kind:     global_buffer
      - .actual_access:  read_only
        .address_space:  global
        .offset:         32
        .size:           8
        .value_kind:     global_buffer
      - .offset:         40
        .size:           4
        .value_kind:     by_value
      - .offset:         44
        .size:           4
        .value_kind:     by_value
      - .actual_access:  write_only
        .address_space:  global
        .offset:         48
        .size:           8
        .value_kind:     global_buffer
      - .actual_access:  write_only
        .address_space:  global
        .offset:         56
        .size:           8
        .value_kind:     global_buffer
      - .actual_access:  write_only
        .address_space:  global
        .offset:         64
        .size:           8
        .value_kind:     global_buffer
    .group_segment_fixed_size: 0
    .kernarg_segment_align: 8
    .kernarg_segment_size: 72
    .language:       OpenCL C
    .language_version:
      - 2
      - 0
    .max_flat_workgroup_size: 1024
    .name:           _ZN9rocsparseL35bsr2csr_block_per_row_33_256_kernelILj1024ELj128ELj32EdliEEv20rocsparse_direction_T4_S2_21rocsparse_index_base_PKT2_PKT3_PKS2_S2_S3_PS4_PS7_PS2_
    .private_segment_fixed_size: 0
    .sgpr_count:     49
    .sgpr_spill_count: 0
    .symbol:         _ZN9rocsparseL35bsr2csr_block_per_row_33_256_kernelILj1024ELj128ELj32EdliEEv20rocsparse_direction_T4_S2_21rocsparse_index_base_PKT2_PKT3_PKS2_S2_S3_PS4_PS7_PS2_.kd
    .uniform_work_group_size: 1
    .uses_dynamic_stack: false
    .vgpr_count:     58
    .vgpr_spill_count: 0
    .wavefront_size: 32
  - .args:
      - .offset:         0
        .size:           4
        .value_kind:     by_value
      - .offset:         4
        .size:           4
        .value_kind:     by_value
      - .offset:         8
        .size:           4
        .value_kind:     by_value
      - .offset:         12
        .size:           4
        .value_kind:     by_value
      - .actual_access:  read_only
        .address_space:  global
        .offset:         16
        .size:           8
        .value_kind:     global_buffer
      - .actual_access:  read_only
        .address_space:  global
        .offset:         24
        .size:           8
        .value_kind:     global_buffer
      - .actual_access:  read_only
        .address_space:  global
        .offset:         32
        .size:           8
        .value_kind:     global_buffer
      - .offset:         40
        .size:           4
        .value_kind:     by_value
      - .offset:         44
        .size:           4
        .value_kind:     by_value
      - .actual_access:  write_only
        .address_space:  global
        .offset:         48
        .size:           8
        .value_kind:     global_buffer
      - .actual_access:  write_only
        .address_space:  global
        .offset:         56
        .size:           8
        .value_kind:     global_buffer
      - .actual_access:  write_only
        .address_space:  global
        .offset:         64
        .size:           8
        .value_kind:     global_buffer
    .group_segment_fixed_size: 0
    .kernarg_segment_align: 8
    .kernarg_segment_size: 72
    .language:       OpenCL C
    .language_version:
      - 2
      - 0
    .max_flat_workgroup_size: 1024
    .name:           _ZN9rocsparseL35bsr2csr_block_per_row_33_256_kernelILj1024ELj256ELj32EdliEEv20rocsparse_direction_T4_S2_21rocsparse_index_base_PKT2_PKT3_PKS2_S2_S3_PS4_PS7_PS2_
    .private_segment_fixed_size: 0
    .sgpr_count:     95
    .sgpr_spill_count: 0
    .symbol:         _ZN9rocsparseL35bsr2csr_block_per_row_33_256_kernelILj1024ELj256ELj32EdliEEv20rocsparse_direction_T4_S2_21rocsparse_index_base_PKT2_PKT3_PKS2_S2_S3_PS4_PS7_PS2_.kd
    .uniform_work_group_size: 1
    .uses_dynamic_stack: false
    .vgpr_count:     96
    .vgpr_spill_count: 0
    .wavefront_size: 32
  - .args:
      - .offset:         0
        .size:           8
        .value_kind:     by_value
      - .offset:         8
        .size:           8
        .value_kind:     by_value
      - .offset:         16
        .size:           4
        .value_kind:     by_value
      - .actual_access:  read_only
        .address_space:  global
        .offset:         24
        .size:           8
        .value_kind:     global_buffer
      - .actual_access:  read_only
        .address_space:  global
        .offset:         32
        .size:           8
        .value_kind:     global_buffer
      - .actual_access:  read_only
        .address_space:  global
        .offset:         40
        .size:           8
        .value_kind:     global_buffer
      - .offset:         48
        .size:           4
        .value_kind:     by_value
      - .actual_access:  write_only
        .address_space:  global
        .offset:         56
        .size:           8
        .value_kind:     global_buffer
      - .actual_access:  write_only
        .address_space:  global
        .offset:         64
        .size:           8
        .value_kind:     global_buffer
      - .actual_access:  write_only
        .address_space:  global
        .offset:         72
        .size:           8
        .value_kind:     global_buffer
      - .offset:         80
        .size:           4
        .value_kind:     hidden_block_count_x
      - .offset:         84
        .size:           4
        .value_kind:     hidden_block_count_y
      - .offset:         88
        .size:           4
        .value_kind:     hidden_block_count_z
      - .offset:         92
        .size:           2
        .value_kind:     hidden_group_size_x
      - .offset:         94
        .size:           2
        .value_kind:     hidden_group_size_y
      - .offset:         96
        .size:           2
        .value_kind:     hidden_group_size_z
      - .offset:         98
        .size:           2
        .value_kind:     hidden_remainder_x
      - .offset:         100
        .size:           2
        .value_kind:     hidden_remainder_y
      - .offset:         102
        .size:           2
        .value_kind:     hidden_remainder_z
      - .offset:         120
        .size:           8
        .value_kind:     hidden_global_offset_x
      - .offset:         128
        .size:           8
        .value_kind:     hidden_global_offset_y
      - .offset:         136
        .size:           8
        .value_kind:     hidden_global_offset_z
      - .offset:         144
        .size:           2
        .value_kind:     hidden_grid_dims
    .group_segment_fixed_size: 0
    .kernarg_segment_align: 8
    .kernarg_segment_size: 336
    .language:       OpenCL C
    .language_version:
      - 2
      - 0
    .max_flat_workgroup_size: 1024
    .name:           _ZN9rocsparseL35bsr2csr_block_dim_equals_one_kernelILj1024EdilEEvT2_S1_21rocsparse_index_base_PKT0_PKT1_PKS1_S2_PS3_PS6_PS1_
    .private_segment_fixed_size: 0
    .sgpr_count:     20
    .sgpr_spill_count: 0
    .symbol:         _ZN9rocsparseL35bsr2csr_block_dim_equals_one_kernelILj1024EdilEEvT2_S1_21rocsparse_index_base_PKT0_PKT1_PKS1_S2_PS3_PS6_PS1_.kd
    .uniform_work_group_size: 1
    .uses_dynamic_stack: false
    .vgpr_count:     12
    .vgpr_spill_count: 0
    .wavefront_size: 32
  - .args:
      - .offset:         0
        .size:           4
        .value_kind:     by_value
      - .offset:         8
        .size:           8
        .value_kind:     by_value
      - .offset:         16
        .size:           8
        .value_kind:     by_value
      - .offset:         24
        .size:           4
        .value_kind:     by_value
      - .actual_access:  read_only
        .address_space:  global
        .offset:         32
        .size:           8
        .value_kind:     global_buffer
      - .actual_access:  read_only
        .address_space:  global
        .offset:         40
        .size:           8
        .value_kind:     global_buffer
      - .actual_access:  read_only
        .address_space:  global
        .offset:         48
        .size:           8
        .value_kind:     global_buffer
      - .offset:         56
        .size:           8
        .value_kind:     by_value
      - .offset:         64
        .size:           4
        .value_kind:     by_value
      - .actual_access:  write_only
        .address_space:  global
        .offset:         72
        .size:           8
        .value_kind:     global_buffer
      - .actual_access:  write_only
        .address_space:  global
        .offset:         80
        .size:           8
        .value_kind:     global_buffer
      - .actual_access:  write_only
        .address_space:  global
        .offset:         88
        .size:           8
        .value_kind:     global_buffer
    .group_segment_fixed_size: 0
    .kernarg_segment_align: 8
    .kernarg_segment_size: 96
    .language:       OpenCL C
    .language_version:
      - 2
      - 0
    .max_flat_workgroup_size: 256
    .name:           _ZN9rocsparseL32bsr2csr_block_per_row_2_7_kernelILj256ELj2EdilEEv20rocsparse_direction_T3_S2_21rocsparse_index_base_PKT1_PKT2_PKS2_S2_S3_PS4_PS7_PS2_
    .private_segment_fixed_size: 0
    .sgpr_count:     18
    .sgpr_spill_count: 0
    .symbol:         _ZN9rocsparseL32bsr2csr_block_per_row_2_7_kernelILj256ELj2EdilEEv20rocsparse_direction_T3_S2_21rocsparse_index_base_PKT1_PKT2_PKS2_S2_S3_PS4_PS7_PS2_.kd
    .uniform_work_group_size: 1
    .uses_dynamic_stack: false
    .vgpr_count:     22
    .vgpr_spill_count: 0
    .wavefront_size: 32
  - .args:
      - .offset:         0
        .size:           4
        .value_kind:     by_value
      - .offset:         8
        .size:           8
        .value_kind:     by_value
      - .offset:         16
        .size:           8
        .value_kind:     by_value
      - .offset:         24
        .size:           4
        .value_kind:     by_value
      - .actual_access:  read_only
        .address_space:  global
        .offset:         32
        .size:           8
        .value_kind:     global_buffer
      - .actual_access:  read_only
        .address_space:  global
        .offset:         40
        .size:           8
        .value_kind:     global_buffer
      - .actual_access:  read_only
        .address_space:  global
        .offset:         48
        .size:           8
        .value_kind:     global_buffer
      - .offset:         56
        .size:           8
        .value_kind:     by_value
      - .offset:         64
        .size:           4
        .value_kind:     by_value
      - .actual_access:  write_only
        .address_space:  global
        .offset:         72
        .size:           8
        .value_kind:     global_buffer
      - .actual_access:  write_only
        .address_space:  global
        .offset:         80
        .size:           8
        .value_kind:     global_buffer
      - .actual_access:  write_only
        .address_space:  global
        .offset:         88
        .size:           8
        .value_kind:     global_buffer
    .group_segment_fixed_size: 0
    .kernarg_segment_align: 8
    .kernarg_segment_size: 96
    .language:       OpenCL C
    .language_version:
      - 2
      - 0
    .max_flat_workgroup_size: 256
    .name:           _ZN9rocsparseL32bsr2csr_block_per_row_2_7_kernelILj256ELj3EdilEEv20rocsparse_direction_T3_S2_21rocsparse_index_base_PKT1_PKT2_PKS2_S2_S3_PS4_PS7_PS2_
    .private_segment_fixed_size: 0
    .sgpr_count:     18
    .sgpr_spill_count: 0
    .symbol:         _ZN9rocsparseL32bsr2csr_block_per_row_2_7_kernelILj256ELj3EdilEEv20rocsparse_direction_T3_S2_21rocsparse_index_base_PKT1_PKT2_PKS2_S2_S3_PS4_PS7_PS2_.kd
    .uniform_work_group_size: 1
    .uses_dynamic_stack: false
    .vgpr_count:     26
    .vgpr_spill_count: 0
    .wavefront_size: 32
  - .args:
      - .offset:         0
        .size:           4
        .value_kind:     by_value
      - .offset:         8
        .size:           8
        .value_kind:     by_value
      - .offset:         16
        .size:           8
        .value_kind:     by_value
      - .offset:         24
        .size:           4
        .value_kind:     by_value
      - .actual_access:  read_only
        .address_space:  global
        .offset:         32
        .size:           8
        .value_kind:     global_buffer
      - .actual_access:  read_only
        .address_space:  global
        .offset:         40
        .size:           8
        .value_kind:     global_buffer
      - .actual_access:  read_only
        .address_space:  global
        .offset:         48
        .size:           8
        .value_kind:     global_buffer
      - .offset:         56
        .size:           8
        .value_kind:     by_value
      - .offset:         64
        .size:           4
        .value_kind:     by_value
      - .actual_access:  write_only
        .address_space:  global
        .offset:         72
        .size:           8
        .value_kind:     global_buffer
      - .actual_access:  write_only
        .address_space:  global
        .offset:         80
        .size:           8
        .value_kind:     global_buffer
      - .actual_access:  write_only
        .address_space:  global
        .offset:         88
        .size:           8
        .value_kind:     global_buffer
    .group_segment_fixed_size: 0
    .kernarg_segment_align: 8
    .kernarg_segment_size: 96
    .language:       OpenCL C
    .language_version:
      - 2
      - 0
    .max_flat_workgroup_size: 256
    .name:           _ZN9rocsparseL32bsr2csr_block_per_row_2_7_kernelILj256ELj4EdilEEv20rocsparse_direction_T3_S2_21rocsparse_index_base_PKT1_PKT2_PKS2_S2_S3_PS4_PS7_PS2_
    .private_segment_fixed_size: 0
    .sgpr_count:     18
    .sgpr_spill_count: 0
    .symbol:         _ZN9rocsparseL32bsr2csr_block_per_row_2_7_kernelILj256ELj4EdilEEv20rocsparse_direction_T3_S2_21rocsparse_index_base_PKT1_PKT2_PKS2_S2_S3_PS4_PS7_PS2_.kd
    .uniform_work_group_size: 1
    .uses_dynamic_stack: false
    .vgpr_count:     32
    .vgpr_spill_count: 0
    .wavefront_size: 32
  - .args:
      - .offset:         0
        .size:           4
        .value_kind:     by_value
      - .offset:         8
        .size:           8
        .value_kind:     by_value
      - .offset:         16
        .size:           8
        .value_kind:     by_value
      - .offset:         24
        .size:           4
        .value_kind:     by_value
      - .actual_access:  read_only
        .address_space:  global
        .offset:         32
        .size:           8
        .value_kind:     global_buffer
      - .actual_access:  read_only
        .address_space:  global
        .offset:         40
        .size:           8
        .value_kind:     global_buffer
      - .actual_access:  read_only
        .address_space:  global
        .offset:         48
        .size:           8
        .value_kind:     global_buffer
      - .offset:         56
        .size:           8
        .value_kind:     by_value
      - .offset:         64
        .size:           4
        .value_kind:     by_value
      - .actual_access:  write_only
        .address_space:  global
        .offset:         72
        .size:           8
        .value_kind:     global_buffer
      - .actual_access:  write_only
        .address_space:  global
        .offset:         80
        .size:           8
        .value_kind:     global_buffer
      - .actual_access:  write_only
        .address_space:  global
        .offset:         88
        .size:           8
        .value_kind:     global_buffer
    .group_segment_fixed_size: 0
    .kernarg_segment_align: 8
    .kernarg_segment_size: 96
    .language:       OpenCL C
    .language_version:
      - 2
      - 0
    .max_flat_workgroup_size: 256
    .name:           _ZN9rocsparseL32bsr2csr_block_per_row_2_7_kernelILj256ELj5EdilEEv20rocsparse_direction_T3_S2_21rocsparse_index_base_PKT1_PKT2_PKS2_S2_S3_PS4_PS7_PS2_
    .private_segment_fixed_size: 0
    .sgpr_count:     18
    .sgpr_spill_count: 0
    .symbol:         _ZN9rocsparseL32bsr2csr_block_per_row_2_7_kernelILj256ELj5EdilEEv20rocsparse_direction_T3_S2_21rocsparse_index_base_PKT1_PKT2_PKS2_S2_S3_PS4_PS7_PS2_.kd
    .uniform_work_group_size: 1
    .uses_dynamic_stack: false
    .vgpr_count:     34
    .vgpr_spill_count: 0
    .wavefront_size: 32
  - .args:
      - .offset:         0
        .size:           4
        .value_kind:     by_value
      - .offset:         8
        .size:           8
        .value_kind:     by_value
      - .offset:         16
        .size:           8
        .value_kind:     by_value
      - .offset:         24
        .size:           4
        .value_kind:     by_value
      - .actual_access:  read_only
        .address_space:  global
        .offset:         32
        .size:           8
        .value_kind:     global_buffer
      - .actual_access:  read_only
        .address_space:  global
        .offset:         40
        .size:           8
        .value_kind:     global_buffer
      - .actual_access:  read_only
        .address_space:  global
        .offset:         48
        .size:           8
        .value_kind:     global_buffer
      - .offset:         56
        .size:           8
        .value_kind:     by_value
      - .offset:         64
        .size:           4
        .value_kind:     by_value
      - .actual_access:  write_only
        .address_space:  global
        .offset:         72
        .size:           8
        .value_kind:     global_buffer
      - .actual_access:  write_only
        .address_space:  global
        .offset:         80
        .size:           8
        .value_kind:     global_buffer
      - .actual_access:  write_only
        .address_space:  global
        .offset:         88
        .size:           8
        .value_kind:     global_buffer
    .group_segment_fixed_size: 0
    .kernarg_segment_align: 8
    .kernarg_segment_size: 96
    .language:       OpenCL C
    .language_version:
      - 2
      - 0
    .max_flat_workgroup_size: 256
    .name:           _ZN9rocsparseL32bsr2csr_block_per_row_2_7_kernelILj256ELj6EdilEEv20rocsparse_direction_T3_S2_21rocsparse_index_base_PKT1_PKT2_PKS2_S2_S3_PS4_PS7_PS2_
    .private_segment_fixed_size: 0
    .sgpr_count:     18
    .sgpr_spill_count: 0
    .symbol:         _ZN9rocsparseL32bsr2csr_block_per_row_2_7_kernelILj256ELj6EdilEEv20rocsparse_direction_T3_S2_21rocsparse_index_base_PKT1_PKT2_PKS2_S2_S3_PS4_PS7_PS2_.kd
    .uniform_work_group_size: 1
    .uses_dynamic_stack: false
    .vgpr_count:     38
    .vgpr_spill_count: 0
    .wavefront_size: 32
  - .args:
      - .offset:         0
        .size:           4
        .value_kind:     by_value
      - .offset:         8
        .size:           8
        .value_kind:     by_value
      - .offset:         16
        .size:           8
        .value_kind:     by_value
      - .offset:         24
        .size:           4
        .value_kind:     by_value
      - .actual_access:  read_only
        .address_space:  global
        .offset:         32
        .size:           8
        .value_kind:     global_buffer
      - .actual_access:  read_only
        .address_space:  global
        .offset:         40
        .size:           8
        .value_kind:     global_buffer
      - .actual_access:  read_only
        .address_space:  global
        .offset:         48
        .size:           8
        .value_kind:     global_buffer
      - .offset:         56
        .size:           8
        .value_kind:     by_value
      - .offset:         64
        .size:           4
        .value_kind:     by_value
      - .actual_access:  write_only
        .address_space:  global
        .offset:         72
        .size:           8
        .value_kind:     global_buffer
      - .actual_access:  write_only
        .address_space:  global
        .offset:         80
        .size:           8
        .value_kind:     global_buffer
      - .actual_access:  write_only
        .address_space:  global
        .offset:         88
        .size:           8
        .value_kind:     global_buffer
    .group_segment_fixed_size: 0
    .kernarg_segment_align: 8
    .kernarg_segment_size: 96
    .language:       OpenCL C
    .language_version:
      - 2
      - 0
    .max_flat_workgroup_size: 256
    .name:           _ZN9rocsparseL32bsr2csr_block_per_row_2_7_kernelILj256ELj7EdilEEv20rocsparse_direction_T3_S2_21rocsparse_index_base_PKT1_PKT2_PKS2_S2_S3_PS4_PS7_PS2_
    .private_segment_fixed_size: 0
    .sgpr_count:     18
    .sgpr_spill_count: 0
    .symbol:         _ZN9rocsparseL32bsr2csr_block_per_row_2_7_kernelILj256ELj7EdilEEv20rocsparse_direction_T3_S2_21rocsparse_index_base_PKT1_PKT2_PKS2_S2_S3_PS4_PS7_PS2_.kd
    .uniform_work_group_size: 1
    .uses_dynamic_stack: false
    .vgpr_count:     42
    .vgpr_spill_count: 0
    .wavefront_size: 32
  - .args:
      - .offset:         0
        .size:           4
        .value_kind:     by_value
      - .offset:         8
        .size:           8
        .value_kind:     by_value
      - .offset:         16
        .size:           8
        .value_kind:     by_value
      - .offset:         24
        .size:           4
        .value_kind:     by_value
      - .actual_access:  read_only
        .address_space:  global
        .offset:         32
        .size:           8
        .value_kind:     global_buffer
      - .actual_access:  read_only
        .address_space:  global
        .offset:         40
        .size:           8
        .value_kind:     global_buffer
      - .actual_access:  read_only
        .address_space:  global
        .offset:         48
        .size:           8
        .value_kind:     global_buffer
      - .offset:         56
        .size:           8
        .value_kind:     by_value
      - .offset:         64
        .size:           4
        .value_kind:     by_value
      - .actual_access:  write_only
        .address_space:  global
        .offset:         72
        .size:           8
        .value_kind:     global_buffer
      - .actual_access:  write_only
        .address_space:  global
        .offset:         80
        .size:           8
        .value_kind:     global_buffer
      - .actual_access:  write_only
        .address_space:  global
        .offset:         88
        .size:           8
        .value_kind:     global_buffer
    .group_segment_fixed_size: 0
    .kernarg_segment_align: 8
    .kernarg_segment_size: 96
    .language:       OpenCL C
    .language_version:
      - 2
      - 0
    .max_flat_workgroup_size: 1024
    .name:           _ZN9rocsparseL33bsr2csr_block_per_row_8_32_kernelILj1024ELj8EdilEEv20rocsparse_direction_T3_S2_21rocsparse_index_base_PKT1_PKT2_PKS2_S2_S3_PS4_PS7_PS2_
    .private_segment_fixed_size: 0
    .sgpr_count:     22
    .sgpr_spill_count: 0
    .symbol:         _ZN9rocsparseL33bsr2csr_block_per_row_8_32_kernelILj1024ELj8EdilEEv20rocsparse_direction_T3_S2_21rocsparse_index_base_PKT1_PKT2_PKS2_S2_S3_PS4_PS7_PS2_.kd
    .uniform_work_group_size: 1
    .uses_dynamic_stack: false
    .vgpr_count:     16
    .vgpr_spill_count: 0
    .wavefront_size: 32
  - .args:
      - .offset:         0
        .size:           4
        .value_kind:     by_value
      - .offset:         8
        .size:           8
        .value_kind:     by_value
      - .offset:         16
        .size:           8
        .value_kind:     by_value
      - .offset:         24
        .size:           4
        .value_kind:     by_value
      - .actual_access:  read_only
        .address_space:  global
        .offset:         32
        .size:           8
        .value_kind:     global_buffer
      - .actual_access:  read_only
        .address_space:  global
        .offset:         40
        .size:           8
        .value_kind:     global_buffer
      - .actual_access:  read_only
        .address_space:  global
        .offset:         48
        .size:           8
        .value_kind:     global_buffer
      - .offset:         56
        .size:           8
        .value_kind:     by_value
      - .offset:         64
        .size:           4
        .value_kind:     by_value
      - .actual_access:  write_only
        .address_space:  global
        .offset:         72
        .size:           8
        .value_kind:     global_buffer
      - .actual_access:  write_only
        .address_space:  global
        .offset:         80
        .size:           8
        .value_kind:     global_buffer
      - .actual_access:  write_only
        .address_space:  global
        .offset:         88
        .size:           8
        .value_kind:     global_buffer
    .group_segment_fixed_size: 0
    .kernarg_segment_align: 8
    .kernarg_segment_size: 96
    .language:       OpenCL C
    .language_version:
      - 2
      - 0
    .max_flat_workgroup_size: 1024
    .name:           _ZN9rocsparseL33bsr2csr_block_per_row_8_32_kernelILj1024ELj16EdilEEv20rocsparse_direction_T3_S2_21rocsparse_index_base_PKT1_PKT2_PKS2_S2_S3_PS4_PS7_PS2_
    .private_segment_fixed_size: 0
    .sgpr_count:     22
    .sgpr_spill_count: 0
    .symbol:         _ZN9rocsparseL33bsr2csr_block_per_row_8_32_kernelILj1024ELj16EdilEEv20rocsparse_direction_T3_S2_21rocsparse_index_base_PKT1_PKT2_PKS2_S2_S3_PS4_PS7_PS2_.kd
    .uniform_work_group_size: 1
    .uses_dynamic_stack: false
    .vgpr_count:     16
    .vgpr_spill_count: 0
    .wavefront_size: 32
  - .args:
      - .offset:         0
        .size:           4
        .value_kind:     by_value
      - .offset:         8
        .size:           8
        .value_kind:     by_value
      - .offset:         16
        .size:           8
        .value_kind:     by_value
      - .offset:         24
        .size:           4
        .value_kind:     by_value
      - .actual_access:  read_only
        .address_space:  global
        .offset:         32
        .size:           8
        .value_kind:     global_buffer
      - .actual_access:  read_only
        .address_space:  global
        .offset:         40
        .size:           8
        .value_kind:     global_buffer
      - .actual_access:  read_only
        .address_space:  global
        .offset:         48
        .size:           8
        .value_kind:     global_buffer
      - .offset:         56
        .size:           8
        .value_kind:     by_value
      - .offset:         64
        .size:           4
        .value_kind:     by_value
      - .actual_access:  write_only
        .address_space:  global
        .offset:         72
        .size:           8
        .value_kind:     global_buffer
      - .actual_access:  write_only
        .address_space:  global
        .offset:         80
        .size:           8
        .value_kind:     global_buffer
      - .actual_access:  write_only
        .address_space:  global
        .offset:         88
        .size:           8
        .value_kind:     global_buffer
    .group_segment_fixed_size: 0
    .kernarg_segment_align: 8
    .kernarg_segment_size: 96
    .language:       OpenCL C
    .language_version:
      - 2
      - 0
    .max_flat_workgroup_size: 1024
    .name:           _ZN9rocsparseL33bsr2csr_block_per_row_8_32_kernelILj1024ELj32EdilEEv20rocsparse_direction_T3_S2_21rocsparse_index_base_PKT1_PKT2_PKS2_S2_S3_PS4_PS7_PS2_
    .private_segment_fixed_size: 0
    .sgpr_count:     24
    .sgpr_spill_count: 0
    .symbol:         _ZN9rocsparseL33bsr2csr_block_per_row_8_32_kernelILj1024ELj32EdilEEv20rocsparse_direction_T3_S2_21rocsparse_index_base_PKT1_PKT2_PKS2_S2_S3_PS4_PS7_PS2_.kd
    .uniform_work_group_size: 1
    .uses_dynamic_stack: false
    .vgpr_count:     14
    .vgpr_spill_count: 0
    .wavefront_size: 32
  - .args:
      - .offset:         0
        .size:           4
        .value_kind:     by_value
      - .offset:         8
        .size:           8
        .value_kind:     by_value
      - .offset:         16
        .size:           8
        .value_kind:     by_value
      - .offset:         24
        .size:           4
        .value_kind:     by_value
      - .actual_access:  read_only
        .address_space:  global
        .offset:         32
        .size:           8
        .value_kind:     global_buffer
      - .actual_access:  read_only
        .address_space:  global
        .offset:         40
        .size:           8
        .value_kind:     global_buffer
      - .actual_access:  read_only
        .address_space:  global
        .offset:         48
        .size:           8
        .value_kind:     global_buffer
      - .offset:         56
        .size:           8
        .value_kind:     by_value
      - .offset:         64
        .size:           4
        .value_kind:     by_value
      - .actual_access:  write_only
        .address_space:  global
        .offset:         72
        .size:           8
        .value_kind:     global_buffer
      - .actual_access:  write_only
        .address_space:  global
        .offset:         80
        .size:           8
        .value_kind:     global_buffer
      - .actual_access:  write_only
        .address_space:  global
        .offset:         88
        .size:           8
        .value_kind:     global_buffer
    .group_segment_fixed_size: 0
    .kernarg_segment_align: 8
    .kernarg_segment_size: 96
    .language:       OpenCL C
    .language_version:
      - 2
      - 0
    .max_flat_workgroup_size: 1024
    .name:           _ZN9rocsparseL35bsr2csr_block_per_row_33_256_kernelILj1024ELj64ELj32EdilEEv20rocsparse_direction_T4_S2_21rocsparse_index_base_PKT2_PKT3_PKS2_S2_S3_PS4_PS7_PS2_
    .private_segment_fixed_size: 0
    .sgpr_count:     30
    .sgpr_spill_count: 0
    .symbol:         _ZN9rocsparseL35bsr2csr_block_per_row_33_256_kernelILj1024ELj64ELj32EdilEEv20rocsparse_direction_T4_S2_21rocsparse_index_base_PKT2_PKT3_PKS2_S2_S3_PS4_PS7_PS2_.kd
    .uniform_work_group_size: 1
    .uses_dynamic_stack: false
    .vgpr_count:     34
    .vgpr_spill_count: 0
    .wavefront_size: 32
  - .args:
      - .offset:         0
        .size:           4
        .value_kind:     by_value
      - .offset:         8
        .size:           8
        .value_kind:     by_value
      - .offset:         16
        .size:           8
        .value_kind:     by_value
      - .offset:         24
        .size:           4
        .value_kind:     by_value
      - .actual_access:  read_only
        .address_space:  global
        .offset:         32
        .size:           8
        .value_kind:     global_buffer
      - .actual_access:  read_only
        .address_space:  global
        .offset:         40
        .size:           8
        .value_kind:     global_buffer
      - .actual_access:  read_only
        .address_space:  global
        .offset:         48
        .size:           8
        .value_kind:     global_buffer
      - .offset:         56
        .size:           8
        .value_kind:     by_value
      - .offset:         64
        .size:           4
        .value_kind:     by_value
      - .actual_access:  write_only
        .address_space:  global
        .offset:         72
        .size:           8
        .value_kind:     global_buffer
      - .actual_access:  write_only
        .address_space:  global
        .offset:         80
        .size:           8
        .value_kind:     global_buffer
      - .actual_access:  write_only
        .address_space:  global
        .offset:         88
        .size:           8
        .value_kind:     global_buffer
    .group_segment_fixed_size: 0
    .kernarg_segment_align: 8
    .kernarg_segment_size: 96
    .language:       OpenCL C
    .language_version:
      - 2
      - 0
    .max_flat_workgroup_size: 1024
    .name:           _ZN9rocsparseL35bsr2csr_block_per_row_33_256_kernelILj1024ELj128ELj32EdilEEv20rocsparse_direction_T4_S2_21rocsparse_index_base_PKT2_PKT3_PKS2_S2_S3_PS4_PS7_PS2_
    .private_segment_fixed_size: 0
    .sgpr_count:     47
    .sgpr_spill_count: 0
    .symbol:         _ZN9rocsparseL35bsr2csr_block_per_row_33_256_kernelILj1024ELj128ELj32EdilEEv20rocsparse_direction_T4_S2_21rocsparse_index_base_PKT2_PKT3_PKS2_S2_S3_PS4_PS7_PS2_.kd
    .uniform_work_group_size: 1
    .uses_dynamic_stack: false
    .vgpr_count:     60
    .vgpr_spill_count: 0
    .wavefront_size: 32
  - .args:
      - .offset:         0
        .size:           4
        .value_kind:     by_value
      - .offset:         8
        .size:           8
        .value_kind:     by_value
      - .offset:         16
        .size:           8
        .value_kind:     by_value
      - .offset:         24
        .size:           4
        .value_kind:     by_value
      - .actual_access:  read_only
        .address_space:  global
        .offset:         32
        .size:           8
        .value_kind:     global_buffer
      - .actual_access:  read_only
        .address_space:  global
        .offset:         40
        .size:           8
        .value_kind:     global_buffer
      - .actual_access:  read_only
        .address_space:  global
        .offset:         48
        .size:           8
        .value_kind:     global_buffer
      - .offset:         56
        .size:           8
        .value_kind:     by_value
      - .offset:         64
        .size:           4
        .value_kind:     by_value
      - .actual_access:  write_only
        .address_space:  global
        .offset:         72
        .size:           8
        .value_kind:     global_buffer
      - .actual_access:  write_only
        .address_space:  global
        .offset:         80
        .size:           8
        .value_kind:     global_buffer
      - .actual_access:  write_only
        .address_space:  global
        .offset:         88
        .size:           8
        .value_kind:     global_buffer
    .group_segment_fixed_size: 0
    .kernarg_segment_align: 8
    .kernarg_segment_size: 96
    .language:       OpenCL C
    .language_version:
      - 2
      - 0
    .max_flat_workgroup_size: 1024
    .name:           _ZN9rocsparseL35bsr2csr_block_per_row_33_256_kernelILj1024ELj256ELj32EdilEEv20rocsparse_direction_T4_S2_21rocsparse_index_base_PKT2_PKT3_PKS2_S2_S3_PS4_PS7_PS2_
    .private_segment_fixed_size: 0
    .sgpr_count:     97
    .sgpr_spill_count: 0
    .symbol:         _ZN9rocsparseL35bsr2csr_block_per_row_33_256_kernelILj1024ELj256ELj32EdilEEv20rocsparse_direction_T4_S2_21rocsparse_index_base_PKT2_PKT3_PKS2_S2_S3_PS4_PS7_PS2_.kd
    .uniform_work_group_size: 1
    .uses_dynamic_stack: false
    .vgpr_count:     108
    .vgpr_spill_count: 0
    .wavefront_size: 32
  - .args:
      - .offset:         0
        .size:           8
        .value_kind:     by_value
      - .offset:         8
        .size:           8
        .value_kind:     by_value
      - .offset:         16
        .size:           4
        .value_kind:     by_value
      - .actual_access:  read_only
        .address_space:  global
        .offset:         24
        .size:           8
        .value_kind:     global_buffer
      - .actual_access:  read_only
        .address_space:  global
        .offset:         32
        .size:           8
        .value_kind:     global_buffer
      - .actual_access:  read_only
        .address_space:  global
        .offset:         40
        .size:           8
        .value_kind:     global_buffer
      - .offset:         48
        .size:           4
        .value_kind:     by_value
      - .actual_access:  write_only
        .address_space:  global
        .offset:         56
        .size:           8
        .value_kind:     global_buffer
      - .actual_access:  write_only
        .address_space:  global
        .offset:         64
        .size:           8
        .value_kind:     global_buffer
      - .actual_access:  write_only
        .address_space:  global
        .offset:         72
        .size:           8
        .value_kind:     global_buffer
      - .offset:         80
        .size:           4
        .value_kind:     hidden_block_count_x
      - .offset:         84
        .size:           4
        .value_kind:     hidden_block_count_y
      - .offset:         88
        .size:           4
        .value_kind:     hidden_block_count_z
      - .offset:         92
        .size:           2
        .value_kind:     hidden_group_size_x
      - .offset:         94
        .size:           2
        .value_kind:     hidden_group_size_y
      - .offset:         96
        .size:           2
        .value_kind:     hidden_group_size_z
      - .offset:         98
        .size:           2
        .value_kind:     hidden_remainder_x
      - .offset:         100
        .size:           2
        .value_kind:     hidden_remainder_y
      - .offset:         102
        .size:           2
        .value_kind:     hidden_remainder_z
      - .offset:         120
        .size:           8
        .value_kind:     hidden_global_offset_x
      - .offset:         128
        .size:           8
        .value_kind:     hidden_global_offset_y
      - .offset:         136
        .size:           8
        .value_kind:     hidden_global_offset_z
      - .offset:         144
        .size:           2
        .value_kind:     hidden_grid_dims
    .group_segment_fixed_size: 0
    .kernarg_segment_align: 8
    .kernarg_segment_size: 336
    .language:       OpenCL C
    .language_version:
      - 2
      - 0
    .max_flat_workgroup_size: 1024
    .name:           _ZN9rocsparseL35bsr2csr_block_dim_equals_one_kernelILj1024EdllEEvT2_S1_21rocsparse_index_base_PKT0_PKT1_PKS1_S2_PS3_PS6_PS1_
    .private_segment_fixed_size: 0
    .sgpr_count:     24
    .sgpr_spill_count: 0
    .symbol:         _ZN9rocsparseL35bsr2csr_block_dim_equals_one_kernelILj1024EdllEEvT2_S1_21rocsparse_index_base_PKT0_PKT1_PKS1_S2_PS3_PS6_PS1_.kd
    .uniform_work_group_size: 1
    .uses_dynamic_stack: false
    .vgpr_count:     12
    .vgpr_spill_count: 0
    .wavefront_size: 32
  - .args:
      - .offset:         0
        .size:           4
        .value_kind:     by_value
      - .offset:         8
        .size:           8
        .value_kind:     by_value
      - .offset:         16
        .size:           8
        .value_kind:     by_value
      - .offset:         24
        .size:           4
        .value_kind:     by_value
      - .actual_access:  read_only
        .address_space:  global
        .offset:         32
        .size:           8
        .value_kind:     global_buffer
      - .actual_access:  read_only
        .address_space:  global
        .offset:         40
        .size:           8
        .value_kind:     global_buffer
      - .actual_access:  read_only
        .address_space:  global
        .offset:         48
        .size:           8
        .value_kind:     global_buffer
      - .offset:         56
        .size:           8
        .value_kind:     by_value
      - .offset:         64
        .size:           4
        .value_kind:     by_value
      - .actual_access:  write_only
        .address_space:  global
        .offset:         72
        .size:           8
        .value_kind:     global_buffer
      - .actual_access:  write_only
        .address_space:  global
        .offset:         80
        .size:           8
        .value_kind:     global_buffer
      - .actual_access:  write_only
        .address_space:  global
        .offset:         88
        .size:           8
        .value_kind:     global_buffer
    .group_segment_fixed_size: 0
    .kernarg_segment_align: 8
    .kernarg_segment_size: 96
    .language:       OpenCL C
    .language_version:
      - 2
      - 0
    .max_flat_workgroup_size: 256
    .name:           _ZN9rocsparseL32bsr2csr_block_per_row_2_7_kernelILj256ELj2EdllEEv20rocsparse_direction_T3_S2_21rocsparse_index_base_PKT1_PKT2_PKS2_S2_S3_PS4_PS7_PS2_
    .private_segment_fixed_size: 0
    .sgpr_count:     20
    .sgpr_spill_count: 0
    .symbol:         _ZN9rocsparseL32bsr2csr_block_per_row_2_7_kernelILj256ELj2EdllEEv20rocsparse_direction_T3_S2_21rocsparse_index_base_PKT1_PKT2_PKS2_S2_S3_PS4_PS7_PS2_.kd
    .uniform_work_group_size: 1
    .uses_dynamic_stack: false
    .vgpr_count:     26
    .vgpr_spill_count: 0
    .wavefront_size: 32
  - .args:
      - .offset:         0
        .size:           4
        .value_kind:     by_value
      - .offset:         8
        .size:           8
        .value_kind:     by_value
      - .offset:         16
        .size:           8
        .value_kind:     by_value
      - .offset:         24
        .size:           4
        .value_kind:     by_value
      - .actual_access:  read_only
        .address_space:  global
        .offset:         32
        .size:           8
        .value_kind:     global_buffer
      - .actual_access:  read_only
        .address_space:  global
        .offset:         40
        .size:           8
        .value_kind:     global_buffer
      - .actual_access:  read_only
        .address_space:  global
        .offset:         48
        .size:           8
        .value_kind:     global_buffer
      - .offset:         56
        .size:           8
        .value_kind:     by_value
      - .offset:         64
        .size:           4
        .value_kind:     by_value
      - .actual_access:  write_only
        .address_space:  global
        .offset:         72
        .size:           8
        .value_kind:     global_buffer
      - .actual_access:  write_only
        .address_space:  global
        .offset:         80
        .size:           8
        .value_kind:     global_buffer
      - .actual_access:  write_only
        .address_space:  global
        .offset:         88
        .size:           8
        .value_kind:     global_buffer
    .group_segment_fixed_size: 0
    .kernarg_segment_align: 8
    .kernarg_segment_size: 96
    .language:       OpenCL C
    .language_version:
      - 2
      - 0
    .max_flat_workgroup_size: 256
    .name:           _ZN9rocsparseL32bsr2csr_block_per_row_2_7_kernelILj256ELj3EdllEEv20rocsparse_direction_T3_S2_21rocsparse_index_base_PKT1_PKT2_PKS2_S2_S3_PS4_PS7_PS2_
    .private_segment_fixed_size: 0
    .sgpr_count:     20
    .sgpr_spill_count: 0
    .symbol:         _ZN9rocsparseL32bsr2csr_block_per_row_2_7_kernelILj256ELj3EdllEEv20rocsparse_direction_T3_S2_21rocsparse_index_base_PKT1_PKT2_PKS2_S2_S3_PS4_PS7_PS2_.kd
    .uniform_work_group_size: 1
    .uses_dynamic_stack: false
    .vgpr_count:     28
    .vgpr_spill_count: 0
    .wavefront_size: 32
  - .args:
      - .offset:         0
        .size:           4
        .value_kind:     by_value
      - .offset:         8
        .size:           8
        .value_kind:     by_value
      - .offset:         16
        .size:           8
        .value_kind:     by_value
      - .offset:         24
        .size:           4
        .value_kind:     by_value
      - .actual_access:  read_only
        .address_space:  global
        .offset:         32
        .size:           8
        .value_kind:     global_buffer
      - .actual_access:  read_only
        .address_space:  global
        .offset:         40
        .size:           8
        .value_kind:     global_buffer
      - .actual_access:  read_only
        .address_space:  global
        .offset:         48
        .size:           8
        .value_kind:     global_buffer
      - .offset:         56
        .size:           8
        .value_kind:     by_value
      - .offset:         64
        .size:           4
        .value_kind:     by_value
      - .actual_access:  write_only
        .address_space:  global
        .offset:         72
        .size:           8
        .value_kind:     global_buffer
      - .actual_access:  write_only
        .address_space:  global
        .offset:         80
        .size:           8
        .value_kind:     global_buffer
      - .actual_access:  write_only
        .address_space:  global
        .offset:         88
        .size:           8
        .value_kind:     global_buffer
    .group_segment_fixed_size: 0
    .kernarg_segment_align: 8
    .kernarg_segment_size: 96
    .language:       OpenCL C
    .language_version:
      - 2
      - 0
    .max_flat_workgroup_size: 256
    .name:           _ZN9rocsparseL32bsr2csr_block_per_row_2_7_kernelILj256ELj4EdllEEv20rocsparse_direction_T3_S2_21rocsparse_index_base_PKT1_PKT2_PKS2_S2_S3_PS4_PS7_PS2_
    .private_segment_fixed_size: 0
    .sgpr_count:     20
    .sgpr_spill_count: 0
    .symbol:         _ZN9rocsparseL32bsr2csr_block_per_row_2_7_kernelILj256ELj4EdllEEv20rocsparse_direction_T3_S2_21rocsparse_index_base_PKT1_PKT2_PKS2_S2_S3_PS4_PS7_PS2_.kd
    .uniform_work_group_size: 1
    .uses_dynamic_stack: false
    .vgpr_count:     30
    .vgpr_spill_count: 0
    .wavefront_size: 32
  - .args:
      - .offset:         0
        .size:           4
        .value_kind:     by_value
      - .offset:         8
        .size:           8
        .value_kind:     by_value
      - .offset:         16
        .size:           8
        .value_kind:     by_value
      - .offset:         24
        .size:           4
        .value_kind:     by_value
      - .actual_access:  read_only
        .address_space:  global
        .offset:         32
        .size:           8
        .value_kind:     global_buffer
      - .actual_access:  read_only
        .address_space:  global
        .offset:         40
        .size:           8
        .value_kind:     global_buffer
      - .actual_access:  read_only
        .address_space:  global
        .offset:         48
        .size:           8
        .value_kind:     global_buffer
      - .offset:         56
        .size:           8
        .value_kind:     by_value
      - .offset:         64
        .size:           4
        .value_kind:     by_value
      - .actual_access:  write_only
        .address_space:  global
        .offset:         72
        .size:           8
        .value_kind:     global_buffer
      - .actual_access:  write_only
        .address_space:  global
        .offset:         80
        .size:           8
        .value_kind:     global_buffer
      - .actual_access:  write_only
        .address_space:  global
        .offset:         88
        .size:           8
        .value_kind:     global_buffer
    .group_segment_fixed_size: 0
    .kernarg_segment_align: 8
    .kernarg_segment_size: 96
    .language:       OpenCL C
    .language_version:
      - 2
      - 0
    .max_flat_workgroup_size: 256
    .name:           _ZN9rocsparseL32bsr2csr_block_per_row_2_7_kernelILj256ELj5EdllEEv20rocsparse_direction_T3_S2_21rocsparse_index_base_PKT1_PKT2_PKS2_S2_S3_PS4_PS7_PS2_
    .private_segment_fixed_size: 0
    .sgpr_count:     20
    .sgpr_spill_count: 0
    .symbol:         _ZN9rocsparseL32bsr2csr_block_per_row_2_7_kernelILj256ELj5EdllEEv20rocsparse_direction_T3_S2_21rocsparse_index_base_PKT1_PKT2_PKS2_S2_S3_PS4_PS7_PS2_.kd
    .uniform_work_group_size: 1
    .uses_dynamic_stack: false
    .vgpr_count:     36
    .vgpr_spill_count: 0
    .wavefront_size: 32
  - .args:
      - .offset:         0
        .size:           4
        .value_kind:     by_value
      - .offset:         8
        .size:           8
        .value_kind:     by_value
      - .offset:         16
        .size:           8
        .value_kind:     by_value
      - .offset:         24
        .size:           4
        .value_kind:     by_value
      - .actual_access:  read_only
        .address_space:  global
        .offset:         32
        .size:           8
        .value_kind:     global_buffer
      - .actual_access:  read_only
        .address_space:  global
        .offset:         40
        .size:           8
        .value_kind:     global_buffer
      - .actual_access:  read_only
        .address_space:  global
        .offset:         48
        .size:           8
        .value_kind:     global_buffer
      - .offset:         56
        .size:           8
        .value_kind:     by_value
      - .offset:         64
        .size:           4
        .value_kind:     by_value
      - .actual_access:  write_only
        .address_space:  global
        .offset:         72
        .size:           8
        .value_kind:     global_buffer
      - .actual_access:  write_only
        .address_space:  global
        .offset:         80
        .size:           8
        .value_kind:     global_buffer
      - .actual_access:  write_only
        .address_space:  global
        .offset:         88
        .size:           8
        .value_kind:     global_buffer
    .group_segment_fixed_size: 0
    .kernarg_segment_align: 8
    .kernarg_segment_size: 96
    .language:       OpenCL C
    .language_version:
      - 2
      - 0
    .max_flat_workgroup_size: 256
    .name:           _ZN9rocsparseL32bsr2csr_block_per_row_2_7_kernelILj256ELj6EdllEEv20rocsparse_direction_T3_S2_21rocsparse_index_base_PKT1_PKT2_PKS2_S2_S3_PS4_PS7_PS2_
    .private_segment_fixed_size: 0
    .sgpr_count:     20
    .sgpr_spill_count: 0
    .symbol:         _ZN9rocsparseL32bsr2csr_block_per_row_2_7_kernelILj256ELj6EdllEEv20rocsparse_direction_T3_S2_21rocsparse_index_base_PKT1_PKT2_PKS2_S2_S3_PS4_PS7_PS2_.kd
    .uniform_work_group_size: 1
    .uses_dynamic_stack: false
    .vgpr_count:     38
    .vgpr_spill_count: 0
    .wavefront_size: 32
  - .args:
      - .offset:         0
        .size:           4
        .value_kind:     by_value
      - .offset:         8
        .size:           8
        .value_kind:     by_value
      - .offset:         16
        .size:           8
        .value_kind:     by_value
      - .offset:         24
        .size:           4
        .value_kind:     by_value
      - .actual_access:  read_only
        .address_space:  global
        .offset:         32
        .size:           8
        .value_kind:     global_buffer
      - .actual_access:  read_only
        .address_space:  global
        .offset:         40
        .size:           8
        .value_kind:     global_buffer
      - .actual_access:  read_only
        .address_space:  global
        .offset:         48
        .size:           8
        .value_kind:     global_buffer
      - .offset:         56
        .size:           8
        .value_kind:     by_value
      - .offset:         64
        .size:           4
        .value_kind:     by_value
      - .actual_access:  write_only
        .address_space:  global
        .offset:         72
        .size:           8
        .value_kind:     global_buffer
      - .actual_access:  write_only
        .address_space:  global
        .offset:         80
        .size:           8
        .value_kind:     global_buffer
      - .actual_access:  write_only
        .address_space:  global
        .offset:         88
        .size:           8
        .value_kind:     global_buffer
    .group_segment_fixed_size: 0
    .kernarg_segment_align: 8
    .kernarg_segment_size: 96
    .language:       OpenCL C
    .language_version:
      - 2
      - 0
    .max_flat_workgroup_size: 256
    .name:           _ZN9rocsparseL32bsr2csr_block_per_row_2_7_kernelILj256ELj7EdllEEv20rocsparse_direction_T3_S2_21rocsparse_index_base_PKT1_PKT2_PKS2_S2_S3_PS4_PS7_PS2_
    .private_segment_fixed_size: 0
    .sgpr_count:     20
    .sgpr_spill_count: 0
    .symbol:         _ZN9rocsparseL32bsr2csr_block_per_row_2_7_kernelILj256ELj7EdllEEv20rocsparse_direction_T3_S2_21rocsparse_index_base_PKT1_PKT2_PKS2_S2_S3_PS4_PS7_PS2_.kd
    .uniform_work_group_size: 1
    .uses_dynamic_stack: false
    .vgpr_count:     42
    .vgpr_spill_count: 0
    .wavefront_size: 32
  - .args:
      - .offset:         0
        .size:           4
        .value_kind:     by_value
      - .offset:         8
        .size:           8
        .value_kind:     by_value
      - .offset:         16
        .size:           8
        .value_kind:     by_value
      - .offset:         24
        .size:           4
        .value_kind:     by_value
      - .actual_access:  read_only
        .address_space:  global
        .offset:         32
        .size:           8
        .value_kind:     global_buffer
      - .actual_access:  read_only
        .address_space:  global
        .offset:         40
        .size:           8
        .value_kind:     global_buffer
      - .actual_access:  read_only
        .address_space:  global
        .offset:         48
        .size:           8
        .value_kind:     global_buffer
      - .offset:         56
        .size:           8
        .value_kind:     by_value
      - .offset:         64
        .size:           4
        .value_kind:     by_value
      - .actual_access:  write_only
        .address_space:  global
        .offset:         72
        .size:           8
        .value_kind:     global_buffer
      - .actual_access:  write_only
        .address_space:  global
        .offset:         80
        .size:           8
        .value_kind:     global_buffer
      - .actual_access:  write_only
        .address_space:  global
        .offset:         88
        .size:           8
        .value_kind:     global_buffer
    .group_segment_fixed_size: 0
    .kernarg_segment_align: 8
    .kernarg_segment_size: 96
    .language:       OpenCL C
    .language_version:
      - 2
      - 0
    .max_flat_workgroup_size: 1024
    .name:           _ZN9rocsparseL33bsr2csr_block_per_row_8_32_kernelILj1024ELj8EdllEEv20rocsparse_direction_T3_S2_21rocsparse_index_base_PKT1_PKT2_PKS2_S2_S3_PS4_PS7_PS2_
    .private_segment_fixed_size: 0
    .sgpr_count:     28
    .sgpr_spill_count: 0
    .symbol:         _ZN9rocsparseL33bsr2csr_block_per_row_8_32_kernelILj1024ELj8EdllEEv20rocsparse_direction_T3_S2_21rocsparse_index_base_PKT1_PKT2_PKS2_S2_S3_PS4_PS7_PS2_.kd
    .uniform_work_group_size: 1
    .uses_dynamic_stack: false
    .vgpr_count:     18
    .vgpr_spill_count: 0
    .wavefront_size: 32
  - .args:
      - .offset:         0
        .size:           4
        .value_kind:     by_value
      - .offset:         8
        .size:           8
        .value_kind:     by_value
      - .offset:         16
        .size:           8
        .value_kind:     by_value
      - .offset:         24
        .size:           4
        .value_kind:     by_value
      - .actual_access:  read_only
        .address_space:  global
        .offset:         32
        .size:           8
        .value_kind:     global_buffer
      - .actual_access:  read_only
        .address_space:  global
        .offset:         40
        .size:           8
        .value_kind:     global_buffer
      - .actual_access:  read_only
        .address_space:  global
        .offset:         48
        .size:           8
        .value_kind:     global_buffer
      - .offset:         56
        .size:           8
        .value_kind:     by_value
      - .offset:         64
        .size:           4
        .value_kind:     by_value
      - .actual_access:  write_only
        .address_space:  global
        .offset:         72
        .size:           8
        .value_kind:     global_buffer
      - .actual_access:  write_only
        .address_space:  global
        .offset:         80
        .size:           8
        .value_kind:     global_buffer
      - .actual_access:  write_only
        .address_space:  global
        .offset:         88
        .size:           8
        .value_kind:     global_buffer
    .group_segment_fixed_size: 0
    .kernarg_segment_align: 8
    .kernarg_segment_size: 96
    .language:       OpenCL C
    .language_version:
      - 2
      - 0
    .max_flat_workgroup_size: 1024
    .name:           _ZN9rocsparseL33bsr2csr_block_per_row_8_32_kernelILj1024ELj16EdllEEv20rocsparse_direction_T3_S2_21rocsparse_index_base_PKT1_PKT2_PKS2_S2_S3_PS4_PS7_PS2_
    .private_segment_fixed_size: 0
    .sgpr_count:     28
    .sgpr_spill_count: 0
    .symbol:         _ZN9rocsparseL33bsr2csr_block_per_row_8_32_kernelILj1024ELj16EdllEEv20rocsparse_direction_T3_S2_21rocsparse_index_base_PKT1_PKT2_PKS2_S2_S3_PS4_PS7_PS2_.kd
    .uniform_work_group_size: 1
    .uses_dynamic_stack: false
    .vgpr_count:     18
    .vgpr_spill_count: 0
    .wavefront_size: 32
  - .args:
      - .offset:         0
        .size:           4
        .value_kind:     by_value
      - .offset:         8
        .size:           8
        .value_kind:     by_value
      - .offset:         16
        .size:           8
        .value_kind:     by_value
      - .offset:         24
        .size:           4
        .value_kind:     by_value
      - .actual_access:  read_only
        .address_space:  global
        .offset:         32
        .size:           8
        .value_kind:     global_buffer
      - .actual_access:  read_only
        .address_space:  global
        .offset:         40
        .size:           8
        .value_kind:     global_buffer
      - .actual_access:  read_only
        .address_space:  global
        .offset:         48
        .size:           8
        .value_kind:     global_buffer
      - .offset:         56
        .size:           8
        .value_kind:     by_value
      - .offset:         64
        .size:           4
        .value_kind:     by_value
      - .actual_access:  write_only
        .address_space:  global
        .offset:         72
        .size:           8
        .value_kind:     global_buffer
      - .actual_access:  write_only
        .address_space:  global
        .offset:         80
        .size:           8
        .value_kind:     global_buffer
      - .actual_access:  write_only
        .address_space:  global
        .offset:         88
        .size:           8
        .value_kind:     global_buffer
    .group_segment_fixed_size: 0
    .kernarg_segment_align: 8
    .kernarg_segment_size: 96
    .language:       OpenCL C
    .language_version:
      - 2
      - 0
    .max_flat_workgroup_size: 1024
    .name:           _ZN9rocsparseL33bsr2csr_block_per_row_8_32_kernelILj1024ELj32EdllEEv20rocsparse_direction_T3_S2_21rocsparse_index_base_PKT1_PKT2_PKS2_S2_S3_PS4_PS7_PS2_
    .private_segment_fixed_size: 0
    .sgpr_count:     32
    .sgpr_spill_count: 0
    .symbol:         _ZN9rocsparseL33bsr2csr_block_per_row_8_32_kernelILj1024ELj32EdllEEv20rocsparse_direction_T3_S2_21rocsparse_index_base_PKT1_PKT2_PKS2_S2_S3_PS4_PS7_PS2_.kd
    .uniform_work_group_size: 1
    .uses_dynamic_stack: false
    .vgpr_count:     14
    .vgpr_spill_count: 0
    .wavefront_size: 32
  - .args:
      - .offset:         0
        .size:           4
        .value_kind:     by_value
      - .offset:         8
        .size:           8
        .value_kind:     by_value
      - .offset:         16
        .size:           8
        .value_kind:     by_value
      - .offset:         24
        .size:           4
        .value_kind:     by_value
      - .actual_access:  read_only
        .address_space:  global
        .offset:         32
        .size:           8
        .value_kind:     global_buffer
      - .actual_access:  read_only
        .address_space:  global
        .offset:         40
        .size:           8
        .value_kind:     global_buffer
      - .actual_access:  read_only
        .address_space:  global
        .offset:         48
        .size:           8
        .value_kind:     global_buffer
      - .offset:         56
        .size:           8
        .value_kind:     by_value
      - .offset:         64
        .size:           4
        .value_kind:     by_value
      - .actual_access:  write_only
        .address_space:  global
        .offset:         72
        .size:           8
        .value_kind:     global_buffer
      - .actual_access:  write_only
        .address_space:  global
        .offset:         80
        .size:           8
        .value_kind:     global_buffer
      - .actual_access:  write_only
        .address_space:  global
        .offset:         88
        .size:           8
        .value_kind:     global_buffer
    .group_segment_fixed_size: 0
    .kernarg_segment_align: 8
    .kernarg_segment_size: 96
    .language:       OpenCL C
    .language_version:
      - 2
      - 0
    .max_flat_workgroup_size: 1024
    .name:           _ZN9rocsparseL35bsr2csr_block_per_row_33_256_kernelILj1024ELj64ELj32EdllEEv20rocsparse_direction_T4_S2_21rocsparse_index_base_PKT2_PKT3_PKS2_S2_S3_PS4_PS7_PS2_
    .private_segment_fixed_size: 0
    .sgpr_count:     32
    .sgpr_spill_count: 0
    .symbol:         _ZN9rocsparseL35bsr2csr_block_per_row_33_256_kernelILj1024ELj64ELj32EdllEEv20rocsparse_direction_T4_S2_21rocsparse_index_base_PKT2_PKT3_PKS2_S2_S3_PS4_PS7_PS2_.kd
    .uniform_work_group_size: 1
    .uses_dynamic_stack: false
    .vgpr_count:     36
    .vgpr_spill_count: 0
    .wavefront_size: 32
  - .args:
      - .offset:         0
        .size:           4
        .value_kind:     by_value
      - .offset:         8
        .size:           8
        .value_kind:     by_value
      - .offset:         16
        .size:           8
        .value_kind:     by_value
      - .offset:         24
        .size:           4
        .value_kind:     by_value
      - .actual_access:  read_only
        .address_space:  global
        .offset:         32
        .size:           8
        .value_kind:     global_buffer
      - .actual_access:  read_only
        .address_space:  global
        .offset:         40
        .size:           8
        .value_kind:     global_buffer
      - .actual_access:  read_only
        .address_space:  global
        .offset:         48
        .size:           8
        .value_kind:     global_buffer
      - .offset:         56
        .size:           8
        .value_kind:     by_value
      - .offset:         64
        .size:           4
        .value_kind:     by_value
      - .actual_access:  write_only
        .address_space:  global
        .offset:         72
        .size:           8
        .value_kind:     global_buffer
      - .actual_access:  write_only
        .address_space:  global
        .offset:         80
        .size:           8
        .value_kind:     global_buffer
      - .actual_access:  write_only
        .address_space:  global
        .offset:         88
        .size:           8
        .value_kind:     global_buffer
    .group_segment_fixed_size: 0
    .kernarg_segment_align: 8
    .kernarg_segment_size: 96
    .language:       OpenCL C
    .language_version:
      - 2
      - 0
    .max_flat_workgroup_size: 1024
    .name:           _ZN9rocsparseL35bsr2csr_block_per_row_33_256_kernelILj1024ELj128ELj32EdllEEv20rocsparse_direction_T4_S2_21rocsparse_index_base_PKT2_PKT3_PKS2_S2_S3_PS4_PS7_PS2_
    .private_segment_fixed_size: 0
    .sgpr_count:     46
    .sgpr_spill_count: 0
    .symbol:         _ZN9rocsparseL35bsr2csr_block_per_row_33_256_kernelILj1024ELj128ELj32EdllEEv20rocsparse_direction_T4_S2_21rocsparse_index_base_PKT2_PKT3_PKS2_S2_S3_PS4_PS7_PS2_.kd
    .uniform_work_group_size: 1
    .uses_dynamic_stack: false
    .vgpr_count:     68
    .vgpr_spill_count: 0
    .wavefront_size: 32
  - .args:
      - .offset:         0
        .size:           4
        .value_kind:     by_value
      - .offset:         8
        .size:           8
        .value_kind:     by_value
      - .offset:         16
        .size:           8
        .value_kind:     by_value
      - .offset:         24
        .size:           4
        .value_kind:     by_value
      - .actual_access:  read_only
        .address_space:  global
        .offset:         32
        .size:           8
        .value_kind:     global_buffer
      - .actual_access:  read_only
        .address_space:  global
        .offset:         40
        .size:           8
        .value_kind:     global_buffer
      - .actual_access:  read_only
        .address_space:  global
        .offset:         48
        .size:           8
        .value_kind:     global_buffer
      - .offset:         56
        .size:           8
        .value_kind:     by_value
      - .offset:         64
        .size:           4
        .value_kind:     by_value
      - .actual_access:  write_only
        .address_space:  global
        .offset:         72
        .size:           8
        .value_kind:     global_buffer
      - .actual_access:  write_only
        .address_space:  global
        .offset:         80
        .size:           8
        .value_kind:     global_buffer
      - .actual_access:  write_only
        .address_space:  global
        .offset:         88
        .size:           8
        .value_kind:     global_buffer
    .group_segment_fixed_size: 0
    .kernarg_segment_align: 8
    .kernarg_segment_size: 96
    .language:       OpenCL C
    .language_version:
      - 2
      - 0
    .max_flat_workgroup_size: 1024
    .name:           _ZN9rocsparseL35bsr2csr_block_per_row_33_256_kernelILj1024ELj256ELj32EdllEEv20rocsparse_direction_T4_S2_21rocsparse_index_base_PKT2_PKT3_PKS2_S2_S3_PS4_PS7_PS2_
    .private_segment_fixed_size: 0
    .sgpr_count:     102
    .sgpr_spill_count: 0
    .symbol:         _ZN9rocsparseL35bsr2csr_block_per_row_33_256_kernelILj1024ELj256ELj32EdllEEv20rocsparse_direction_T4_S2_21rocsparse_index_base_PKT2_PKT3_PKS2_S2_S3_PS4_PS7_PS2_.kd
    .uniform_work_group_size: 1
    .uses_dynamic_stack: false
    .vgpr_count:     96
    .vgpr_spill_count: 0
    .wavefront_size: 32
  - .args:
      - .offset:         0
        .size:           4
        .value_kind:     by_value
      - .offset:         4
        .size:           4
        .value_kind:     by_value
      - .offset:         8
        .size:           4
        .value_kind:     by_value
      - .actual_access:  read_only
        .address_space:  global
        .offset:         16
        .size:           8
        .value_kind:     global_buffer
      - .actual_access:  read_only
        .address_space:  global
        .offset:         24
        .size:           8
        .value_kind:     global_buffer
      - .actual_access:  read_only
        .address_space:  global
        .offset:         32
        .size:           8
        .value_kind:     global_buffer
      - .offset:         40
        .size:           4
        .value_kind:     by_value
      - .actual_access:  write_only
        .address_space:  global
        .offset:         48
        .size:           8
        .value_kind:     global_buffer
      - .actual_access:  write_only
        .address_space:  global
        .offset:         56
        .size:           8
        .value_kind:     global_buffer
      - .actual_access:  write_only
        .address_space:  global
        .offset:         64
        .size:           8
        .value_kind:     global_buffer
      - .offset:         72
        .size:           4
        .value_kind:     hidden_block_count_x
      - .offset:         76
        .size:           4
        .value_kind:     hidden_block_count_y
      - .offset:         80
        .size:           4
        .value_kind:     hidden_block_count_z
      - .offset:         84
        .size:           2
        .value_kind:     hidden_group_size_x
      - .offset:         86
        .size:           2
        .value_kind:     hidden_group_size_y
      - .offset:         88
        .size:           2
        .value_kind:     hidden_group_size_z
      - .offset:         90
        .size:           2
        .value_kind:     hidden_remainder_x
      - .offset:         92
        .size:           2
        .value_kind:     hidden_remainder_y
      - .offset:         94
        .size:           2
        .value_kind:     hidden_remainder_z
      - .offset:         112
        .size:           8
        .value_kind:     hidden_global_offset_x
      - .offset:         120
        .size:           8
        .value_kind:     hidden_global_offset_y
      - .offset:         128
        .size:           8
        .value_kind:     hidden_global_offset_z
      - .offset:         136
        .size:           2
        .value_kind:     hidden_grid_dims
    .group_segment_fixed_size: 0
    .kernarg_segment_align: 8
    .kernarg_segment_size: 328
    .language:       OpenCL C
    .language_version:
      - 2
      - 0
    .max_flat_workgroup_size: 1024
    .name:           _ZN9rocsparseL35bsr2csr_block_dim_equals_one_kernelILj1024E21rocsparse_complex_numIdEiiEEvT2_S3_21rocsparse_index_base_PKT0_PKT1_PKS3_S4_PS5_PS8_PS3_
    .private_segment_fixed_size: 0
    .sgpr_count:     23
    .sgpr_spill_count: 0
    .symbol:         _ZN9rocsparseL35bsr2csr_block_dim_equals_one_kernelILj1024E21rocsparse_complex_numIdEiiEEvT2_S3_21rocsparse_index_base_PKT0_PKT1_PKS3_S4_PS5_PS8_PS3_.kd
    .uniform_work_group_size: 1
    .uses_dynamic_stack: false
    .vgpr_count:     6
    .vgpr_spill_count: 0
    .wavefront_size: 32
  - .args:
      - .offset:         0
        .size:           4
        .value_kind:     by_value
      - .offset:         4
        .size:           4
        .value_kind:     by_value
      - .offset:         8
        .size:           4
        .value_kind:     by_value
      - .offset:         12
        .size:           4
        .value_kind:     by_value
      - .actual_access:  read_only
        .address_space:  global
        .offset:         16
        .size:           8
        .value_kind:     global_buffer
      - .actual_access:  read_only
        .address_space:  global
        .offset:         24
        .size:           8
        .value_kind:     global_buffer
      - .actual_access:  read_only
        .address_space:  global
        .offset:         32
        .size:           8
        .value_kind:     global_buffer
      - .offset:         40
        .size:           4
        .value_kind:     by_value
      - .offset:         44
        .size:           4
        .value_kind:     by_value
      - .actual_access:  write_only
        .address_space:  global
        .offset:         48
        .size:           8
        .value_kind:     global_buffer
      - .actual_access:  write_only
        .address_space:  global
        .offset:         56
        .size:           8
        .value_kind:     global_buffer
      - .actual_access:  write_only
        .address_space:  global
        .offset:         64
        .size:           8
        .value_kind:     global_buffer
    .group_segment_fixed_size: 0
    .kernarg_segment_align: 8
    .kernarg_segment_size: 72
    .language:       OpenCL C
    .language_version:
      - 2
      - 0
    .max_flat_workgroup_size: 256
    .name:           _ZN9rocsparseL32bsr2csr_block_per_row_2_7_kernelILj256ELj2E21rocsparse_complex_numIdEiiEEv20rocsparse_direction_T3_S4_21rocsparse_index_base_PKT1_PKT2_PKS4_S4_S5_PS6_PS9_PS4_
    .private_segment_fixed_size: 0
    .sgpr_count:     17
    .sgpr_spill_count: 0
    .symbol:         _ZN9rocsparseL32bsr2csr_block_per_row_2_7_kernelILj256ELj2E21rocsparse_complex_numIdEiiEEv20rocsparse_direction_T3_S4_21rocsparse_index_base_PKT1_PKT2_PKS4_S4_S5_PS6_PS9_PS4_.kd
    .uniform_work_group_size: 1
    .uses_dynamic_stack: false
    .vgpr_count:     18
    .vgpr_spill_count: 0
    .wavefront_size: 32
  - .args:
      - .offset:         0
        .size:           4
        .value_kind:     by_value
      - .offset:         4
        .size:           4
        .value_kind:     by_value
      - .offset:         8
        .size:           4
        .value_kind:     by_value
      - .offset:         12
        .size:           4
        .value_kind:     by_value
      - .actual_access:  read_only
        .address_space:  global
        .offset:         16
        .size:           8
        .value_kind:     global_buffer
      - .actual_access:  read_only
        .address_space:  global
        .offset:         24
        .size:           8
        .value_kind:     global_buffer
      - .actual_access:  read_only
        .address_space:  global
        .offset:         32
        .size:           8
        .value_kind:     global_buffer
      - .offset:         40
        .size:           4
        .value_kind:     by_value
      - .offset:         44
        .size:           4
        .value_kind:     by_value
      - .actual_access:  write_only
        .address_space:  global
        .offset:         48
        .size:           8
        .value_kind:     global_buffer
      - .actual_access:  write_only
        .address_space:  global
        .offset:         56
        .size:           8
        .value_kind:     global_buffer
      - .actual_access:  write_only
        .address_space:  global
        .offset:         64
        .size:           8
        .value_kind:     global_buffer
    .group_segment_fixed_size: 0
    .kernarg_segment_align: 8
    .kernarg_segment_size: 72
    .language:       OpenCL C
    .language_version:
      - 2
      - 0
    .max_flat_workgroup_size: 256
    .name:           _ZN9rocsparseL32bsr2csr_block_per_row_2_7_kernelILj256ELj3E21rocsparse_complex_numIdEiiEEv20rocsparse_direction_T3_S4_21rocsparse_index_base_PKT1_PKT2_PKS4_S4_S5_PS6_PS9_PS4_
    .private_segment_fixed_size: 0
    .sgpr_count:     17
    .sgpr_spill_count: 0
    .symbol:         _ZN9rocsparseL32bsr2csr_block_per_row_2_7_kernelILj256ELj3E21rocsparse_complex_numIdEiiEEv20rocsparse_direction_T3_S4_21rocsparse_index_base_PKT1_PKT2_PKS4_S4_S5_PS6_PS9_PS4_.kd
    .uniform_work_group_size: 1
    .uses_dynamic_stack: false
    .vgpr_count:     24
    .vgpr_spill_count: 0
    .wavefront_size: 32
  - .args:
      - .offset:         0
        .size:           4
        .value_kind:     by_value
      - .offset:         4
        .size:           4
        .value_kind:     by_value
      - .offset:         8
        .size:           4
        .value_kind:     by_value
      - .offset:         12
        .size:           4
        .value_kind:     by_value
      - .actual_access:  read_only
        .address_space:  global
        .offset:         16
        .size:           8
        .value_kind:     global_buffer
      - .actual_access:  read_only
        .address_space:  global
        .offset:         24
        .size:           8
        .value_kind:     global_buffer
      - .actual_access:  read_only
        .address_space:  global
        .offset:         32
        .size:           8
        .value_kind:     global_buffer
      - .offset:         40
        .size:           4
        .value_kind:     by_value
      - .offset:         44
        .size:           4
        .value_kind:     by_value
      - .actual_access:  write_only
        .address_space:  global
        .offset:         48
        .size:           8
        .value_kind:     global_buffer
      - .actual_access:  write_only
        .address_space:  global
        .offset:         56
        .size:           8
        .value_kind:     global_buffer
      - .actual_access:  write_only
        .address_space:  global
        .offset:         64
        .size:           8
        .value_kind:     global_buffer
    .group_segment_fixed_size: 0
    .kernarg_segment_align: 8
    .kernarg_segment_size: 72
    .language:       OpenCL C
    .language_version:
      - 2
      - 0
    .max_flat_workgroup_size: 256
    .name:           _ZN9rocsparseL32bsr2csr_block_per_row_2_7_kernelILj256ELj4E21rocsparse_complex_numIdEiiEEv20rocsparse_direction_T3_S4_21rocsparse_index_base_PKT1_PKT2_PKS4_S4_S5_PS6_PS9_PS4_
    .private_segment_fixed_size: 0
    .sgpr_count:     17
    .sgpr_spill_count: 0
    .symbol:         _ZN9rocsparseL32bsr2csr_block_per_row_2_7_kernelILj256ELj4E21rocsparse_complex_numIdEiiEEv20rocsparse_direction_T3_S4_21rocsparse_index_base_PKT1_PKT2_PKS4_S4_S5_PS6_PS9_PS4_.kd
    .uniform_work_group_size: 1
    .uses_dynamic_stack: false
    .vgpr_count:     28
    .vgpr_spill_count: 0
    .wavefront_size: 32
  - .args:
      - .offset:         0
        .size:           4
        .value_kind:     by_value
      - .offset:         4
        .size:           4
        .value_kind:     by_value
      - .offset:         8
        .size:           4
        .value_kind:     by_value
      - .offset:         12
        .size:           4
        .value_kind:     by_value
      - .actual_access:  read_only
        .address_space:  global
        .offset:         16
        .size:           8
        .value_kind:     global_buffer
      - .actual_access:  read_only
        .address_space:  global
        .offset:         24
        .size:           8
        .value_kind:     global_buffer
      - .actual_access:  read_only
        .address_space:  global
        .offset:         32
        .size:           8
        .value_kind:     global_buffer
      - .offset:         40
        .size:           4
        .value_kind:     by_value
      - .offset:         44
        .size:           4
        .value_kind:     by_value
      - .actual_access:  write_only
        .address_space:  global
        .offset:         48
        .size:           8
        .value_kind:     global_buffer
      - .actual_access:  write_only
        .address_space:  global
        .offset:         56
        .size:           8
        .value_kind:     global_buffer
      - .actual_access:  write_only
        .address_space:  global
        .offset:         64
        .size:           8
        .value_kind:     global_buffer
    .group_segment_fixed_size: 0
    .kernarg_segment_align: 8
    .kernarg_segment_size: 72
    .language:       OpenCL C
    .language_version:
      - 2
      - 0
    .max_flat_workgroup_size: 256
    .name:           _ZN9rocsparseL32bsr2csr_block_per_row_2_7_kernelILj256ELj5E21rocsparse_complex_numIdEiiEEv20rocsparse_direction_T3_S4_21rocsparse_index_base_PKT1_PKT2_PKS4_S4_S5_PS6_PS9_PS4_
    .private_segment_fixed_size: 0
    .sgpr_count:     17
    .sgpr_spill_count: 0
    .symbol:         _ZN9rocsparseL32bsr2csr_block_per_row_2_7_kernelILj256ELj5E21rocsparse_complex_numIdEiiEEv20rocsparse_direction_T3_S4_21rocsparse_index_base_PKT1_PKT2_PKS4_S4_S5_PS6_PS9_PS4_.kd
    .uniform_work_group_size: 1
    .uses_dynamic_stack: false
    .vgpr_count:     32
    .vgpr_spill_count: 0
    .wavefront_size: 32
  - .args:
      - .offset:         0
        .size:           4
        .value_kind:     by_value
      - .offset:         4
        .size:           4
        .value_kind:     by_value
      - .offset:         8
        .size:           4
        .value_kind:     by_value
      - .offset:         12
        .size:           4
        .value_kind:     by_value
      - .actual_access:  read_only
        .address_space:  global
        .offset:         16
        .size:           8
        .value_kind:     global_buffer
      - .actual_access:  read_only
        .address_space:  global
        .offset:         24
        .size:           8
        .value_kind:     global_buffer
      - .actual_access:  read_only
        .address_space:  global
        .offset:         32
        .size:           8
        .value_kind:     global_buffer
      - .offset:         40
        .size:           4
        .value_kind:     by_value
      - .offset:         44
        .size:           4
        .value_kind:     by_value
      - .actual_access:  write_only
        .address_space:  global
        .offset:         48
        .size:           8
        .value_kind:     global_buffer
      - .actual_access:  write_only
        .address_space:  global
        .offset:         56
        .size:           8
        .value_kind:     global_buffer
      - .actual_access:  write_only
        .address_space:  global
        .offset:         64
        .size:           8
        .value_kind:     global_buffer
    .group_segment_fixed_size: 0
    .kernarg_segment_align: 8
    .kernarg_segment_size: 72
    .language:       OpenCL C
    .language_version:
      - 2
      - 0
    .max_flat_workgroup_size: 256
    .name:           _ZN9rocsparseL32bsr2csr_block_per_row_2_7_kernelILj256ELj6E21rocsparse_complex_numIdEiiEEv20rocsparse_direction_T3_S4_21rocsparse_index_base_PKT1_PKT2_PKS4_S4_S5_PS6_PS9_PS4_
    .private_segment_fixed_size: 0
    .sgpr_count:     17
    .sgpr_spill_count: 0
    .symbol:         _ZN9rocsparseL32bsr2csr_block_per_row_2_7_kernelILj256ELj6E21rocsparse_complex_numIdEiiEEv20rocsparse_direction_T3_S4_21rocsparse_index_base_PKT1_PKT2_PKS4_S4_S5_PS6_PS9_PS4_.kd
    .uniform_work_group_size: 1
    .uses_dynamic_stack: false
    .vgpr_count:     36
    .vgpr_spill_count: 0
    .wavefront_size: 32
  - .args:
      - .offset:         0
        .size:           4
        .value_kind:     by_value
      - .offset:         4
        .size:           4
        .value_kind:     by_value
      - .offset:         8
        .size:           4
        .value_kind:     by_value
      - .offset:         12
        .size:           4
        .value_kind:     by_value
      - .actual_access:  read_only
        .address_space:  global
        .offset:         16
        .size:           8
        .value_kind:     global_buffer
      - .actual_access:  read_only
        .address_space:  global
        .offset:         24
        .size:           8
        .value_kind:     global_buffer
      - .actual_access:  read_only
        .address_space:  global
        .offset:         32
        .size:           8
        .value_kind:     global_buffer
      - .offset:         40
        .size:           4
        .value_kind:     by_value
      - .offset:         44
        .size:           4
        .value_kind:     by_value
      - .actual_access:  write_only
        .address_space:  global
        .offset:         48
        .size:           8
        .value_kind:     global_buffer
      - .actual_access:  write_only
        .address_space:  global
        .offset:         56
        .size:           8
        .value_kind:     global_buffer
      - .actual_access:  write_only
        .address_space:  global
        .offset:         64
        .size:           8
        .value_kind:     global_buffer
    .group_segment_fixed_size: 0
    .kernarg_segment_align: 8
    .kernarg_segment_size: 72
    .language:       OpenCL C
    .language_version:
      - 2
      - 0
    .max_flat_workgroup_size: 256
    .name:           _ZN9rocsparseL32bsr2csr_block_per_row_2_7_kernelILj256ELj7E21rocsparse_complex_numIdEiiEEv20rocsparse_direction_T3_S4_21rocsparse_index_base_PKT1_PKT2_PKS4_S4_S5_PS6_PS9_PS4_
    .private_segment_fixed_size: 0
    .sgpr_count:     17
    .sgpr_spill_count: 0
    .symbol:         _ZN9rocsparseL32bsr2csr_block_per_row_2_7_kernelILj256ELj7E21rocsparse_complex_numIdEiiEEv20rocsparse_direction_T3_S4_21rocsparse_index_base_PKT1_PKT2_PKS4_S4_S5_PS6_PS9_PS4_.kd
    .uniform_work_group_size: 1
    .uses_dynamic_stack: false
    .vgpr_count:     40
    .vgpr_spill_count: 0
    .wavefront_size: 32
  - .args:
      - .offset:         0
        .size:           4
        .value_kind:     by_value
      - .offset:         4
        .size:           4
        .value_kind:     by_value
      - .offset:         8
        .size:           4
        .value_kind:     by_value
      - .offset:         12
        .size:           4
        .value_kind:     by_value
      - .actual_access:  read_only
        .address_space:  global
        .offset:         16
        .size:           8
        .value_kind:     global_buffer
      - .actual_access:  read_only
        .address_space:  global
        .offset:         24
        .size:           8
        .value_kind:     global_buffer
      - .actual_access:  read_only
        .address_space:  global
        .offset:         32
        .size:           8
        .value_kind:     global_buffer
      - .offset:         40
        .size:           4
        .value_kind:     by_value
      - .offset:         44
        .size:           4
        .value_kind:     by_value
      - .actual_access:  write_only
        .address_space:  global
        .offset:         48
        .size:           8
        .value_kind:     global_buffer
      - .actual_access:  write_only
        .address_space:  global
        .offset:         56
        .size:           8
        .value_kind:     global_buffer
      - .actual_access:  write_only
        .address_space:  global
        .offset:         64
        .size:           8
        .value_kind:     global_buffer
    .group_segment_fixed_size: 0
    .kernarg_segment_align: 8
    .kernarg_segment_size: 72
    .language:       OpenCL C
    .language_version:
      - 2
      - 0
    .max_flat_workgroup_size: 1024
    .name:           _ZN9rocsparseL33bsr2csr_block_per_row_8_32_kernelILj1024ELj8E21rocsparse_complex_numIdEiiEEv20rocsparse_direction_T3_S4_21rocsparse_index_base_PKT1_PKT2_PKS4_S4_S5_PS6_PS9_PS4_
    .private_segment_fixed_size: 0
    .sgpr_count:     17
    .sgpr_spill_count: 0
    .symbol:         _ZN9rocsparseL33bsr2csr_block_per_row_8_32_kernelILj1024ELj8E21rocsparse_complex_numIdEiiEEv20rocsparse_direction_T3_S4_21rocsparse_index_base_PKT1_PKT2_PKS4_S4_S5_PS6_PS9_PS4_.kd
    .uniform_work_group_size: 1
    .uses_dynamic_stack: false
    .vgpr_count:     9
    .vgpr_spill_count: 0
    .wavefront_size: 32
  - .args:
      - .offset:         0
        .size:           4
        .value_kind:     by_value
      - .offset:         4
        .size:           4
        .value_kind:     by_value
      - .offset:         8
        .size:           4
        .value_kind:     by_value
      - .offset:         12
        .size:           4
        .value_kind:     by_value
      - .actual_access:  read_only
        .address_space:  global
        .offset:         16
        .size:           8
        .value_kind:     global_buffer
      - .actual_access:  read_only
        .address_space:  global
        .offset:         24
        .size:           8
        .value_kind:     global_buffer
      - .actual_access:  read_only
        .address_space:  global
        .offset:         32
        .size:           8
        .value_kind:     global_buffer
      - .offset:         40
        .size:           4
        .value_kind:     by_value
      - .offset:         44
        .size:           4
        .value_kind:     by_value
      - .actual_access:  write_only
        .address_space:  global
        .offset:         48
        .size:           8
        .value_kind:     global_buffer
      - .actual_access:  write_only
        .address_space:  global
        .offset:         56
        .size:           8
        .value_kind:     global_buffer
      - .actual_access:  write_only
        .address_space:  global
        .offset:         64
        .size:           8
        .value_kind:     global_buffer
    .group_segment_fixed_size: 0
    .kernarg_segment_align: 8
    .kernarg_segment_size: 72
    .language:       OpenCL C
    .language_version:
      - 2
      - 0
    .max_flat_workgroup_size: 1024
    .name:           _ZN9rocsparseL33bsr2csr_block_per_row_8_32_kernelILj1024ELj16E21rocsparse_complex_numIdEiiEEv20rocsparse_direction_T3_S4_21rocsparse_index_base_PKT1_PKT2_PKS4_S4_S5_PS6_PS9_PS4_
    .private_segment_fixed_size: 0
    .sgpr_count:     17
    .sgpr_spill_count: 0
    .symbol:         _ZN9rocsparseL33bsr2csr_block_per_row_8_32_kernelILj1024ELj16E21rocsparse_complex_numIdEiiEEv20rocsparse_direction_T3_S4_21rocsparse_index_base_PKT1_PKT2_PKS4_S4_S5_PS6_PS9_PS4_.kd
    .uniform_work_group_size: 1
    .uses_dynamic_stack: false
    .vgpr_count:     9
    .vgpr_spill_count: 0
    .wavefront_size: 32
  - .args:
      - .offset:         0
        .size:           4
        .value_kind:     by_value
      - .offset:         4
        .size:           4
        .value_kind:     by_value
      - .offset:         8
        .size:           4
        .value_kind:     by_value
      - .offset:         12
        .size:           4
        .value_kind:     by_value
      - .actual_access:  read_only
        .address_space:  global
        .offset:         16
        .size:           8
        .value_kind:     global_buffer
      - .actual_access:  read_only
        .address_space:  global
        .offset:         24
        .size:           8
        .value_kind:     global_buffer
      - .actual_access:  read_only
        .address_space:  global
        .offset:         32
        .size:           8
        .value_kind:     global_buffer
      - .offset:         40
        .size:           4
        .value_kind:     by_value
      - .offset:         44
        .size:           4
        .value_kind:     by_value
      - .actual_access:  write_only
        .address_space:  global
        .offset:         48
        .size:           8
        .value_kind:     global_buffer
      - .actual_access:  write_only
        .address_space:  global
        .offset:         56
        .size:           8
        .value_kind:     global_buffer
      - .actual_access:  write_only
        .address_space:  global
        .offset:         64
        .size:           8
        .value_kind:     global_buffer
    .group_segment_fixed_size: 0
    .kernarg_segment_align: 8
    .kernarg_segment_size: 72
    .language:       OpenCL C
    .language_version:
      - 2
      - 0
    .max_flat_workgroup_size: 1024
    .name:           _ZN9rocsparseL33bsr2csr_block_per_row_8_32_kernelILj1024ELj32E21rocsparse_complex_numIdEiiEEv20rocsparse_direction_T3_S4_21rocsparse_index_base_PKT1_PKT2_PKS4_S4_S5_PS6_PS9_PS4_
    .private_segment_fixed_size: 0
    .sgpr_count:     20
    .sgpr_spill_count: 0
    .symbol:         _ZN9rocsparseL33bsr2csr_block_per_row_8_32_kernelILj1024ELj32E21rocsparse_complex_numIdEiiEEv20rocsparse_direction_T3_S4_21rocsparse_index_base_PKT1_PKT2_PKS4_S4_S5_PS6_PS9_PS4_.kd
    .uniform_work_group_size: 1
    .uses_dynamic_stack: false
    .vgpr_count:     8
    .vgpr_spill_count: 0
    .wavefront_size: 32
  - .args:
      - .offset:         0
        .size:           4
        .value_kind:     by_value
      - .offset:         4
        .size:           4
        .value_kind:     by_value
      - .offset:         8
        .size:           4
        .value_kind:     by_value
      - .offset:         12
        .size:           4
        .value_kind:     by_value
      - .actual_access:  read_only
        .address_space:  global
        .offset:         16
        .size:           8
        .value_kind:     global_buffer
      - .actual_access:  read_only
        .address_space:  global
        .offset:         24
        .size:           8
        .value_kind:     global_buffer
      - .actual_access:  read_only
        .address_space:  global
        .offset:         32
        .size:           8
        .value_kind:     global_buffer
      - .offset:         40
        .size:           4
        .value_kind:     by_value
      - .offset:         44
        .size:           4
        .value_kind:     by_value
      - .actual_access:  write_only
        .address_space:  global
        .offset:         48
        .size:           8
        .value_kind:     global_buffer
      - .actual_access:  write_only
        .address_space:  global
        .offset:         56
        .size:           8
        .value_kind:     global_buffer
      - .actual_access:  write_only
        .address_space:  global
        .offset:         64
        .size:           8
        .value_kind:     global_buffer
    .group_segment_fixed_size: 0
    .kernarg_segment_align: 8
    .kernarg_segment_size: 72
    .language:       OpenCL C
    .language_version:
      - 2
      - 0
    .max_flat_workgroup_size: 1024
    .name:           _ZN9rocsparseL35bsr2csr_block_per_row_33_256_kernelILj1024ELj64ELj32E21rocsparse_complex_numIdEiiEEv20rocsparse_direction_T4_S4_21rocsparse_index_base_PKT2_PKT3_PKS4_S4_S5_PS6_PS9_PS4_
    .private_segment_fixed_size: 0
    .sgpr_count:     26
    .sgpr_spill_count: 0
    .symbol:         _ZN9rocsparseL35bsr2csr_block_per_row_33_256_kernelILj1024ELj64ELj32E21rocsparse_complex_numIdEiiEEv20rocsparse_direction_T4_S4_21rocsparse_index_base_PKT2_PKT3_PKS4_S4_S5_PS6_PS9_PS4_.kd
    .uniform_work_group_size: 1
    .uses_dynamic_stack: false
    .vgpr_count:     18
    .vgpr_spill_count: 0
    .wavefront_size: 32
  - .args:
      - .offset:         0
        .size:           4
        .value_kind:     by_value
      - .offset:         4
        .size:           4
        .value_kind:     by_value
      - .offset:         8
        .size:           4
        .value_kind:     by_value
      - .offset:         12
        .size:           4
        .value_kind:     by_value
      - .actual_access:  read_only
        .address_space:  global
        .offset:         16
        .size:           8
        .value_kind:     global_buffer
      - .actual_access:  read_only
        .address_space:  global
        .offset:         24
        .size:           8
        .value_kind:     global_buffer
      - .actual_access:  read_only
        .address_space:  global
        .offset:         32
        .size:           8
        .value_kind:     global_buffer
      - .offset:         40
        .size:           4
        .value_kind:     by_value
      - .offset:         44
        .size:           4
        .value_kind:     by_value
      - .actual_access:  write_only
        .address_space:  global
        .offset:         48
        .size:           8
        .value_kind:     global_buffer
      - .actual_access:  write_only
        .address_space:  global
        .offset:         56
        .size:           8
        .value_kind:     global_buffer
      - .actual_access:  write_only
        .address_space:  global
        .offset:         64
        .size:           8
        .value_kind:     global_buffer
    .group_segment_fixed_size: 0
    .kernarg_segment_align: 8
    .kernarg_segment_size: 72
    .language:       OpenCL C
    .language_version:
      - 2
      - 0
    .max_flat_workgroup_size: 1024
    .name:           _ZN9rocsparseL35bsr2csr_block_per_row_33_256_kernelILj1024ELj128ELj32E21rocsparse_complex_numIdEiiEEv20rocsparse_direction_T4_S4_21rocsparse_index_base_PKT2_PKT3_PKS4_S4_S5_PS6_PS9_PS4_
    .private_segment_fixed_size: 0
    .sgpr_count:     38
    .sgpr_spill_count: 0
    .symbol:         _ZN9rocsparseL35bsr2csr_block_per_row_33_256_kernelILj1024ELj128ELj32E21rocsparse_complex_numIdEiiEEv20rocsparse_direction_T4_S4_21rocsparse_index_base_PKT2_PKT3_PKS4_S4_S5_PS6_PS9_PS4_.kd
    .uniform_work_group_size: 1
    .uses_dynamic_stack: false
    .vgpr_count:     29
    .vgpr_spill_count: 0
    .wavefront_size: 32
  - .args:
      - .offset:         0
        .size:           4
        .value_kind:     by_value
      - .offset:         4
        .size:           4
        .value_kind:     by_value
      - .offset:         8
        .size:           4
        .value_kind:     by_value
      - .offset:         12
        .size:           4
        .value_kind:     by_value
      - .actual_access:  read_only
        .address_space:  global
        .offset:         16
        .size:           8
        .value_kind:     global_buffer
      - .actual_access:  read_only
        .address_space:  global
        .offset:         24
        .size:           8
        .value_kind:     global_buffer
      - .actual_access:  read_only
        .address_space:  global
        .offset:         32
        .size:           8
        .value_kind:     global_buffer
      - .offset:         40
        .size:           4
        .value_kind:     by_value
      - .offset:         44
        .size:           4
        .value_kind:     by_value
      - .actual_access:  write_only
        .address_space:  global
        .offset:         48
        .size:           8
        .value_kind:     global_buffer
      - .actual_access:  write_only
        .address_space:  global
        .offset:         56
        .size:           8
        .value_kind:     global_buffer
      - .actual_access:  write_only
        .address_space:  global
        .offset:         64
        .size:           8
        .value_kind:     global_buffer
    .group_segment_fixed_size: 0
    .kernarg_segment_align: 8
    .kernarg_segment_size: 72
    .language:       OpenCL C
    .language_version:
      - 2
      - 0
    .max_flat_workgroup_size: 1024
    .name:           _ZN9rocsparseL35bsr2csr_block_per_row_33_256_kernelILj1024ELj256ELj32E21rocsparse_complex_numIdEiiEEv20rocsparse_direction_T4_S4_21rocsparse_index_base_PKT2_PKT3_PKS4_S4_S5_PS6_PS9_PS4_
    .private_segment_fixed_size: 0
    .sgpr_count:     89
    .sgpr_spill_count: 0
    .symbol:         _ZN9rocsparseL35bsr2csr_block_per_row_33_256_kernelILj1024ELj256ELj32E21rocsparse_complex_numIdEiiEEv20rocsparse_direction_T4_S4_21rocsparse_index_base_PKT2_PKT3_PKS4_S4_S5_PS6_PS9_PS4_.kd
    .uniform_work_group_size: 1
    .uses_dynamic_stack: false
    .vgpr_count:     47
    .vgpr_spill_count: 0
    .wavefront_size: 32
  - .args:
      - .offset:         0
        .size:           4
        .value_kind:     by_value
      - .offset:         4
        .size:           4
        .value_kind:     by_value
      - .offset:         8
        .size:           4
        .value_kind:     by_value
      - .actual_access:  read_only
        .address_space:  global
        .offset:         16
        .size:           8
        .value_kind:     global_buffer
      - .actual_access:  read_only
        .address_space:  global
        .offset:         24
        .size:           8
        .value_kind:     global_buffer
      - .actual_access:  read_only
        .address_space:  global
        .offset:         32
        .size:           8
        .value_kind:     global_buffer
      - .offset:         40
        .size:           4
        .value_kind:     by_value
      - .actual_access:  write_only
        .address_space:  global
        .offset:         48
        .size:           8
        .value_kind:     global_buffer
      - .actual_access:  write_only
        .address_space:  global
        .offset:         56
        .size:           8
        .value_kind:     global_buffer
      - .actual_access:  write_only
        .address_space:  global
        .offset:         64
        .size:           8
        .value_kind:     global_buffer
      - .offset:         72
        .size:           4
        .value_kind:     hidden_block_count_x
      - .offset:         76
        .size:           4
        .value_kind:     hidden_block_count_y
      - .offset:         80
        .size:           4
        .value_kind:     hidden_block_count_z
      - .offset:         84
        .size:           2
        .value_kind:     hidden_group_size_x
      - .offset:         86
        .size:           2
        .value_kind:     hidden_group_size_y
      - .offset:         88
        .size:           2
        .value_kind:     hidden_group_size_z
      - .offset:         90
        .size:           2
        .value_kind:     hidden_remainder_x
      - .offset:         92
        .size:           2
        .value_kind:     hidden_remainder_y
      - .offset:         94
        .size:           2
        .value_kind:     hidden_remainder_z
      - .offset:         112
        .size:           8
        .value_kind:     hidden_global_offset_x
      - .offset:         120
        .size:           8
        .value_kind:     hidden_global_offset_y
      - .offset:         128
        .size:           8
        .value_kind:     hidden_global_offset_z
      - .offset:         136
        .size:           2
        .value_kind:     hidden_grid_dims
    .group_segment_fixed_size: 0
    .kernarg_segment_align: 8
    .kernarg_segment_size: 328
    .language:       OpenCL C
    .language_version:
      - 2
      - 0
    .max_flat_workgroup_size: 1024
    .name:           _ZN9rocsparseL35bsr2csr_block_dim_equals_one_kernelILj1024E21rocsparse_complex_numIdEliEEvT2_S3_21rocsparse_index_base_PKT0_PKT1_PKS3_S4_PS5_PS8_PS3_
    .private_segment_fixed_size: 0
    .sgpr_count:     26
    .sgpr_spill_count: 0
    .symbol:         _ZN9rocsparseL35bsr2csr_block_dim_equals_one_kernelILj1024E21rocsparse_complex_numIdEliEEvT2_S3_21rocsparse_index_base_PKT0_PKT1_PKS3_S4_PS5_PS8_PS3_.kd
    .uniform_work_group_size: 1
    .uses_dynamic_stack: false
    .vgpr_count:     15
    .vgpr_spill_count: 0
    .wavefront_size: 32
  - .args:
      - .offset:         0
        .size:           4
        .value_kind:     by_value
      - .offset:         4
        .size:           4
        .value_kind:     by_value
      - .offset:         8
        .size:           4
        .value_kind:     by_value
      - .offset:         12
        .size:           4
        .value_kind:     by_value
      - .actual_access:  read_only
        .address_space:  global
        .offset:         16
        .size:           8
        .value_kind:     global_buffer
      - .actual_access:  read_only
        .address_space:  global
        .offset:         24
        .size:           8
        .value_kind:     global_buffer
      - .actual_access:  read_only
        .address_space:  global
        .offset:         32
        .size:           8
        .value_kind:     global_buffer
      - .offset:         40
        .size:           4
        .value_kind:     by_value
      - .offset:         44
        .size:           4
        .value_kind:     by_value
      - .actual_access:  write_only
        .address_space:  global
        .offset:         48
        .size:           8
        .value_kind:     global_buffer
      - .actual_access:  write_only
        .address_space:  global
        .offset:         56
        .size:           8
        .value_kind:     global_buffer
      - .actual_access:  write_only
        .address_space:  global
        .offset:         64
        .size:           8
        .value_kind:     global_buffer
    .group_segment_fixed_size: 0
    .kernarg_segment_align: 8
    .kernarg_segment_size: 72
    .language:       OpenCL C
    .language_version:
      - 2
      - 0
    .max_flat_workgroup_size: 256
    .name:           _ZN9rocsparseL32bsr2csr_block_per_row_2_7_kernelILj256ELj2E21rocsparse_complex_numIdEliEEv20rocsparse_direction_T3_S4_21rocsparse_index_base_PKT1_PKT2_PKS4_S4_S5_PS6_PS9_PS4_
    .private_segment_fixed_size: 0
    .sgpr_count:     20
    .sgpr_spill_count: 0
    .symbol:         _ZN9rocsparseL32bsr2csr_block_per_row_2_7_kernelILj256ELj2E21rocsparse_complex_numIdEliEEv20rocsparse_direction_T3_S4_21rocsparse_index_base_PKT1_PKT2_PKS4_S4_S5_PS6_PS9_PS4_.kd
    .uniform_work_group_size: 1
    .uses_dynamic_stack: false
    .vgpr_count:     27
    .vgpr_spill_count: 0
    .wavefront_size: 32
  - .args:
      - .offset:         0
        .size:           4
        .value_kind:     by_value
      - .offset:         4
        .size:           4
        .value_kind:     by_value
      - .offset:         8
        .size:           4
        .value_kind:     by_value
      - .offset:         12
        .size:           4
        .value_kind:     by_value
      - .actual_access:  read_only
        .address_space:  global
        .offset:         16
        .size:           8
        .value_kind:     global_buffer
      - .actual_access:  read_only
        .address_space:  global
        .offset:         24
        .size:           8
        .value_kind:     global_buffer
      - .actual_access:  read_only
        .address_space:  global
        .offset:         32
        .size:           8
        .value_kind:     global_buffer
      - .offset:         40
        .size:           4
        .value_kind:     by_value
      - .offset:         44
        .size:           4
        .value_kind:     by_value
      - .actual_access:  write_only
        .address_space:  global
        .offset:         48
        .size:           8
        .value_kind:     global_buffer
      - .actual_access:  write_only
        .address_space:  global
        .offset:         56
        .size:           8
        .value_kind:     global_buffer
      - .actual_access:  write_only
        .address_space:  global
        .offset:         64
        .size:           8
        .value_kind:     global_buffer
    .group_segment_fixed_size: 0
    .kernarg_segment_align: 8
    .kernarg_segment_size: 72
    .language:       OpenCL C
    .language_version:
      - 2
      - 0
    .max_flat_workgroup_size: 256
    .name:           _ZN9rocsparseL32bsr2csr_block_per_row_2_7_kernelILj256ELj3E21rocsparse_complex_numIdEliEEv20rocsparse_direction_T3_S4_21rocsparse_index_base_PKT1_PKT2_PKS4_S4_S5_PS6_PS9_PS4_
    .private_segment_fixed_size: 0
    .sgpr_count:     22
    .sgpr_spill_count: 0
    .symbol:         _ZN9rocsparseL32bsr2csr_block_per_row_2_7_kernelILj256ELj3E21rocsparse_complex_numIdEliEEv20rocsparse_direction_T3_S4_21rocsparse_index_base_PKT1_PKT2_PKS4_S4_S5_PS6_PS9_PS4_.kd
    .uniform_work_group_size: 1
    .uses_dynamic_stack: false
    .vgpr_count:     31
    .vgpr_spill_count: 0
    .wavefront_size: 32
  - .args:
      - .offset:         0
        .size:           4
        .value_kind:     by_value
      - .offset:         4
        .size:           4
        .value_kind:     by_value
      - .offset:         8
        .size:           4
        .value_kind:     by_value
      - .offset:         12
        .size:           4
        .value_kind:     by_value
      - .actual_access:  read_only
        .address_space:  global
        .offset:         16
        .size:           8
        .value_kind:     global_buffer
      - .actual_access:  read_only
        .address_space:  global
        .offset:         24
        .size:           8
        .value_kind:     global_buffer
      - .actual_access:  read_only
        .address_space:  global
        .offset:         32
        .size:           8
        .value_kind:     global_buffer
      - .offset:         40
        .size:           4
        .value_kind:     by_value
      - .offset:         44
        .size:           4
        .value_kind:     by_value
      - .actual_access:  write_only
        .address_space:  global
        .offset:         48
        .size:           8
        .value_kind:     global_buffer
      - .actual_access:  write_only
        .address_space:  global
        .offset:         56
        .size:           8
        .value_kind:     global_buffer
      - .actual_access:  write_only
        .address_space:  global
        .offset:         64
        .size:           8
        .value_kind:     global_buffer
    .group_segment_fixed_size: 0
    .kernarg_segment_align: 8
    .kernarg_segment_size: 72
    .language:       OpenCL C
    .language_version:
      - 2
      - 0
    .max_flat_workgroup_size: 256
    .name:           _ZN9rocsparseL32bsr2csr_block_per_row_2_7_kernelILj256ELj4E21rocsparse_complex_numIdEliEEv20rocsparse_direction_T3_S4_21rocsparse_index_base_PKT1_PKT2_PKS4_S4_S5_PS6_PS9_PS4_
    .private_segment_fixed_size: 0
    .sgpr_count:     20
    .sgpr_spill_count: 0
    .symbol:         _ZN9rocsparseL32bsr2csr_block_per_row_2_7_kernelILj256ELj4E21rocsparse_complex_numIdEliEEv20rocsparse_direction_T3_S4_21rocsparse_index_base_PKT1_PKT2_PKS4_S4_S5_PS6_PS9_PS4_.kd
    .uniform_work_group_size: 1
    .uses_dynamic_stack: false
    .vgpr_count:     39
    .vgpr_spill_count: 0
    .wavefront_size: 32
  - .args:
      - .offset:         0
        .size:           4
        .value_kind:     by_value
      - .offset:         4
        .size:           4
        .value_kind:     by_value
      - .offset:         8
        .size:           4
        .value_kind:     by_value
      - .offset:         12
        .size:           4
        .value_kind:     by_value
      - .actual_access:  read_only
        .address_space:  global
        .offset:         16
        .size:           8
        .value_kind:     global_buffer
      - .actual_access:  read_only
        .address_space:  global
        .offset:         24
        .size:           8
        .value_kind:     global_buffer
      - .actual_access:  read_only
        .address_space:  global
        .offset:         32
        .size:           8
        .value_kind:     global_buffer
      - .offset:         40
        .size:           4
        .value_kind:     by_value
      - .offset:         44
        .size:           4
        .value_kind:     by_value
      - .actual_access:  write_only
        .address_space:  global
        .offset:         48
        .size:           8
        .value_kind:     global_buffer
      - .actual_access:  write_only
        .address_space:  global
        .offset:         56
        .size:           8
        .value_kind:     global_buffer
      - .actual_access:  write_only
        .address_space:  global
        .offset:         64
        .size:           8
        .value_kind:     global_buffer
    .group_segment_fixed_size: 0
    .kernarg_segment_align: 8
    .kernarg_segment_size: 72
    .language:       OpenCL C
    .language_version:
      - 2
      - 0
    .max_flat_workgroup_size: 256
    .name:           _ZN9rocsparseL32bsr2csr_block_per_row_2_7_kernelILj256ELj5E21rocsparse_complex_numIdEliEEv20rocsparse_direction_T3_S4_21rocsparse_index_base_PKT1_PKT2_PKS4_S4_S5_PS6_PS9_PS4_
    .private_segment_fixed_size: 0
    .sgpr_count:     22
    .sgpr_spill_count: 0
    .symbol:         _ZN9rocsparseL32bsr2csr_block_per_row_2_7_kernelILj256ELj5E21rocsparse_complex_numIdEliEEv20rocsparse_direction_T3_S4_21rocsparse_index_base_PKT1_PKT2_PKS4_S4_S5_PS6_PS9_PS4_.kd
    .uniform_work_group_size: 1
    .uses_dynamic_stack: false
    .vgpr_count:     43
    .vgpr_spill_count: 0
    .wavefront_size: 32
  - .args:
      - .offset:         0
        .size:           4
        .value_kind:     by_value
      - .offset:         4
        .size:           4
        .value_kind:     by_value
      - .offset:         8
        .size:           4
        .value_kind:     by_value
      - .offset:         12
        .size:           4
        .value_kind:     by_value
      - .actual_access:  read_only
        .address_space:  global
        .offset:         16
        .size:           8
        .value_kind:     global_buffer
      - .actual_access:  read_only
        .address_space:  global
        .offset:         24
        .size:           8
        .value_kind:     global_buffer
      - .actual_access:  read_only
        .address_space:  global
        .offset:         32
        .size:           8
        .value_kind:     global_buffer
      - .offset:         40
        .size:           4
        .value_kind:     by_value
      - .offset:         44
        .size:           4
        .value_kind:     by_value
      - .actual_access:  write_only
        .address_space:  global
        .offset:         48
        .size:           8
        .value_kind:     global_buffer
      - .actual_access:  write_only
        .address_space:  global
        .offset:         56
        .size:           8
        .value_kind:     global_buffer
      - .actual_access:  write_only
        .address_space:  global
        .offset:         64
        .size:           8
        .value_kind:     global_buffer
    .group_segment_fixed_size: 0
    .kernarg_segment_align: 8
    .kernarg_segment_size: 72
    .language:       OpenCL C
    .language_version:
      - 2
      - 0
    .max_flat_workgroup_size: 256
    .name:           _ZN9rocsparseL32bsr2csr_block_per_row_2_7_kernelILj256ELj6E21rocsparse_complex_numIdEliEEv20rocsparse_direction_T3_S4_21rocsparse_index_base_PKT1_PKT2_PKS4_S4_S5_PS6_PS9_PS4_
    .private_segment_fixed_size: 0
    .sgpr_count:     22
    .sgpr_spill_count: 0
    .symbol:         _ZN9rocsparseL32bsr2csr_block_per_row_2_7_kernelILj256ELj6E21rocsparse_complex_numIdEliEEv20rocsparse_direction_T3_S4_21rocsparse_index_base_PKT1_PKT2_PKS4_S4_S5_PS6_PS9_PS4_.kd
    .uniform_work_group_size: 1
    .uses_dynamic_stack: false
    .vgpr_count:     49
    .vgpr_spill_count: 0
    .wavefront_size: 32
  - .args:
      - .offset:         0
        .size:           4
        .value_kind:     by_value
      - .offset:         4
        .size:           4
        .value_kind:     by_value
      - .offset:         8
        .size:           4
        .value_kind:     by_value
      - .offset:         12
        .size:           4
        .value_kind:     by_value
      - .actual_access:  read_only
        .address_space:  global
        .offset:         16
        .size:           8
        .value_kind:     global_buffer
      - .actual_access:  read_only
        .address_space:  global
        .offset:         24
        .size:           8
        .value_kind:     global_buffer
      - .actual_access:  read_only
        .address_space:  global
        .offset:         32
        .size:           8
        .value_kind:     global_buffer
      - .offset:         40
        .size:           4
        .value_kind:     by_value
      - .offset:         44
        .size:           4
        .value_kind:     by_value
      - .actual_access:  write_only
        .address_space:  global
        .offset:         48
        .size:           8
        .value_kind:     global_buffer
      - .actual_access:  write_only
        .address_space:  global
        .offset:         56
        .size:           8
        .value_kind:     global_buffer
      - .actual_access:  write_only
        .address_space:  global
        .offset:         64
        .size:           8
        .value_kind:     global_buffer
    .group_segment_fixed_size: 0
    .kernarg_segment_align: 8
    .kernarg_segment_size: 72
    .language:       OpenCL C
    .language_version:
      - 2
      - 0
    .max_flat_workgroup_size: 256
    .name:           _ZN9rocsparseL32bsr2csr_block_per_row_2_7_kernelILj256ELj7E21rocsparse_complex_numIdEliEEv20rocsparse_direction_T3_S4_21rocsparse_index_base_PKT1_PKT2_PKS4_S4_S5_PS6_PS9_PS4_
    .private_segment_fixed_size: 0
    .sgpr_count:     22
    .sgpr_spill_count: 0
    .symbol:         _ZN9rocsparseL32bsr2csr_block_per_row_2_7_kernelILj256ELj7E21rocsparse_complex_numIdEliEEv20rocsparse_direction_T3_S4_21rocsparse_index_base_PKT1_PKT2_PKS4_S4_S5_PS6_PS9_PS4_.kd
    .uniform_work_group_size: 1
    .uses_dynamic_stack: false
    .vgpr_count:     55
    .vgpr_spill_count: 0
    .wavefront_size: 32
  - .args:
      - .offset:         0
        .size:           4
        .value_kind:     by_value
      - .offset:         4
        .size:           4
        .value_kind:     by_value
      - .offset:         8
        .size:           4
        .value_kind:     by_value
      - .offset:         12
        .size:           4
        .value_kind:     by_value
      - .actual_access:  read_only
        .address_space:  global
        .offset:         16
        .size:           8
        .value_kind:     global_buffer
      - .actual_access:  read_only
        .address_space:  global
        .offset:         24
        .size:           8
        .value_kind:     global_buffer
      - .actual_access:  read_only
        .address_space:  global
        .offset:         32
        .size:           8
        .value_kind:     global_buffer
      - .offset:         40
        .size:           4
        .value_kind:     by_value
      - .offset:         44
        .size:           4
        .value_kind:     by_value
      - .actual_access:  write_only
        .address_space:  global
        .offset:         48
        .size:           8
        .value_kind:     global_buffer
      - .actual_access:  write_only
        .address_space:  global
        .offset:         56
        .size:           8
        .value_kind:     global_buffer
      - .actual_access:  write_only
        .address_space:  global
        .offset:         64
        .size:           8
        .value_kind:     global_buffer
    .group_segment_fixed_size: 0
    .kernarg_segment_align: 8
    .kernarg_segment_size: 72
    .language:       OpenCL C
    .language_version:
      - 2
      - 0
    .max_flat_workgroup_size: 1024
    .name:           _ZN9rocsparseL33bsr2csr_block_per_row_8_32_kernelILj1024ELj8E21rocsparse_complex_numIdEliEEv20rocsparse_direction_T3_S4_21rocsparse_index_base_PKT1_PKT2_PKS4_S4_S5_PS6_PS9_PS4_
    .private_segment_fixed_size: 0
    .sgpr_count:     28
    .sgpr_spill_count: 0
    .symbol:         _ZN9rocsparseL33bsr2csr_block_per_row_8_32_kernelILj1024ELj8E21rocsparse_complex_numIdEliEEv20rocsparse_direction_T3_S4_21rocsparse_index_base_PKT1_PKT2_PKS4_S4_S5_PS6_PS9_PS4_.kd
    .uniform_work_group_size: 1
    .uses_dynamic_stack: false
    .vgpr_count:     18
    .vgpr_spill_count: 0
    .wavefront_size: 32
  - .args:
      - .offset:         0
        .size:           4
        .value_kind:     by_value
      - .offset:         4
        .size:           4
        .value_kind:     by_value
      - .offset:         8
        .size:           4
        .value_kind:     by_value
      - .offset:         12
        .size:           4
        .value_kind:     by_value
      - .actual_access:  read_only
        .address_space:  global
        .offset:         16
        .size:           8
        .value_kind:     global_buffer
      - .actual_access:  read_only
        .address_space:  global
        .offset:         24
        .size:           8
        .value_kind:     global_buffer
      - .actual_access:  read_only
        .address_space:  global
        .offset:         32
        .size:           8
        .value_kind:     global_buffer
      - .offset:         40
        .size:           4
        .value_kind:     by_value
      - .offset:         44
        .size:           4
        .value_kind:     by_value
      - .actual_access:  write_only
        .address_space:  global
        .offset:         48
        .size:           8
        .value_kind:     global_buffer
      - .actual_access:  write_only
        .address_space:  global
        .offset:         56
        .size:           8
        .value_kind:     global_buffer
      - .actual_access:  write_only
        .address_space:  global
        .offset:         64
        .size:           8
        .value_kind:     global_buffer
    .group_segment_fixed_size: 0
    .kernarg_segment_align: 8
    .kernarg_segment_size: 72
    .language:       OpenCL C
    .language_version:
      - 2
      - 0
    .max_flat_workgroup_size: 1024
    .name:           _ZN9rocsparseL33bsr2csr_block_per_row_8_32_kernelILj1024ELj16E21rocsparse_complex_numIdEliEEv20rocsparse_direction_T3_S4_21rocsparse_index_base_PKT1_PKT2_PKS4_S4_S5_PS6_PS9_PS4_
    .private_segment_fixed_size: 0
    .sgpr_count:     28
    .sgpr_spill_count: 0
    .symbol:         _ZN9rocsparseL33bsr2csr_block_per_row_8_32_kernelILj1024ELj16E21rocsparse_complex_numIdEliEEv20rocsparse_direction_T3_S4_21rocsparse_index_base_PKT1_PKT2_PKS4_S4_S5_PS6_PS9_PS4_.kd
    .uniform_work_group_size: 1
    .uses_dynamic_stack: false
    .vgpr_count:     18
    .vgpr_spill_count: 0
    .wavefront_size: 32
  - .args:
      - .offset:         0
        .size:           4
        .value_kind:     by_value
      - .offset:         4
        .size:           4
        .value_kind:     by_value
      - .offset:         8
        .size:           4
        .value_kind:     by_value
      - .offset:         12
        .size:           4
        .value_kind:     by_value
      - .actual_access:  read_only
        .address_space:  global
        .offset:         16
        .size:           8
        .value_kind:     global_buffer
      - .actual_access:  read_only
        .address_space:  global
        .offset:         24
        .size:           8
        .value_kind:     global_buffer
      - .actual_access:  read_only
        .address_space:  global
        .offset:         32
        .size:           8
        .value_kind:     global_buffer
      - .offset:         40
        .size:           4
        .value_kind:     by_value
      - .offset:         44
        .size:           4
        .value_kind:     by_value
      - .actual_access:  write_only
        .address_space:  global
        .offset:         48
        .size:           8
        .value_kind:     global_buffer
      - .actual_access:  write_only
        .address_space:  global
        .offset:         56
        .size:           8
        .value_kind:     global_buffer
      - .actual_access:  write_only
        .address_space:  global
        .offset:         64
        .size:           8
        .value_kind:     global_buffer
    .group_segment_fixed_size: 0
    .kernarg_segment_align: 8
    .kernarg_segment_size: 72
    .language:       OpenCL C
    .language_version:
      - 2
      - 0
    .max_flat_workgroup_size: 1024
    .name:           _ZN9rocsparseL33bsr2csr_block_per_row_8_32_kernelILj1024ELj32E21rocsparse_complex_numIdEliEEv20rocsparse_direction_T3_S4_21rocsparse_index_base_PKT1_PKT2_PKS4_S4_S5_PS6_PS9_PS4_
    .private_segment_fixed_size: 0
    .sgpr_count:     30
    .sgpr_spill_count: 0
    .symbol:         _ZN9rocsparseL33bsr2csr_block_per_row_8_32_kernelILj1024ELj32E21rocsparse_complex_numIdEliEEv20rocsparse_direction_T3_S4_21rocsparse_index_base_PKT1_PKT2_PKS4_S4_S5_PS6_PS9_PS4_.kd
    .uniform_work_group_size: 1
    .uses_dynamic_stack: false
    .vgpr_count:     14
    .vgpr_spill_count: 0
    .wavefront_size: 32
  - .args:
      - .offset:         0
        .size:           4
        .value_kind:     by_value
      - .offset:         4
        .size:           4
        .value_kind:     by_value
      - .offset:         8
        .size:           4
        .value_kind:     by_value
      - .offset:         12
        .size:           4
        .value_kind:     by_value
      - .actual_access:  read_only
        .address_space:  global
        .offset:         16
        .size:           8
        .value_kind:     global_buffer
      - .actual_access:  read_only
        .address_space:  global
        .offset:         24
        .size:           8
        .value_kind:     global_buffer
      - .actual_access:  read_only
        .address_space:  global
        .offset:         32
        .size:           8
        .value_kind:     global_buffer
      - .offset:         40
        .size:           4
        .value_kind:     by_value
      - .offset:         44
        .size:           4
        .value_kind:     by_value
      - .actual_access:  write_only
        .address_space:  global
        .offset:         48
        .size:           8
        .value_kind:     global_buffer
      - .actual_access:  write_only
        .address_space:  global
        .offset:         56
        .size:           8
        .value_kind:     global_buffer
      - .actual_access:  write_only
        .address_space:  global
        .offset:         64
        .size:           8
        .value_kind:     global_buffer
    .group_segment_fixed_size: 0
    .kernarg_segment_align: 8
    .kernarg_segment_size: 72
    .language:       OpenCL C
    .language_version:
      - 2
      - 0
    .max_flat_workgroup_size: 1024
    .name:           _ZN9rocsparseL35bsr2csr_block_per_row_33_256_kernelILj1024ELj64ELj32E21rocsparse_complex_numIdEliEEv20rocsparse_direction_T4_S4_21rocsparse_index_base_PKT2_PKT3_PKS4_S4_S5_PS6_PS9_PS4_
    .private_segment_fixed_size: 0
    .sgpr_count:     36
    .sgpr_spill_count: 0
    .symbol:         _ZN9rocsparseL35bsr2csr_block_per_row_33_256_kernelILj1024ELj64ELj32E21rocsparse_complex_numIdEliEEv20rocsparse_direction_T4_S4_21rocsparse_index_base_PKT2_PKT3_PKS4_S4_S5_PS6_PS9_PS4_.kd
    .uniform_work_group_size: 1
    .uses_dynamic_stack: false
    .vgpr_count:     36
    .vgpr_spill_count: 0
    .wavefront_size: 32
  - .args:
      - .offset:         0
        .size:           4
        .value_kind:     by_value
      - .offset:         4
        .size:           4
        .value_kind:     by_value
      - .offset:         8
        .size:           4
        .value_kind:     by_value
      - .offset:         12
        .size:           4
        .value_kind:     by_value
      - .actual_access:  read_only
        .address_space:  global
        .offset:         16
        .size:           8
        .value_kind:     global_buffer
      - .actual_access:  read_only
        .address_space:  global
        .offset:         24
        .size:           8
        .value_kind:     global_buffer
      - .actual_access:  read_only
        .address_space:  global
        .offset:         32
        .size:           8
        .value_kind:     global_buffer
      - .offset:         40
        .size:           4
        .value_kind:     by_value
      - .offset:         44
        .size:           4
        .value_kind:     by_value
      - .actual_access:  write_only
        .address_space:  global
        .offset:         48
        .size:           8
        .value_kind:     global_buffer
      - .actual_access:  write_only
        .address_space:  global
        .offset:         56
        .size:           8
        .value_kind:     global_buffer
      - .actual_access:  write_only
        .address_space:  global
        .offset:         64
        .size:           8
        .value_kind:     global_buffer
    .group_segment_fixed_size: 0
    .kernarg_segment_align: 8
    .kernarg_segment_size: 72
    .language:       OpenCL C
    .language_version:
      - 2
      - 0
    .max_flat_workgroup_size: 1024
    .name:           _ZN9rocsparseL35bsr2csr_block_per_row_33_256_kernelILj1024ELj128ELj32E21rocsparse_complex_numIdEliEEv20rocsparse_direction_T4_S4_21rocsparse_index_base_PKT2_PKT3_PKS4_S4_S5_PS6_PS9_PS4_
    .private_segment_fixed_size: 0
    .sgpr_count:     49
    .sgpr_spill_count: 0
    .symbol:         _ZN9rocsparseL35bsr2csr_block_per_row_33_256_kernelILj1024ELj128ELj32E21rocsparse_complex_numIdEliEEv20rocsparse_direction_T4_S4_21rocsparse_index_base_PKT2_PKT3_PKS4_S4_S5_PS6_PS9_PS4_.kd
    .uniform_work_group_size: 1
    .uses_dynamic_stack: false
    .vgpr_count:     58
    .vgpr_spill_count: 0
    .wavefront_size: 32
  - .args:
      - .offset:         0
        .size:           4
        .value_kind:     by_value
      - .offset:         4
        .size:           4
        .value_kind:     by_value
      - .offset:         8
        .size:           4
        .value_kind:     by_value
      - .offset:         12
        .size:           4
        .value_kind:     by_value
      - .actual_access:  read_only
        .address_space:  global
        .offset:         16
        .size:           8
        .value_kind:     global_buffer
      - .actual_access:  read_only
        .address_space:  global
        .offset:         24
        .size:           8
        .value_kind:     global_buffer
      - .actual_access:  read_only
        .address_space:  global
        .offset:         32
        .size:           8
        .value_kind:     global_buffer
      - .offset:         40
        .size:           4
        .value_kind:     by_value
      - .offset:         44
        .size:           4
        .value_kind:     by_value
      - .actual_access:  write_only
        .address_space:  global
        .offset:         48
        .size:           8
        .value_kind:     global_buffer
      - .actual_access:  write_only
        .address_space:  global
        .offset:         56
        .size:           8
        .value_kind:     global_buffer
      - .actual_access:  write_only
        .address_space:  global
        .offset:         64
        .size:           8
        .value_kind:     global_buffer
    .group_segment_fixed_size: 0
    .kernarg_segment_align: 8
    .kernarg_segment_size: 72
    .language:       OpenCL C
    .language_version:
      - 2
      - 0
    .max_flat_workgroup_size: 1024
    .name:           _ZN9rocsparseL35bsr2csr_block_per_row_33_256_kernelILj1024ELj256ELj32E21rocsparse_complex_numIdEliEEv20rocsparse_direction_T4_S4_21rocsparse_index_base_PKT2_PKT3_PKS4_S4_S5_PS6_PS9_PS4_
    .private_segment_fixed_size: 0
    .sgpr_count:     95
    .sgpr_spill_count: 0
    .symbol:         _ZN9rocsparseL35bsr2csr_block_per_row_33_256_kernelILj1024ELj256ELj32E21rocsparse_complex_numIdEliEEv20rocsparse_direction_T4_S4_21rocsparse_index_base_PKT2_PKT3_PKS4_S4_S5_PS6_PS9_PS4_.kd
    .uniform_work_group_size: 1
    .uses_dynamic_stack: false
    .vgpr_count:     96
    .vgpr_spill_count: 0
    .wavefront_size: 32
  - .args:
      - .offset:         0
        .size:           8
        .value_kind:     by_value
      - .offset:         8
        .size:           8
        .value_kind:     by_value
      - .offset:         16
        .size:           4
        .value_kind:     by_value
      - .actual_access:  read_only
        .address_space:  global
        .offset:         24
        .size:           8
        .value_kind:     global_buffer
      - .actual_access:  read_only
        .address_space:  global
        .offset:         32
        .size:           8
        .value_kind:     global_buffer
      - .actual_access:  read_only
        .address_space:  global
        .offset:         40
        .size:           8
        .value_kind:     global_buffer
      - .offset:         48
        .size:           4
        .value_kind:     by_value
      - .actual_access:  write_only
        .address_space:  global
        .offset:         56
        .size:           8
        .value_kind:     global_buffer
      - .actual_access:  write_only
        .address_space:  global
        .offset:         64
        .size:           8
        .value_kind:     global_buffer
      - .actual_access:  write_only
        .address_space:  global
        .offset:         72
        .size:           8
        .value_kind:     global_buffer
      - .offset:         80
        .size:           4
        .value_kind:     hidden_block_count_x
      - .offset:         84
        .size:           4
        .value_kind:     hidden_block_count_y
      - .offset:         88
        .size:           4
        .value_kind:     hidden_block_count_z
      - .offset:         92
        .size:           2
        .value_kind:     hidden_group_size_x
      - .offset:         94
        .size:           2
        .value_kind:     hidden_group_size_y
      - .offset:         96
        .size:           2
        .value_kind:     hidden_group_size_z
      - .offset:         98
        .size:           2
        .value_kind:     hidden_remainder_x
      - .offset:         100
        .size:           2
        .value_kind:     hidden_remainder_y
      - .offset:         102
        .size:           2
        .value_kind:     hidden_remainder_z
      - .offset:         120
        .size:           8
        .value_kind:     hidden_global_offset_x
      - .offset:         128
        .size:           8
        .value_kind:     hidden_global_offset_y
      - .offset:         136
        .size:           8
        .value_kind:     hidden_global_offset_z
      - .offset:         144
        .size:           2
        .value_kind:     hidden_grid_dims
    .group_segment_fixed_size: 0
    .kernarg_segment_align: 8
    .kernarg_segment_size: 336
    .language:       OpenCL C
    .language_version:
      - 2
      - 0
    .max_flat_workgroup_size: 1024
    .name:           _ZN9rocsparseL35bsr2csr_block_dim_equals_one_kernelILj1024E21rocsparse_complex_numIdEilEEvT2_S3_21rocsparse_index_base_PKT0_PKT1_PKS3_S4_PS5_PS8_PS3_
    .private_segment_fixed_size: 0
    .sgpr_count:     21
    .sgpr_spill_count: 0
    .symbol:         _ZN9rocsparseL35bsr2csr_block_dim_equals_one_kernelILj1024E21rocsparse_complex_numIdEilEEvT2_S3_21rocsparse_index_base_PKT0_PKT1_PKS3_S4_PS5_PS8_PS3_.kd
    .uniform_work_group_size: 1
    .uses_dynamic_stack: false
    .vgpr_count:     16
    .vgpr_spill_count: 0
    .wavefront_size: 32
  - .args:
      - .offset:         0
        .size:           4
        .value_kind:     by_value
      - .offset:         8
        .size:           8
        .value_kind:     by_value
      - .offset:         16
        .size:           8
        .value_kind:     by_value
      - .offset:         24
        .size:           4
        .value_kind:     by_value
      - .actual_access:  read_only
        .address_space:  global
        .offset:         32
        .size:           8
        .value_kind:     global_buffer
      - .actual_access:  read_only
        .address_space:  global
        .offset:         40
        .size:           8
        .value_kind:     global_buffer
      - .actual_access:  read_only
        .address_space:  global
        .offset:         48
        .size:           8
        .value_kind:     global_buffer
      - .offset:         56
        .size:           8
        .value_kind:     by_value
      - .offset:         64
        .size:           4
        .value_kind:     by_value
      - .actual_access:  write_only
        .address_space:  global
        .offset:         72
        .size:           8
        .value_kind:     global_buffer
      - .actual_access:  write_only
        .address_space:  global
        .offset:         80
        .size:           8
        .value_kind:     global_buffer
      - .actual_access:  write_only
        .address_space:  global
        .offset:         88
        .size:           8
        .value_kind:     global_buffer
    .group_segment_fixed_size: 0
    .kernarg_segment_align: 8
    .kernarg_segment_size: 96
    .language:       OpenCL C
    .language_version:
      - 2
      - 0
    .max_flat_workgroup_size: 256
    .name:           _ZN9rocsparseL32bsr2csr_block_per_row_2_7_kernelILj256ELj2E21rocsparse_complex_numIdEilEEv20rocsparse_direction_T3_S4_21rocsparse_index_base_PKT1_PKT2_PKS4_S4_S5_PS6_PS9_PS4_
    .private_segment_fixed_size: 0
    .sgpr_count:     18
    .sgpr_spill_count: 0
    .symbol:         _ZN9rocsparseL32bsr2csr_block_per_row_2_7_kernelILj256ELj2E21rocsparse_complex_numIdEilEEv20rocsparse_direction_T3_S4_21rocsparse_index_base_PKT1_PKT2_PKS4_S4_S5_PS6_PS9_PS4_.kd
    .uniform_work_group_size: 1
    .uses_dynamic_stack: false
    .vgpr_count:     24
    .vgpr_spill_count: 0
    .wavefront_size: 32
  - .args:
      - .offset:         0
        .size:           4
        .value_kind:     by_value
      - .offset:         8
        .size:           8
        .value_kind:     by_value
      - .offset:         16
        .size:           8
        .value_kind:     by_value
      - .offset:         24
        .size:           4
        .value_kind:     by_value
      - .actual_access:  read_only
        .address_space:  global
        .offset:         32
        .size:           8
        .value_kind:     global_buffer
      - .actual_access:  read_only
        .address_space:  global
        .offset:         40
        .size:           8
        .value_kind:     global_buffer
      - .actual_access:  read_only
        .address_space:  global
        .offset:         48
        .size:           8
        .value_kind:     global_buffer
      - .offset:         56
        .size:           8
        .value_kind:     by_value
      - .offset:         64
        .size:           4
        .value_kind:     by_value
      - .actual_access:  write_only
        .address_space:  global
        .offset:         72
        .size:           8
        .value_kind:     global_buffer
      - .actual_access:  write_only
        .address_space:  global
        .offset:         80
        .size:           8
        .value_kind:     global_buffer
      - .actual_access:  write_only
        .address_space:  global
        .offset:         88
        .size:           8
        .value_kind:     global_buffer
    .group_segment_fixed_size: 0
    .kernarg_segment_align: 8
    .kernarg_segment_size: 96
    .language:       OpenCL C
    .language_version:
      - 2
      - 0
    .max_flat_workgroup_size: 256
    .name:           _ZN9rocsparseL32bsr2csr_block_per_row_2_7_kernelILj256ELj3E21rocsparse_complex_numIdEilEEv20rocsparse_direction_T3_S4_21rocsparse_index_base_PKT1_PKT2_PKS4_S4_S5_PS6_PS9_PS4_
    .private_segment_fixed_size: 0
    .sgpr_count:     18
    .sgpr_spill_count: 0
    .symbol:         _ZN9rocsparseL32bsr2csr_block_per_row_2_7_kernelILj256ELj3E21rocsparse_complex_numIdEilEEv20rocsparse_direction_T3_S4_21rocsparse_index_base_PKT1_PKT2_PKS4_S4_S5_PS6_PS9_PS4_.kd
    .uniform_work_group_size: 1
    .uses_dynamic_stack: false
    .vgpr_count:     30
    .vgpr_spill_count: 0
    .wavefront_size: 32
  - .args:
      - .offset:         0
        .size:           4
        .value_kind:     by_value
      - .offset:         8
        .size:           8
        .value_kind:     by_value
      - .offset:         16
        .size:           8
        .value_kind:     by_value
      - .offset:         24
        .size:           4
        .value_kind:     by_value
      - .actual_access:  read_only
        .address_space:  global
        .offset:         32
        .size:           8
        .value_kind:     global_buffer
      - .actual_access:  read_only
        .address_space:  global
        .offset:         40
        .size:           8
        .value_kind:     global_buffer
      - .actual_access:  read_only
        .address_space:  global
        .offset:         48
        .size:           8
        .value_kind:     global_buffer
      - .offset:         56
        .size:           8
        .value_kind:     by_value
      - .offset:         64
        .size:           4
        .value_kind:     by_value
      - .actual_access:  write_only
        .address_space:  global
        .offset:         72
        .size:           8
        .value_kind:     global_buffer
      - .actual_access:  write_only
        .address_space:  global
        .offset:         80
        .size:           8
        .value_kind:     global_buffer
      - .actual_access:  write_only
        .address_space:  global
        .offset:         88
        .size:           8
        .value_kind:     global_buffer
    .group_segment_fixed_size: 0
    .kernarg_segment_align: 8
    .kernarg_segment_size: 96
    .language:       OpenCL C
    .language_version:
      - 2
      - 0
    .max_flat_workgroup_size: 256
    .name:           _ZN9rocsparseL32bsr2csr_block_per_row_2_7_kernelILj256ELj4E21rocsparse_complex_numIdEilEEv20rocsparse_direction_T3_S4_21rocsparse_index_base_PKT1_PKT2_PKS4_S4_S5_PS6_PS9_PS4_
    .private_segment_fixed_size: 0
    .sgpr_count:     18
    .sgpr_spill_count: 0
    .symbol:         _ZN9rocsparseL32bsr2csr_block_per_row_2_7_kernelILj256ELj4E21rocsparse_complex_numIdEilEEv20rocsparse_direction_T3_S4_21rocsparse_index_base_PKT1_PKT2_PKS4_S4_S5_PS6_PS9_PS4_.kd
    .uniform_work_group_size: 1
    .uses_dynamic_stack: false
    .vgpr_count:     36
    .vgpr_spill_count: 0
    .wavefront_size: 32
  - .args:
      - .offset:         0
        .size:           4
        .value_kind:     by_value
      - .offset:         8
        .size:           8
        .value_kind:     by_value
      - .offset:         16
        .size:           8
        .value_kind:     by_value
      - .offset:         24
        .size:           4
        .value_kind:     by_value
      - .actual_access:  read_only
        .address_space:  global
        .offset:         32
        .size:           8
        .value_kind:     global_buffer
      - .actual_access:  read_only
        .address_space:  global
        .offset:         40
        .size:           8
        .value_kind:     global_buffer
      - .actual_access:  read_only
        .address_space:  global
        .offset:         48
        .size:           8
        .value_kind:     global_buffer
      - .offset:         56
        .size:           8
        .value_kind:     by_value
      - .offset:         64
        .size:           4
        .value_kind:     by_value
      - .actual_access:  write_only
        .address_space:  global
        .offset:         72
        .size:           8
        .value_kind:     global_buffer
      - .actual_access:  write_only
        .address_space:  global
        .offset:         80
        .size:           8
        .value_kind:     global_buffer
      - .actual_access:  write_only
        .address_space:  global
        .offset:         88
        .size:           8
        .value_kind:     global_buffer
    .group_segment_fixed_size: 0
    .kernarg_segment_align: 8
    .kernarg_segment_size: 96
    .language:       OpenCL C
    .language_version:
      - 2
      - 0
    .max_flat_workgroup_size: 256
    .name:           _ZN9rocsparseL32bsr2csr_block_per_row_2_7_kernelILj256ELj5E21rocsparse_complex_numIdEilEEv20rocsparse_direction_T3_S4_21rocsparse_index_base_PKT1_PKT2_PKS4_S4_S5_PS6_PS9_PS4_
    .private_segment_fixed_size: 0
    .sgpr_count:     18
    .sgpr_spill_count: 0
    .symbol:         _ZN9rocsparseL32bsr2csr_block_per_row_2_7_kernelILj256ELj5E21rocsparse_complex_numIdEilEEv20rocsparse_direction_T3_S4_21rocsparse_index_base_PKT1_PKT2_PKS4_S4_S5_PS6_PS9_PS4_.kd
    .uniform_work_group_size: 1
    .uses_dynamic_stack: false
    .vgpr_count:     40
    .vgpr_spill_count: 0
    .wavefront_size: 32
  - .args:
      - .offset:         0
        .size:           4
        .value_kind:     by_value
      - .offset:         8
        .size:           8
        .value_kind:     by_value
      - .offset:         16
        .size:           8
        .value_kind:     by_value
      - .offset:         24
        .size:           4
        .value_kind:     by_value
      - .actual_access:  read_only
        .address_space:  global
        .offset:         32
        .size:           8
        .value_kind:     global_buffer
      - .actual_access:  read_only
        .address_space:  global
        .offset:         40
        .size:           8
        .value_kind:     global_buffer
      - .actual_access:  read_only
        .address_space:  global
        .offset:         48
        .size:           8
        .value_kind:     global_buffer
      - .offset:         56
        .size:           8
        .value_kind:     by_value
      - .offset:         64
        .size:           4
        .value_kind:     by_value
      - .actual_access:  write_only
        .address_space:  global
        .offset:         72
        .size:           8
        .value_kind:     global_buffer
      - .actual_access:  write_only
        .address_space:  global
        .offset:         80
        .size:           8
        .value_kind:     global_buffer
      - .actual_access:  write_only
        .address_space:  global
        .offset:         88
        .size:           8
        .value_kind:     global_buffer
    .group_segment_fixed_size: 0
    .kernarg_segment_align: 8
    .kernarg_segment_size: 96
    .language:       OpenCL C
    .language_version:
      - 2
      - 0
    .max_flat_workgroup_size: 256
    .name:           _ZN9rocsparseL32bsr2csr_block_per_row_2_7_kernelILj256ELj6E21rocsparse_complex_numIdEilEEv20rocsparse_direction_T3_S4_21rocsparse_index_base_PKT1_PKT2_PKS4_S4_S5_PS6_PS9_PS4_
    .private_segment_fixed_size: 0
    .sgpr_count:     18
    .sgpr_spill_count: 0
    .symbol:         _ZN9rocsparseL32bsr2csr_block_per_row_2_7_kernelILj256ELj6E21rocsparse_complex_numIdEilEEv20rocsparse_direction_T3_S4_21rocsparse_index_base_PKT1_PKT2_PKS4_S4_S5_PS6_PS9_PS4_.kd
    .uniform_work_group_size: 1
    .uses_dynamic_stack: false
    .vgpr_count:     46
    .vgpr_spill_count: 0
    .wavefront_size: 32
  - .args:
      - .offset:         0
        .size:           4
        .value_kind:     by_value
      - .offset:         8
        .size:           8
        .value_kind:     by_value
      - .offset:         16
        .size:           8
        .value_kind:     by_value
      - .offset:         24
        .size:           4
        .value_kind:     by_value
      - .actual_access:  read_only
        .address_space:  global
        .offset:         32
        .size:           8
        .value_kind:     global_buffer
      - .actual_access:  read_only
        .address_space:  global
        .offset:         40
        .size:           8
        .value_kind:     global_buffer
      - .actual_access:  read_only
        .address_space:  global
        .offset:         48
        .size:           8
        .value_kind:     global_buffer
      - .offset:         56
        .size:           8
        .value_kind:     by_value
      - .offset:         64
        .size:           4
        .value_kind:     by_value
      - .actual_access:  write_only
        .address_space:  global
        .offset:         72
        .size:           8
        .value_kind:     global_buffer
      - .actual_access:  write_only
        .address_space:  global
        .offset:         80
        .size:           8
        .value_kind:     global_buffer
      - .actual_access:  write_only
        .address_space:  global
        .offset:         88
        .size:           8
        .value_kind:     global_buffer
    .group_segment_fixed_size: 0
    .kernarg_segment_align: 8
    .kernarg_segment_size: 96
    .language:       OpenCL C
    .language_version:
      - 2
      - 0
    .max_flat_workgroup_size: 256
    .name:           _ZN9rocsparseL32bsr2csr_block_per_row_2_7_kernelILj256ELj7E21rocsparse_complex_numIdEilEEv20rocsparse_direction_T3_S4_21rocsparse_index_base_PKT1_PKT2_PKS4_S4_S5_PS6_PS9_PS4_
    .private_segment_fixed_size: 0
    .sgpr_count:     18
    .sgpr_spill_count: 0
    .symbol:         _ZN9rocsparseL32bsr2csr_block_per_row_2_7_kernelILj256ELj7E21rocsparse_complex_numIdEilEEv20rocsparse_direction_T3_S4_21rocsparse_index_base_PKT1_PKT2_PKS4_S4_S5_PS6_PS9_PS4_.kd
    .uniform_work_group_size: 1
    .uses_dynamic_stack: false
    .vgpr_count:     52
    .vgpr_spill_count: 0
    .wavefront_size: 32
  - .args:
      - .offset:         0
        .size:           4
        .value_kind:     by_value
      - .offset:         8
        .size:           8
        .value_kind:     by_value
      - .offset:         16
        .size:           8
        .value_kind:     by_value
      - .offset:         24
        .size:           4
        .value_kind:     by_value
      - .actual_access:  read_only
        .address_space:  global
        .offset:         32
        .size:           8
        .value_kind:     global_buffer
      - .actual_access:  read_only
        .address_space:  global
        .offset:         40
        .size:           8
        .value_kind:     global_buffer
      - .actual_access:  read_only
        .address_space:  global
        .offset:         48
        .size:           8
        .value_kind:     global_buffer
      - .offset:         56
        .size:           8
        .value_kind:     by_value
      - .offset:         64
        .size:           4
        .value_kind:     by_value
      - .actual_access:  write_only
        .address_space:  global
        .offset:         72
        .size:           8
        .value_kind:     global_buffer
      - .actual_access:  write_only
        .address_space:  global
        .offset:         80
        .size:           8
        .value_kind:     global_buffer
      - .actual_access:  write_only
        .address_space:  global
        .offset:         88
        .size:           8
        .value_kind:     global_buffer
    .group_segment_fixed_size: 0
    .kernarg_segment_align: 8
    .kernarg_segment_size: 96
    .language:       OpenCL C
    .language_version:
      - 2
      - 0
    .max_flat_workgroup_size: 1024
    .name:           _ZN9rocsparseL33bsr2csr_block_per_row_8_32_kernelILj1024ELj8E21rocsparse_complex_numIdEilEEv20rocsparse_direction_T3_S4_21rocsparse_index_base_PKT1_PKT2_PKS4_S4_S5_PS6_PS9_PS4_
    .private_segment_fixed_size: 0
    .sgpr_count:     22
    .sgpr_spill_count: 0
    .symbol:         _ZN9rocsparseL33bsr2csr_block_per_row_8_32_kernelILj1024ELj8E21rocsparse_complex_numIdEilEEv20rocsparse_direction_T3_S4_21rocsparse_index_base_PKT1_PKT2_PKS4_S4_S5_PS6_PS9_PS4_.kd
    .uniform_work_group_size: 1
    .uses_dynamic_stack: false
    .vgpr_count:     20
    .vgpr_spill_count: 0
    .wavefront_size: 32
  - .args:
      - .offset:         0
        .size:           4
        .value_kind:     by_value
      - .offset:         8
        .size:           8
        .value_kind:     by_value
      - .offset:         16
        .size:           8
        .value_kind:     by_value
      - .offset:         24
        .size:           4
        .value_kind:     by_value
      - .actual_access:  read_only
        .address_space:  global
        .offset:         32
        .size:           8
        .value_kind:     global_buffer
      - .actual_access:  read_only
        .address_space:  global
        .offset:         40
        .size:           8
        .value_kind:     global_buffer
      - .actual_access:  read_only
        .address_space:  global
        .offset:         48
        .size:           8
        .value_kind:     global_buffer
      - .offset:         56
        .size:           8
        .value_kind:     by_value
      - .offset:         64
        .size:           4
        .value_kind:     by_value
      - .actual_access:  write_only
        .address_space:  global
        .offset:         72
        .size:           8
        .value_kind:     global_buffer
      - .actual_access:  write_only
        .address_space:  global
        .offset:         80
        .size:           8
        .value_kind:     global_buffer
      - .actual_access:  write_only
        .address_space:  global
        .offset:         88
        .size:           8
        .value_kind:     global_buffer
    .group_segment_fixed_size: 0
    .kernarg_segment_align: 8
    .kernarg_segment_size: 96
    .language:       OpenCL C
    .language_version:
      - 2
      - 0
    .max_flat_workgroup_size: 1024
    .name:           _ZN9rocsparseL33bsr2csr_block_per_row_8_32_kernelILj1024ELj16E21rocsparse_complex_numIdEilEEv20rocsparse_direction_T3_S4_21rocsparse_index_base_PKT1_PKT2_PKS4_S4_S5_PS6_PS9_PS4_
    .private_segment_fixed_size: 0
    .sgpr_count:     22
    .sgpr_spill_count: 0
    .symbol:         _ZN9rocsparseL33bsr2csr_block_per_row_8_32_kernelILj1024ELj16E21rocsparse_complex_numIdEilEEv20rocsparse_direction_T3_S4_21rocsparse_index_base_PKT1_PKT2_PKS4_S4_S5_PS6_PS9_PS4_.kd
    .uniform_work_group_size: 1
    .uses_dynamic_stack: false
    .vgpr_count:     20
    .vgpr_spill_count: 0
    .wavefront_size: 32
  - .args:
      - .offset:         0
        .size:           4
        .value_kind:     by_value
      - .offset:         8
        .size:           8
        .value_kind:     by_value
      - .offset:         16
        .size:           8
        .value_kind:     by_value
      - .offset:         24
        .size:           4
        .value_kind:     by_value
      - .actual_access:  read_only
        .address_space:  global
        .offset:         32
        .size:           8
        .value_kind:     global_buffer
      - .actual_access:  read_only
        .address_space:  global
        .offset:         40
        .size:           8
        .value_kind:     global_buffer
      - .actual_access:  read_only
        .address_space:  global
        .offset:         48
        .size:           8
        .value_kind:     global_buffer
      - .offset:         56
        .size:           8
        .value_kind:     by_value
      - .offset:         64
        .size:           4
        .value_kind:     by_value
      - .actual_access:  write_only
        .address_space:  global
        .offset:         72
        .size:           8
        .value_kind:     global_buffer
      - .actual_access:  write_only
        .address_space:  global
        .offset:         80
        .size:           8
        .value_kind:     global_buffer
      - .actual_access:  write_only
        .address_space:  global
        .offset:         88
        .size:           8
        .value_kind:     global_buffer
    .group_segment_fixed_size: 0
    .kernarg_segment_align: 8
    .kernarg_segment_size: 96
    .language:       OpenCL C
    .language_version:
      - 2
      - 0
    .max_flat_workgroup_size: 1024
    .name:           _ZN9rocsparseL33bsr2csr_block_per_row_8_32_kernelILj1024ELj32E21rocsparse_complex_numIdEilEEv20rocsparse_direction_T3_S4_21rocsparse_index_base_PKT1_PKT2_PKS4_S4_S5_PS6_PS9_PS4_
    .private_segment_fixed_size: 0
    .sgpr_count:     24
    .sgpr_spill_count: 0
    .symbol:         _ZN9rocsparseL33bsr2csr_block_per_row_8_32_kernelILj1024ELj32E21rocsparse_complex_numIdEilEEv20rocsparse_direction_T3_S4_21rocsparse_index_base_PKT1_PKT2_PKS4_S4_S5_PS6_PS9_PS4_.kd
    .uniform_work_group_size: 1
    .uses_dynamic_stack: false
    .vgpr_count:     16
    .vgpr_spill_count: 0
    .wavefront_size: 32
  - .args:
      - .offset:         0
        .size:           4
        .value_kind:     by_value
      - .offset:         8
        .size:           8
        .value_kind:     by_value
      - .offset:         16
        .size:           8
        .value_kind:     by_value
      - .offset:         24
        .size:           4
        .value_kind:     by_value
      - .actual_access:  read_only
        .address_space:  global
        .offset:         32
        .size:           8
        .value_kind:     global_buffer
      - .actual_access:  read_only
        .address_space:  global
        .offset:         40
        .size:           8
        .value_kind:     global_buffer
      - .actual_access:  read_only
        .address_space:  global
        .offset:         48
        .size:           8
        .value_kind:     global_buffer
      - .offset:         56
        .size:           8
        .value_kind:     by_value
      - .offset:         64
        .size:           4
        .value_kind:     by_value
      - .actual_access:  write_only
        .address_space:  global
        .offset:         72
        .size:           8
        .value_kind:     global_buffer
      - .actual_access:  write_only
        .address_space:  global
        .offset:         80
        .size:           8
        .value_kind:     global_buffer
      - .actual_access:  write_only
        .address_space:  global
        .offset:         88
        .size:           8
        .value_kind:     global_buffer
    .group_segment_fixed_size: 0
    .kernarg_segment_align: 8
    .kernarg_segment_size: 96
    .language:       OpenCL C
    .language_version:
      - 2
      - 0
    .max_flat_workgroup_size: 1024
    .name:           _ZN9rocsparseL35bsr2csr_block_per_row_33_256_kernelILj1024ELj64ELj32E21rocsparse_complex_numIdEilEEv20rocsparse_direction_T4_S4_21rocsparse_index_base_PKT2_PKT3_PKS4_S4_S5_PS6_PS9_PS4_
    .private_segment_fixed_size: 0
    .sgpr_count:     30
    .sgpr_spill_count: 0
    .symbol:         _ZN9rocsparseL35bsr2csr_block_per_row_33_256_kernelILj1024ELj64ELj32E21rocsparse_complex_numIdEilEEv20rocsparse_direction_T4_S4_21rocsparse_index_base_PKT2_PKT3_PKS4_S4_S5_PS6_PS9_PS4_.kd
    .uniform_work_group_size: 1
    .uses_dynamic_stack: false
    .vgpr_count:     36
    .vgpr_spill_count: 0
    .wavefront_size: 32
  - .args:
      - .offset:         0
        .size:           4
        .value_kind:     by_value
      - .offset:         8
        .size:           8
        .value_kind:     by_value
      - .offset:         16
        .size:           8
        .value_kind:     by_value
      - .offset:         24
        .size:           4
        .value_kind:     by_value
      - .actual_access:  read_only
        .address_space:  global
        .offset:         32
        .size:           8
        .value_kind:     global_buffer
      - .actual_access:  read_only
        .address_space:  global
        .offset:         40
        .size:           8
        .value_kind:     global_buffer
      - .actual_access:  read_only
        .address_space:  global
        .offset:         48
        .size:           8
        .value_kind:     global_buffer
      - .offset:         56
        .size:           8
        .value_kind:     by_value
      - .offset:         64
        .size:           4
        .value_kind:     by_value
      - .actual_access:  write_only
        .address_space:  global
        .offset:         72
        .size:           8
        .value_kind:     global_buffer
      - .actual_access:  write_only
        .address_space:  global
        .offset:         80
        .size:           8
        .value_kind:     global_buffer
      - .actual_access:  write_only
        .address_space:  global
        .offset:         88
        .size:           8
        .value_kind:     global_buffer
    .group_segment_fixed_size: 0
    .kernarg_segment_align: 8
    .kernarg_segment_size: 96
    .language:       OpenCL C
    .language_version:
      - 2
      - 0
    .max_flat_workgroup_size: 1024
    .name:           _ZN9rocsparseL35bsr2csr_block_per_row_33_256_kernelILj1024ELj128ELj32E21rocsparse_complex_numIdEilEEv20rocsparse_direction_T4_S4_21rocsparse_index_base_PKT2_PKT3_PKS4_S4_S5_PS6_PS9_PS4_
    .private_segment_fixed_size: 0
    .sgpr_count:     47
    .sgpr_spill_count: 0
    .symbol:         _ZN9rocsparseL35bsr2csr_block_per_row_33_256_kernelILj1024ELj128ELj32E21rocsparse_complex_numIdEilEEv20rocsparse_direction_T4_S4_21rocsparse_index_base_PKT2_PKT3_PKS4_S4_S5_PS6_PS9_PS4_.kd
    .uniform_work_group_size: 1
    .uses_dynamic_stack: false
    .vgpr_count:     62
    .vgpr_spill_count: 0
    .wavefront_size: 32
  - .args:
      - .offset:         0
        .size:           4
        .value_kind:     by_value
      - .offset:         8
        .size:           8
        .value_kind:     by_value
      - .offset:         16
        .size:           8
        .value_kind:     by_value
      - .offset:         24
        .size:           4
        .value_kind:     by_value
      - .actual_access:  read_only
        .address_space:  global
        .offset:         32
        .size:           8
        .value_kind:     global_buffer
      - .actual_access:  read_only
        .address_space:  global
        .offset:         40
        .size:           8
        .value_kind:     global_buffer
      - .actual_access:  read_only
        .address_space:  global
        .offset:         48
        .size:           8
        .value_kind:     global_buffer
      - .offset:         56
        .size:           8
        .value_kind:     by_value
      - .offset:         64
        .size:           4
        .value_kind:     by_value
      - .actual_access:  write_only
        .address_space:  global
        .offset:         72
        .size:           8
        .value_kind:     global_buffer
      - .actual_access:  write_only
        .address_space:  global
        .offset:         80
        .size:           8
        .value_kind:     global_buffer
      - .actual_access:  write_only
        .address_space:  global
        .offset:         88
        .size:           8
        .value_kind:     global_buffer
    .group_segment_fixed_size: 0
    .kernarg_segment_align: 8
    .kernarg_segment_size: 96
    .language:       OpenCL C
    .language_version:
      - 2
      - 0
    .max_flat_workgroup_size: 1024
    .name:           _ZN9rocsparseL35bsr2csr_block_per_row_33_256_kernelILj1024ELj256ELj32E21rocsparse_complex_numIdEilEEv20rocsparse_direction_T4_S4_21rocsparse_index_base_PKT2_PKT3_PKS4_S4_S5_PS6_PS9_PS4_
    .private_segment_fixed_size: 0
    .sgpr_count:     97
    .sgpr_spill_count: 0
    .symbol:         _ZN9rocsparseL35bsr2csr_block_per_row_33_256_kernelILj1024ELj256ELj32E21rocsparse_complex_numIdEilEEv20rocsparse_direction_T4_S4_21rocsparse_index_base_PKT2_PKT3_PKS4_S4_S5_PS6_PS9_PS4_.kd
    .uniform_work_group_size: 1
    .uses_dynamic_stack: false
    .vgpr_count:     110
    .vgpr_spill_count: 0
    .wavefront_size: 32
  - .args:
      - .offset:         0
        .size:           8
        .value_kind:     by_value
      - .offset:         8
        .size:           8
        .value_kind:     by_value
      - .offset:         16
        .size:           4
        .value_kind:     by_value
      - .actual_access:  read_only
        .address_space:  global
        .offset:         24
        .size:           8
        .value_kind:     global_buffer
      - .actual_access:  read_only
        .address_space:  global
        .offset:         32
        .size:           8
        .value_kind:     global_buffer
      - .actual_access:  read_only
        .address_space:  global
        .offset:         40
        .size:           8
        .value_kind:     global_buffer
      - .offset:         48
        .size:           4
        .value_kind:     by_value
      - .actual_access:  write_only
        .address_space:  global
        .offset:         56
        .size:           8
        .value_kind:     global_buffer
      - .actual_access:  write_only
        .address_space:  global
        .offset:         64
        .size:           8
        .value_kind:     global_buffer
      - .actual_access:  write_only
        .address_space:  global
        .offset:         72
        .size:           8
        .value_kind:     global_buffer
      - .offset:         80
        .size:           4
        .value_kind:     hidden_block_count_x
      - .offset:         84
        .size:           4
        .value_kind:     hidden_block_count_y
      - .offset:         88
        .size:           4
        .value_kind:     hidden_block_count_z
      - .offset:         92
        .size:           2
        .value_kind:     hidden_group_size_x
      - .offset:         94
        .size:           2
        .value_kind:     hidden_group_size_y
      - .offset:         96
        .size:           2
        .value_kind:     hidden_group_size_z
      - .offset:         98
        .size:           2
        .value_kind:     hidden_remainder_x
      - .offset:         100
        .size:           2
        .value_kind:     hidden_remainder_y
      - .offset:         102
        .size:           2
        .value_kind:     hidden_remainder_z
      - .offset:         120
        .size:           8
        .value_kind:     hidden_global_offset_x
      - .offset:         128
        .size:           8
        .value_kind:     hidden_global_offset_y
      - .offset:         136
        .size:           8
        .value_kind:     hidden_global_offset_z
      - .offset:         144
        .size:           2
        .value_kind:     hidden_grid_dims
    .group_segment_fixed_size: 0
    .kernarg_segment_align: 8
    .kernarg_segment_size: 336
    .language:       OpenCL C
    .language_version:
      - 2
      - 0
    .max_flat_workgroup_size: 1024
    .name:           _ZN9rocsparseL35bsr2csr_block_dim_equals_one_kernelILj1024E21rocsparse_complex_numIdEllEEvT2_S3_21rocsparse_index_base_PKT0_PKT1_PKS3_S4_PS5_PS8_PS3_
    .private_segment_fixed_size: 0
    .sgpr_count:     24
    .sgpr_spill_count: 0
    .symbol:         _ZN9rocsparseL35bsr2csr_block_dim_equals_one_kernelILj1024E21rocsparse_complex_numIdEllEEvT2_S3_21rocsparse_index_base_PKT0_PKT1_PKS3_S4_PS5_PS8_PS3_.kd
    .uniform_work_group_size: 1
    .uses_dynamic_stack: false
    .vgpr_count:     16
    .vgpr_spill_count: 0
    .wavefront_size: 32
  - .args:
      - .offset:         0
        .size:           4
        .value_kind:     by_value
      - .offset:         8
        .size:           8
        .value_kind:     by_value
      - .offset:         16
        .size:           8
        .value_kind:     by_value
      - .offset:         24
        .size:           4
        .value_kind:     by_value
      - .actual_access:  read_only
        .address_space:  global
        .offset:         32
        .size:           8
        .value_kind:     global_buffer
      - .actual_access:  read_only
        .address_space:  global
        .offset:         40
        .size:           8
        .value_kind:     global_buffer
      - .actual_access:  read_only
        .address_space:  global
        .offset:         48
        .size:           8
        .value_kind:     global_buffer
      - .offset:         56
        .size:           8
        .value_kind:     by_value
      - .offset:         64
        .size:           4
        .value_kind:     by_value
      - .actual_access:  write_only
        .address_space:  global
        .offset:         72
        .size:           8
        .value_kind:     global_buffer
      - .actual_access:  write_only
        .address_space:  global
        .offset:         80
        .size:           8
        .value_kind:     global_buffer
      - .actual_access:  write_only
        .address_space:  global
        .offset:         88
        .size:           8
        .value_kind:     global_buffer
    .group_segment_fixed_size: 0
    .kernarg_segment_align: 8
    .kernarg_segment_size: 96
    .language:       OpenCL C
    .language_version:
      - 2
      - 0
    .max_flat_workgroup_size: 256
    .name:           _ZN9rocsparseL32bsr2csr_block_per_row_2_7_kernelILj256ELj2E21rocsparse_complex_numIdEllEEv20rocsparse_direction_T3_S4_21rocsparse_index_base_PKT1_PKT2_PKS4_S4_S5_PS6_PS9_PS4_
    .private_segment_fixed_size: 0
    .sgpr_count:     20
    .sgpr_spill_count: 0
    .symbol:         _ZN9rocsparseL32bsr2csr_block_per_row_2_7_kernelILj256ELj2E21rocsparse_complex_numIdEllEEv20rocsparse_direction_T3_S4_21rocsparse_index_base_PKT1_PKT2_PKS4_S4_S5_PS6_PS9_PS4_.kd
    .uniform_work_group_size: 1
    .uses_dynamic_stack: false
    .vgpr_count:     28
    .vgpr_spill_count: 0
    .wavefront_size: 32
  - .args:
      - .offset:         0
        .size:           4
        .value_kind:     by_value
      - .offset:         8
        .size:           8
        .value_kind:     by_value
      - .offset:         16
        .size:           8
        .value_kind:     by_value
      - .offset:         24
        .size:           4
        .value_kind:     by_value
      - .actual_access:  read_only
        .address_space:  global
        .offset:         32
        .size:           8
        .value_kind:     global_buffer
      - .actual_access:  read_only
        .address_space:  global
        .offset:         40
        .size:           8
        .value_kind:     global_buffer
      - .actual_access:  read_only
        .address_space:  global
        .offset:         48
        .size:           8
        .value_kind:     global_buffer
      - .offset:         56
        .size:           8
        .value_kind:     by_value
      - .offset:         64
        .size:           4
        .value_kind:     by_value
      - .actual_access:  write_only
        .address_space:  global
        .offset:         72
        .size:           8
        .value_kind:     global_buffer
      - .actual_access:  write_only
        .address_space:  global
        .offset:         80
        .size:           8
        .value_kind:     global_buffer
      - .actual_access:  write_only
        .address_space:  global
        .offset:         88
        .size:           8
        .value_kind:     global_buffer
    .group_segment_fixed_size: 0
    .kernarg_segment_align: 8
    .kernarg_segment_size: 96
    .language:       OpenCL C
    .language_version:
      - 2
      - 0
    .max_flat_workgroup_size: 256
    .name:           _ZN9rocsparseL32bsr2csr_block_per_row_2_7_kernelILj256ELj3E21rocsparse_complex_numIdEllEEv20rocsparse_direction_T3_S4_21rocsparse_index_base_PKT1_PKT2_PKS4_S4_S5_PS6_PS9_PS4_
    .private_segment_fixed_size: 0
    .sgpr_count:     20
    .sgpr_spill_count: 0
    .symbol:         _ZN9rocsparseL32bsr2csr_block_per_row_2_7_kernelILj256ELj3E21rocsparse_complex_numIdEllEEv20rocsparse_direction_T3_S4_21rocsparse_index_base_PKT1_PKT2_PKS4_S4_S5_PS6_PS9_PS4_.kd
    .uniform_work_group_size: 1
    .uses_dynamic_stack: false
    .vgpr_count:     32
    .vgpr_spill_count: 0
    .wavefront_size: 32
  - .args:
      - .offset:         0
        .size:           4
        .value_kind:     by_value
      - .offset:         8
        .size:           8
        .value_kind:     by_value
      - .offset:         16
        .size:           8
        .value_kind:     by_value
      - .offset:         24
        .size:           4
        .value_kind:     by_value
      - .actual_access:  read_only
        .address_space:  global
        .offset:         32
        .size:           8
        .value_kind:     global_buffer
      - .actual_access:  read_only
        .address_space:  global
        .offset:         40
        .size:           8
        .value_kind:     global_buffer
      - .actual_access:  read_only
        .address_space:  global
        .offset:         48
        .size:           8
        .value_kind:     global_buffer
      - .offset:         56
        .size:           8
        .value_kind:     by_value
      - .offset:         64
        .size:           4
        .value_kind:     by_value
      - .actual_access:  write_only
        .address_space:  global
        .offset:         72
        .size:           8
        .value_kind:     global_buffer
      - .actual_access:  write_only
        .address_space:  global
        .offset:         80
        .size:           8
        .value_kind:     global_buffer
      - .actual_access:  write_only
        .address_space:  global
        .offset:         88
        .size:           8
        .value_kind:     global_buffer
    .group_segment_fixed_size: 0
    .kernarg_segment_align: 8
    .kernarg_segment_size: 96
    .language:       OpenCL C
    .language_version:
      - 2
      - 0
    .max_flat_workgroup_size: 256
    .name:           _ZN9rocsparseL32bsr2csr_block_per_row_2_7_kernelILj256ELj4E21rocsparse_complex_numIdEllEEv20rocsparse_direction_T3_S4_21rocsparse_index_base_PKT1_PKT2_PKS4_S4_S5_PS6_PS9_PS4_
    .private_segment_fixed_size: 0
    .sgpr_count:     20
    .sgpr_spill_count: 0
    .symbol:         _ZN9rocsparseL32bsr2csr_block_per_row_2_7_kernelILj256ELj4E21rocsparse_complex_numIdEllEEv20rocsparse_direction_T3_S4_21rocsparse_index_base_PKT1_PKT2_PKS4_S4_S5_PS6_PS9_PS4_.kd
    .uniform_work_group_size: 1
    .uses_dynamic_stack: false
    .vgpr_count:     36
    .vgpr_spill_count: 0
    .wavefront_size: 32
  - .args:
      - .offset:         0
        .size:           4
        .value_kind:     by_value
      - .offset:         8
        .size:           8
        .value_kind:     by_value
      - .offset:         16
        .size:           8
        .value_kind:     by_value
      - .offset:         24
        .size:           4
        .value_kind:     by_value
      - .actual_access:  read_only
        .address_space:  global
        .offset:         32
        .size:           8
        .value_kind:     global_buffer
      - .actual_access:  read_only
        .address_space:  global
        .offset:         40
        .size:           8
        .value_kind:     global_buffer
      - .actual_access:  read_only
        .address_space:  global
        .offset:         48
        .size:           8
        .value_kind:     global_buffer
      - .offset:         56
        .size:           8
        .value_kind:     by_value
      - .offset:         64
        .size:           4
        .value_kind:     by_value
      - .actual_access:  write_only
        .address_space:  global
        .offset:         72
        .size:           8
        .value_kind:     global_buffer
      - .actual_access:  write_only
        .address_space:  global
        .offset:         80
        .size:           8
        .value_kind:     global_buffer
      - .actual_access:  write_only
        .address_space:  global
        .offset:         88
        .size:           8
        .value_kind:     global_buffer
    .group_segment_fixed_size: 0
    .kernarg_segment_align: 8
    .kernarg_segment_size: 96
    .language:       OpenCL C
    .language_version:
      - 2
      - 0
    .max_flat_workgroup_size: 256
    .name:           _ZN9rocsparseL32bsr2csr_block_per_row_2_7_kernelILj256ELj5E21rocsparse_complex_numIdEllEEv20rocsparse_direction_T3_S4_21rocsparse_index_base_PKT1_PKT2_PKS4_S4_S5_PS6_PS9_PS4_
    .private_segment_fixed_size: 0
    .sgpr_count:     20
    .sgpr_spill_count: 0
    .symbol:         _ZN9rocsparseL32bsr2csr_block_per_row_2_7_kernelILj256ELj5E21rocsparse_complex_numIdEllEEv20rocsparse_direction_T3_S4_21rocsparse_index_base_PKT1_PKT2_PKS4_S4_S5_PS6_PS9_PS4_.kd
    .uniform_work_group_size: 1
    .uses_dynamic_stack: false
    .vgpr_count:     44
    .vgpr_spill_count: 0
    .wavefront_size: 32
  - .args:
      - .offset:         0
        .size:           4
        .value_kind:     by_value
      - .offset:         8
        .size:           8
        .value_kind:     by_value
      - .offset:         16
        .size:           8
        .value_kind:     by_value
      - .offset:         24
        .size:           4
        .value_kind:     by_value
      - .actual_access:  read_only
        .address_space:  global
        .offset:         32
        .size:           8
        .value_kind:     global_buffer
      - .actual_access:  read_only
        .address_space:  global
        .offset:         40
        .size:           8
        .value_kind:     global_buffer
      - .actual_access:  read_only
        .address_space:  global
        .offset:         48
        .size:           8
        .value_kind:     global_buffer
      - .offset:         56
        .size:           8
        .value_kind:     by_value
      - .offset:         64
        .size:           4
        .value_kind:     by_value
      - .actual_access:  write_only
        .address_space:  global
        .offset:         72
        .size:           8
        .value_kind:     global_buffer
      - .actual_access:  write_only
        .address_space:  global
        .offset:         80
        .size:           8
        .value_kind:     global_buffer
      - .actual_access:  write_only
        .address_space:  global
        .offset:         88
        .size:           8
        .value_kind:     global_buffer
    .group_segment_fixed_size: 0
    .kernarg_segment_align: 8
    .kernarg_segment_size: 96
    .language:       OpenCL C
    .language_version:
      - 2
      - 0
    .max_flat_workgroup_size: 256
    .name:           _ZN9rocsparseL32bsr2csr_block_per_row_2_7_kernelILj256ELj6E21rocsparse_complex_numIdEllEEv20rocsparse_direction_T3_S4_21rocsparse_index_base_PKT1_PKT2_PKS4_S4_S5_PS6_PS9_PS4_
    .private_segment_fixed_size: 0
    .sgpr_count:     20
    .sgpr_spill_count: 0
    .symbol:         _ZN9rocsparseL32bsr2csr_block_per_row_2_7_kernelILj256ELj6E21rocsparse_complex_numIdEllEEv20rocsparse_direction_T3_S4_21rocsparse_index_base_PKT1_PKT2_PKS4_S4_S5_PS6_PS9_PS4_.kd
    .uniform_work_group_size: 1
    .uses_dynamic_stack: false
    .vgpr_count:     48
    .vgpr_spill_count: 0
    .wavefront_size: 32
  - .args:
      - .offset:         0
        .size:           4
        .value_kind:     by_value
      - .offset:         8
        .size:           8
        .value_kind:     by_value
      - .offset:         16
        .size:           8
        .value_kind:     by_value
      - .offset:         24
        .size:           4
        .value_kind:     by_value
      - .actual_access:  read_only
        .address_space:  global
        .offset:         32
        .size:           8
        .value_kind:     global_buffer
      - .actual_access:  read_only
        .address_space:  global
        .offset:         40
        .size:           8
        .value_kind:     global_buffer
      - .actual_access:  read_only
        .address_space:  global
        .offset:         48
        .size:           8
        .value_kind:     global_buffer
      - .offset:         56
        .size:           8
        .value_kind:     by_value
      - .offset:         64
        .size:           4
        .value_kind:     by_value
      - .actual_access:  write_only
        .address_space:  global
        .offset:         72
        .size:           8
        .value_kind:     global_buffer
      - .actual_access:  write_only
        .address_space:  global
        .offset:         80
        .size:           8
        .value_kind:     global_buffer
      - .actual_access:  write_only
        .address_space:  global
        .offset:         88
        .size:           8
        .value_kind:     global_buffer
    .group_segment_fixed_size: 0
    .kernarg_segment_align: 8
    .kernarg_segment_size: 96
    .language:       OpenCL C
    .language_version:
      - 2
      - 0
    .max_flat_workgroup_size: 256
    .name:           _ZN9rocsparseL32bsr2csr_block_per_row_2_7_kernelILj256ELj7E21rocsparse_complex_numIdEllEEv20rocsparse_direction_T3_S4_21rocsparse_index_base_PKT1_PKT2_PKS4_S4_S5_PS6_PS9_PS4_
    .private_segment_fixed_size: 0
    .sgpr_count:     20
    .sgpr_spill_count: 0
    .symbol:         _ZN9rocsparseL32bsr2csr_block_per_row_2_7_kernelILj256ELj7E21rocsparse_complex_numIdEllEEv20rocsparse_direction_T3_S4_21rocsparse_index_base_PKT1_PKT2_PKS4_S4_S5_PS6_PS9_PS4_.kd
    .uniform_work_group_size: 1
    .uses_dynamic_stack: false
    .vgpr_count:     54
    .vgpr_spill_count: 0
    .wavefront_size: 32
  - .args:
      - .offset:         0
        .size:           4
        .value_kind:     by_value
      - .offset:         8
        .size:           8
        .value_kind:     by_value
      - .offset:         16
        .size:           8
        .value_kind:     by_value
      - .offset:         24
        .size:           4
        .value_kind:     by_value
      - .actual_access:  read_only
        .address_space:  global
        .offset:         32
        .size:           8
        .value_kind:     global_buffer
      - .actual_access:  read_only
        .address_space:  global
        .offset:         40
        .size:           8
        .value_kind:     global_buffer
      - .actual_access:  read_only
        .address_space:  global
        .offset:         48
        .size:           8
        .value_kind:     global_buffer
      - .offset:         56
        .size:           8
        .value_kind:     by_value
      - .offset:         64
        .size:           4
        .value_kind:     by_value
      - .actual_access:  write_only
        .address_space:  global
        .offset:         72
        .size:           8
        .value_kind:     global_buffer
      - .actual_access:  write_only
        .address_space:  global
        .offset:         80
        .size:           8
        .value_kind:     global_buffer
      - .actual_access:  write_only
        .address_space:  global
        .offset:         88
        .size:           8
        .value_kind:     global_buffer
    .group_segment_fixed_size: 0
    .kernarg_segment_align: 8
    .kernarg_segment_size: 96
    .language:       OpenCL C
    .language_version:
      - 2
      - 0
    .max_flat_workgroup_size: 1024
    .name:           _ZN9rocsparseL33bsr2csr_block_per_row_8_32_kernelILj1024ELj8E21rocsparse_complex_numIdEllEEv20rocsparse_direction_T3_S4_21rocsparse_index_base_PKT1_PKT2_PKS4_S4_S5_PS6_PS9_PS4_
    .private_segment_fixed_size: 0
    .sgpr_count:     28
    .sgpr_spill_count: 0
    .symbol:         _ZN9rocsparseL33bsr2csr_block_per_row_8_32_kernelILj1024ELj8E21rocsparse_complex_numIdEllEEv20rocsparse_direction_T3_S4_21rocsparse_index_base_PKT1_PKT2_PKS4_S4_S5_PS6_PS9_PS4_.kd
    .uniform_work_group_size: 1
    .uses_dynamic_stack: false
    .vgpr_count:     20
    .vgpr_spill_count: 0
    .wavefront_size: 32
  - .args:
      - .offset:         0
        .size:           4
        .value_kind:     by_value
      - .offset:         8
        .size:           8
        .value_kind:     by_value
      - .offset:         16
        .size:           8
        .value_kind:     by_value
      - .offset:         24
        .size:           4
        .value_kind:     by_value
      - .actual_access:  read_only
        .address_space:  global
        .offset:         32
        .size:           8
        .value_kind:     global_buffer
      - .actual_access:  read_only
        .address_space:  global
        .offset:         40
        .size:           8
        .value_kind:     global_buffer
      - .actual_access:  read_only
        .address_space:  global
        .offset:         48
        .size:           8
        .value_kind:     global_buffer
      - .offset:         56
        .size:           8
        .value_kind:     by_value
      - .offset:         64
        .size:           4
        .value_kind:     by_value
      - .actual_access:  write_only
        .address_space:  global
        .offset:         72
        .size:           8
        .value_kind:     global_buffer
      - .actual_access:  write_only
        .address_space:  global
        .offset:         80
        .size:           8
        .value_kind:     global_buffer
      - .actual_access:  write_only
        .address_space:  global
        .offset:         88
        .size:           8
        .value_kind:     global_buffer
    .group_segment_fixed_size: 0
    .kernarg_segment_align: 8
    .kernarg_segment_size: 96
    .language:       OpenCL C
    .language_version:
      - 2
      - 0
    .max_flat_workgroup_size: 1024
    .name:           _ZN9rocsparseL33bsr2csr_block_per_row_8_32_kernelILj1024ELj16E21rocsparse_complex_numIdEllEEv20rocsparse_direction_T3_S4_21rocsparse_index_base_PKT1_PKT2_PKS4_S4_S5_PS6_PS9_PS4_
    .private_segment_fixed_size: 0
    .sgpr_count:     28
    .sgpr_spill_count: 0
    .symbol:         _ZN9rocsparseL33bsr2csr_block_per_row_8_32_kernelILj1024ELj16E21rocsparse_complex_numIdEllEEv20rocsparse_direction_T3_S4_21rocsparse_index_base_PKT1_PKT2_PKS4_S4_S5_PS6_PS9_PS4_.kd
    .uniform_work_group_size: 1
    .uses_dynamic_stack: false
    .vgpr_count:     20
    .vgpr_spill_count: 0
    .wavefront_size: 32
  - .args:
      - .offset:         0
        .size:           4
        .value_kind:     by_value
      - .offset:         8
        .size:           8
        .value_kind:     by_value
      - .offset:         16
        .size:           8
        .value_kind:     by_value
      - .offset:         24
        .size:           4
        .value_kind:     by_value
      - .actual_access:  read_only
        .address_space:  global
        .offset:         32
        .size:           8
        .value_kind:     global_buffer
      - .actual_access:  read_only
        .address_space:  global
        .offset:         40
        .size:           8
        .value_kind:     global_buffer
      - .actual_access:  read_only
        .address_space:  global
        .offset:         48
        .size:           8
        .value_kind:     global_buffer
      - .offset:         56
        .size:           8
        .value_kind:     by_value
      - .offset:         64
        .size:           4
        .value_kind:     by_value
      - .actual_access:  write_only
        .address_space:  global
        .offset:         72
        .size:           8
        .value_kind:     global_buffer
      - .actual_access:  write_only
        .address_space:  global
        .offset:         80
        .size:           8
        .value_kind:     global_buffer
      - .actual_access:  write_only
        .address_space:  global
        .offset:         88
        .size:           8
        .value_kind:     global_buffer
    .group_segment_fixed_size: 0
    .kernarg_segment_align: 8
    .kernarg_segment_size: 96
    .language:       OpenCL C
    .language_version:
      - 2
      - 0
    .max_flat_workgroup_size: 1024
    .name:           _ZN9rocsparseL33bsr2csr_block_per_row_8_32_kernelILj1024ELj32E21rocsparse_complex_numIdEllEEv20rocsparse_direction_T3_S4_21rocsparse_index_base_PKT1_PKT2_PKS4_S4_S5_PS6_PS9_PS4_
    .private_segment_fixed_size: 0
    .sgpr_count:     32
    .sgpr_spill_count: 0
    .symbol:         _ZN9rocsparseL33bsr2csr_block_per_row_8_32_kernelILj1024ELj32E21rocsparse_complex_numIdEllEEv20rocsparse_direction_T3_S4_21rocsparse_index_base_PKT1_PKT2_PKS4_S4_S5_PS6_PS9_PS4_.kd
    .uniform_work_group_size: 1
    .uses_dynamic_stack: false
    .vgpr_count:     14
    .vgpr_spill_count: 0
    .wavefront_size: 32
  - .args:
      - .offset:         0
        .size:           4
        .value_kind:     by_value
      - .offset:         8
        .size:           8
        .value_kind:     by_value
      - .offset:         16
        .size:           8
        .value_kind:     by_value
      - .offset:         24
        .size:           4
        .value_kind:     by_value
      - .actual_access:  read_only
        .address_space:  global
        .offset:         32
        .size:           8
        .value_kind:     global_buffer
      - .actual_access:  read_only
        .address_space:  global
        .offset:         40
        .size:           8
        .value_kind:     global_buffer
      - .actual_access:  read_only
        .address_space:  global
        .offset:         48
        .size:           8
        .value_kind:     global_buffer
      - .offset:         56
        .size:           8
        .value_kind:     by_value
      - .offset:         64
        .size:           4
        .value_kind:     by_value
      - .actual_access:  write_only
        .address_space:  global
        .offset:         72
        .size:           8
        .value_kind:     global_buffer
      - .actual_access:  write_only
        .address_space:  global
        .offset:         80
        .size:           8
        .value_kind:     global_buffer
      - .actual_access:  write_only
        .address_space:  global
        .offset:         88
        .size:           8
        .value_kind:     global_buffer
    .group_segment_fixed_size: 0
    .kernarg_segment_align: 8
    .kernarg_segment_size: 96
    .language:       OpenCL C
    .language_version:
      - 2
      - 0
    .max_flat_workgroup_size: 1024
    .name:           _ZN9rocsparseL35bsr2csr_block_per_row_33_256_kernelILj1024ELj64ELj32E21rocsparse_complex_numIdEllEEv20rocsparse_direction_T4_S4_21rocsparse_index_base_PKT2_PKT3_PKS4_S4_S5_PS6_PS9_PS4_
    .private_segment_fixed_size: 0
    .sgpr_count:     32
    .sgpr_spill_count: 0
    .symbol:         _ZN9rocsparseL35bsr2csr_block_per_row_33_256_kernelILj1024ELj64ELj32E21rocsparse_complex_numIdEllEEv20rocsparse_direction_T4_S4_21rocsparse_index_base_PKT2_PKT3_PKS4_S4_S5_PS6_PS9_PS4_.kd
    .uniform_work_group_size: 1
    .uses_dynamic_stack: false
    .vgpr_count:     42
    .vgpr_spill_count: 0
    .wavefront_size: 32
  - .args:
      - .offset:         0
        .size:           4
        .value_kind:     by_value
      - .offset:         8
        .size:           8
        .value_kind:     by_value
      - .offset:         16
        .size:           8
        .value_kind:     by_value
      - .offset:         24
        .size:           4
        .value_kind:     by_value
      - .actual_access:  read_only
        .address_space:  global
        .offset:         32
        .size:           8
        .value_kind:     global_buffer
      - .actual_access:  read_only
        .address_space:  global
        .offset:         40
        .size:           8
        .value_kind:     global_buffer
      - .actual_access:  read_only
        .address_space:  global
        .offset:         48
        .size:           8
        .value_kind:     global_buffer
      - .offset:         56
        .size:           8
        .value_kind:     by_value
      - .offset:         64
        .size:           4
        .value_kind:     by_value
      - .actual_access:  write_only
        .address_space:  global
        .offset:         72
        .size:           8
        .value_kind:     global_buffer
      - .actual_access:  write_only
        .address_space:  global
        .offset:         80
        .size:           8
        .value_kind:     global_buffer
      - .actual_access:  write_only
        .address_space:  global
        .offset:         88
        .size:           8
        .value_kind:     global_buffer
    .group_segment_fixed_size: 0
    .kernarg_segment_align: 8
    .kernarg_segment_size: 96
    .language:       OpenCL C
    .language_version:
      - 2
      - 0
    .max_flat_workgroup_size: 1024
    .name:           _ZN9rocsparseL35bsr2csr_block_per_row_33_256_kernelILj1024ELj128ELj32E21rocsparse_complex_numIdEllEEv20rocsparse_direction_T4_S4_21rocsparse_index_base_PKT2_PKT3_PKS4_S4_S5_PS6_PS9_PS4_
    .private_segment_fixed_size: 0
    .sgpr_count:     48
    .sgpr_spill_count: 0
    .symbol:         _ZN9rocsparseL35bsr2csr_block_per_row_33_256_kernelILj1024ELj128ELj32E21rocsparse_complex_numIdEllEEv20rocsparse_direction_T4_S4_21rocsparse_index_base_PKT2_PKT3_PKS4_S4_S5_PS6_PS9_PS4_.kd
    .uniform_work_group_size: 1
    .uses_dynamic_stack: false
    .vgpr_count:     70
    .vgpr_spill_count: 0
    .wavefront_size: 32
  - .args:
      - .offset:         0
        .size:           4
        .value_kind:     by_value
      - .offset:         8
        .size:           8
        .value_kind:     by_value
      - .offset:         16
        .size:           8
        .value_kind:     by_value
      - .offset:         24
        .size:           4
        .value_kind:     by_value
      - .actual_access:  read_only
        .address_space:  global
        .offset:         32
        .size:           8
        .value_kind:     global_buffer
      - .actual_access:  read_only
        .address_space:  global
        .offset:         40
        .size:           8
        .value_kind:     global_buffer
      - .actual_access:  read_only
        .address_space:  global
        .offset:         48
        .size:           8
        .value_kind:     global_buffer
      - .offset:         56
        .size:           8
        .value_kind:     by_value
      - .offset:         64
        .size:           4
        .value_kind:     by_value
      - .actual_access:  write_only
        .address_space:  global
        .offset:         72
        .size:           8
        .value_kind:     global_buffer
      - .actual_access:  write_only
        .address_space:  global
        .offset:         80
        .size:           8
        .value_kind:     global_buffer
      - .actual_access:  write_only
        .address_space:  global
        .offset:         88
        .size:           8
        .value_kind:     global_buffer
    .group_segment_fixed_size: 0
    .kernarg_segment_align: 8
    .kernarg_segment_size: 96
    .language:       OpenCL C
    .language_version:
      - 2
      - 0
    .max_flat_workgroup_size: 1024
    .name:           _ZN9rocsparseL35bsr2csr_block_per_row_33_256_kernelILj1024ELj256ELj32E21rocsparse_complex_numIdEllEEv20rocsparse_direction_T4_S4_21rocsparse_index_base_PKT2_PKT3_PKS4_S4_S5_PS6_PS9_PS4_
    .private_segment_fixed_size: 0
    .sgpr_count:     102
    .sgpr_spill_count: 0
    .symbol:         _ZN9rocsparseL35bsr2csr_block_per_row_33_256_kernelILj1024ELj256ELj32E21rocsparse_complex_numIdEllEEv20rocsparse_direction_T4_S4_21rocsparse_index_base_PKT2_PKT3_PKS4_S4_S5_PS6_PS9_PS4_.kd
    .uniform_work_group_size: 1
    .uses_dynamic_stack: false
    .vgpr_count:     94
    .vgpr_spill_count: 0
    .wavefront_size: 32
amdhsa.target:   amdgcn-amd-amdhsa--gfx1250
amdhsa.version:
  - 1
  - 2
...

	.end_amdgpu_metadata
